;; amdgpu-corpus repo=ROCm/rocSPARSE kind=compiled arch=gfx950 opt=O3
	.amdgcn_target "amdgcn-amd-amdhsa--gfx950"
	.amdhsa_code_object_version 6
	.section	.text._ZN9rocsparseL23bsric0_binsearch_kernelILj32ELj32ELb0EfEEv20rocsparse_direction_iiPKiS3_PT2_S3_PiS3_S6_21rocsparse_index_base_,"axG",@progbits,_ZN9rocsparseL23bsric0_binsearch_kernelILj32ELj32ELb0EfEEv20rocsparse_direction_iiPKiS3_PT2_S3_PiS3_S6_21rocsparse_index_base_,comdat
	.globl	_ZN9rocsparseL23bsric0_binsearch_kernelILj32ELj32ELb0EfEEv20rocsparse_direction_iiPKiS3_PT2_S3_PiS3_S6_21rocsparse_index_base_ ; -- Begin function _ZN9rocsparseL23bsric0_binsearch_kernelILj32ELj32ELb0EfEEv20rocsparse_direction_iiPKiS3_PT2_S3_PiS3_S6_21rocsparse_index_base_
	.p2align	8
	.type	_ZN9rocsparseL23bsric0_binsearch_kernelILj32ELj32ELb0EfEEv20rocsparse_direction_iiPKiS3_PT2_S3_PiS3_S6_21rocsparse_index_base_,@function
_ZN9rocsparseL23bsric0_binsearch_kernelILj32ELj32ELb0EfEEv20rocsparse_direction_iiPKiS3_PT2_S3_PiS3_S6_21rocsparse_index_base_: ; @_ZN9rocsparseL23bsric0_binsearch_kernelILj32ELj32ELb0EfEEv20rocsparse_direction_iiPKiS3_PT2_S3_PiS3_S6_21rocsparse_index_base_
; %bb.0:
	s_load_dwordx8 s[16:23], s[0:1], 0x28
	s_ashr_i32 s3, s2, 31
	s_lshl_b64 s[2:3], s[2:3], 2
	v_mov_b32_e32 v1, 0
	s_load_dword s33, s[0:1], 0x48
	s_waitcnt lgkmcnt(0)
	s_add_u32 s2, s20, s2
	s_addc_u32 s3, s21, s3
	global_load_dword v2, v1, s[2:3]
	s_waitcnt vmcnt(0)
	v_ashrrev_i32_e32 v3, 31, v2
	v_lshlrev_b64 v[4:5], 2, v[2:3]
	v_lshl_add_u64 v[4:5], s[16:17], 0, v[4:5]
	global_load_dword v1, v[4:5], off
	s_waitcnt vmcnt(0)
	v_readfirstlane_b32 s2, v1
	s_cmp_lg_u32 s2, -1
	s_cselect_b64 s[2:3], -1, 0
	s_and_saveexec_b64 s[4:5], s[2:3]
	s_xor_b64 s[14:15], exec, s[4:5]
	s_cbranch_execz .LBB0_69
; %bb.1:
	s_load_dword s50, s[0:1], 0x8
	s_waitcnt lgkmcnt(0)
	v_cmp_gt_i32_e32 vcc, s50, v0
	s_and_saveexec_b64 s[20:21], vcc
	s_cbranch_execz .LBB0_66
; %bb.2:
	s_load_dwordx4 s[24:27], s[0:1], 0x10
	s_load_dword s4, s[0:1], 0x0
	s_load_dwordx2 s[28:29], s[0:1], 0x20
	s_mul_i32 s51, s50, s50
	v_cmp_ne_u32_e64 s[0:1], 0, v0
	s_waitcnt lgkmcnt(0)
	v_lshl_add_u64 v[4:5], v[2:3], 2, s[24:25]
	global_load_dwordx2 v[4:5], v[4:5], off
	s_cmp_eq_u32 s4, 0
	s_cselect_b64 s[2:3], -1, 0
	s_cmp_lg_u32 s4, 0
	v_add_u32_e32 v18, s33, v2
	s_mov_b64 s[30:31], 0
	v_mov_b32_e32 v19, 0
	s_mov_b32 s52, 0xf800000
	v_mov_b32_e32 v20, 0x260
	v_mul_lo_u32 v21, v1, s51
	s_cselect_b64 s[34:35], -1, 0
	s_waitcnt vmcnt(0)
	v_subrev_u32_e32 v22, s33, v4
	v_xad_u32 v23, s33, -1, v5
	v_add_u32_e32 v4, v23, v22
	v_ashrrev_i32_e32 v4, 1, v4
	v_mul_lo_u32 v24, s51, v22
	v_ashrrev_i32_e32 v5, 31, v4
	v_cmp_lt_i32_e64 s[4:5], v22, v1
	v_cmp_ge_i32_e64 s[6:7], v22, v1
	v_cmp_lt_i32_e64 s[8:9], v22, v23
	v_add_u32_e32 v25, v24, v0
	v_lshl_add_u64 v[6:7], v[4:5], 2, s[26:27]
	v_mov_b32_e32 v5, v0
	s_branch .LBB0_4
.LBB0_3:                                ;   in Loop: Header=BB0_4 Depth=1
	v_add_u32_e32 v5, 32, v5
	v_cmp_le_i32_e32 vcc, s50, v5
	s_or_b64 s[30:31], vcc, s[30:31]
	v_add_u32_e32 v25, 32, v25
	s_andn2_b64 exec, exec, s[30:31]
	s_cbranch_execz .LBB0_66
.LBB0_4:                                ; =>This Loop Header: Depth=1
                                        ;     Child Loop BB0_9 Depth 2
                                        ;       Child Loop BB0_12 Depth 3
                                        ;       Child Loop BB0_16 Depth 3
                                        ;         Child Loop BB0_18 Depth 4
                                        ;         Child Loop BB0_25 Depth 4
                                        ;           Child Loop BB0_27 Depth 5
                                        ;           Child Loop BB0_33 Depth 5
                                        ;     Child Loop BB0_40 Depth 2
                                        ;       Child Loop BB0_44 Depth 3
                                        ;       Child Loop BB0_52 Depth 3
                                        ;         Child Loop BB0_54 Depth 4
                                        ;       Child Loop BB0_62 Depth 3
	v_mul_lo_u32 v26, v5, s50
	s_and_saveexec_b64 s[10:11], s[6:7]
	s_xor_b64 s[10:11], exec, s[10:11]
; %bb.5:                                ;   in Loop: Header=BB0_4 Depth=1
	v_mul_lo_u32 v26, v5, s50
; %bb.6:                                ;   in Loop: Header=BB0_4 Depth=1
	s_or_saveexec_b64 s[36:37], s[10:11]
	v_mov_b32_e32 v27, 0
	s_xor_b64 exec, exec, s[36:37]
	s_cbranch_execz .LBB0_37
; %bb.7:                                ;   in Loop: Header=BB0_4 Depth=1
	v_mov_b32_e32 v27, 0
	s_mov_b64 s[38:39], 0
	v_mov_b32_e32 v8, v22
	s_branch .LBB0_9
.LBB0_8:                                ;   in Loop: Header=BB0_9 Depth=2
	s_or_b64 exec, exec, s[40:41]
	v_add_u32_e32 v8, 1, v8
	v_cmp_ge_i32_e32 vcc, v8, v1
	s_xor_b64 s[10:11], s[10:11], -1
	s_or_b64 s[10:11], s[10:11], vcc
	s_and_b64 s[10:11], exec, s[10:11]
	s_or_b64 s[38:39], s[10:11], s[38:39]
	s_andn2_b64 exec, exec, s[38:39]
	s_cbranch_execz .LBB0_36
.LBB0_9:                                ;   Parent Loop BB0_4 Depth=1
                                        ; =>  This Loop Header: Depth=2
                                        ;       Child Loop BB0_12 Depth 3
                                        ;       Child Loop BB0_16 Depth 3
                                        ;         Child Loop BB0_18 Depth 4
                                        ;         Child Loop BB0_25 Depth 4
                                        ;           Child Loop BB0_27 Depth 5
                                        ;           Child Loop BB0_33 Depth 5
	v_ashrrev_i32_e32 v9, 31, v8
	v_lshl_add_u64 v[10:11], v[8:9], 2, s[26:27]
	global_load_dword v9, v[10:11], off
	s_waitcnt vmcnt(0)
	v_subrev_u32_e32 v10, s33, v9
	v_ashrrev_i32_e32 v11, 31, v10
	v_lshl_add_u64 v[12:13], v[10:11], 2, s[16:17]
	global_load_dword v28, v[12:13], off
	s_waitcnt vmcnt(0)
	v_cmp_ne_u32_e64 s[10:11], -1, v28
	s_and_saveexec_b64 s[40:41], s[10:11]
	s_cbranch_execz .LBB0_8
; %bb.10:                               ;   in Loop: Header=BB0_9 Depth=2
	v_lshlrev_b64 v[12:13], 2, v[10:11]
	v_lshl_add_u64 v[14:15], s[24:25], 0, v[12:13]
	v_lshl_add_u64 v[12:13], s[18:19], 0, v[12:13]
	global_load_dword v11, v[14:15], off
	s_nop 0
	global_load_dword v14, v[12:13], off sc1
	s_waitcnt vmcnt(0)
	v_cmp_eq_u32_e32 vcc, 0, v14
	s_and_saveexec_b64 s[12:13], vcc
	s_cbranch_execz .LBB0_13
; %bb.11:                               ;   in Loop: Header=BB0_9 Depth=2
	s_mov_b64 s[42:43], 0
.LBB0_12:                               ;   Parent Loop BB0_4 Depth=1
                                        ;     Parent Loop BB0_9 Depth=2
                                        ; =>    This Inner Loop Header: Depth=3
	global_load_dword v14, v[12:13], off sc1
	s_waitcnt vmcnt(0)
	v_cmp_ne_u32_e32 vcc, 0, v14
	s_or_b64 s[42:43], vcc, s[42:43]
	s_andn2_b64 exec, exec, s[42:43]
	s_cbranch_execnz .LBB0_12
.LBB0_13:                               ;   in Loop: Header=BB0_9 Depth=2
	s_or_b64 exec, exec, s[12:13]
	v_subrev_u32_e32 v29, s33, v11
	v_mul_lo_u32 v30, v10, s50
	v_mul_lo_u32 v10, v8, s51
	v_mul_lo_u32 v31, v28, s51
	v_add_u32_e32 v32, v10, v5
	v_add_u32_e32 v33, v10, v26
	v_cmp_le_i32_e64 s[12:13], v29, v28
	v_mul_lo_u32 v34, s51, v29
	s_mov_b32 s53, 0
	buffer_inv sc1
	s_branch .LBB0_16
.LBB0_14:                               ;   in Loop: Header=BB0_16 Depth=3
	s_or_b64 exec, exec, s[44:45]
.LBB0_15:                               ;   in Loop: Header=BB0_16 Depth=3
	s_or_b64 exec, exec, s[42:43]
	s_waitcnt vmcnt(0)
	v_sub_f32_e32 v12, v36, v37
	v_div_scale_f32 v13, s[42:43], v35, v35, v12
	v_rcp_f32_e32 v14, v13
	v_div_scale_f32 v15, vcc, v12, v35, v12
	s_add_i32 s53, s53, 1
	v_fma_f32 v16, -v13, v14, 1.0
	v_fmac_f32_e32 v14, v16, v14
	v_mul_f32_e32 v16, v15, v14
	v_fma_f32 v17, -v13, v16, v15
	v_fmac_f32_e32 v16, v17, v14
	v_fma_f32 v13, -v13, v16, v15
	v_div_fmas_f32 v13, v13, v14, v16
	v_div_fixup_f32 v12, v13, v35, v12
	v_fmac_f32_e32 v27, v12, v12
	s_cmp_eq_u32 s53, s50
	v_add_u32_e32 v34, 1, v34
	global_store_dword v[10:11], v12, off
	s_cbranch_scc1 .LBB0_8
.LBB0_16:                               ;   Parent Loop BB0_4 Depth=1
                                        ;     Parent Loop BB0_9 Depth=2
                                        ; =>    This Loop Header: Depth=3
                                        ;         Child Loop BB0_18 Depth 4
                                        ;         Child Loop BB0_25 Depth 4
                                        ;           Child Loop BB0_27 Depth 5
                                        ;           Child Loop BB0_33 Depth 5
	s_mul_i32 s54, s53, s50
	s_add_i32 s42, s54, s53
	v_add_u32_e32 v10, s42, v31
	v_ashrrev_i32_e32 v11, 31, v10
	v_lshl_add_u64 v[10:11], v[10:11], 2, s[28:29]
	global_load_dword v10, v[10:11], off
	s_waitcnt vmcnt(0)
	v_cmp_neq_f32_e32 vcc, 0, v10
	s_nop 1
	v_cndmask_b32_e32 v35, 1.0, v10, vcc
	s_nor_b64 s[44:45], vcc, s[0:1]
	s_and_saveexec_b64 s[42:43], s[44:45]
	s_cbranch_execz .LBB0_22
; %bb.17:                               ;   in Loop: Header=BB0_16 Depth=3
	s_mov_b64 s[44:45], exec
	s_brev_b32 s46, -2
.LBB0_18:                               ;   Parent Loop BB0_4 Depth=1
                                        ;     Parent Loop BB0_9 Depth=2
                                        ;       Parent Loop BB0_16 Depth=3
                                        ; =>      This Inner Loop Header: Depth=4
	s_ff1_i32_b64 s47, s[44:45]
	v_readlane_b32 s55, v9, s47
	s_lshl_b64 s[48:49], 1, s47
	s_min_i32 s46, s46, s55
	s_andn2_b64 s[44:45], s[44:45], s[48:49]
	s_cmp_lg_u64 s[44:45], 0
	s_cbranch_scc1 .LBB0_18
; %bb.19:                               ;   in Loop: Header=BB0_16 Depth=3
	v_mbcnt_lo_u32_b32 v10, exec_lo, 0
	v_mbcnt_hi_u32_b32 v10, exec_hi, v10
	v_cmp_eq_u32_e32 vcc, 0, v10
	s_and_saveexec_b64 s[44:45], vcc
	s_xor_b64 s[44:45], exec, s[44:45]
	s_cbranch_execz .LBB0_21
; %bb.20:                               ;   in Loop: Header=BB0_16 Depth=3
	v_mov_b32_e32 v10, s46
	global_atomic_smin v19, v10, s[22:23]
.LBB0_21:                               ;   in Loop: Header=BB0_16 Depth=3
	s_or_b64 exec, exec, s[44:45]
	v_mov_b32_e32 v35, 1.0
.LBB0_22:                               ;   in Loop: Header=BB0_16 Depth=3
	s_or_b64 exec, exec, s[42:43]
	v_add_u32_e32 v10, s54, v32
	v_add_u32_e32 v11, s53, v33
	v_cndmask_b32_e64 v10, v10, v11, s[2:3]
	v_ashrrev_i32_e32 v11, 31, v10
	v_lshl_add_u64 v[10:11], v[10:11], 2, s[28:29]
	global_load_dword v36, v[10:11], off
	v_mov_b32_e32 v37, 0
	s_and_saveexec_b64 s[42:43], s[12:13]
	s_cbranch_execz .LBB0_15
; %bb.23:                               ;   in Loop: Header=BB0_16 Depth=3
	global_load_dword v38, v[6:7], off
	v_add_u32_e32 v39, s53, v30
	v_mov_b32_e32 v37, 0
	s_mov_b64 s[44:45], 0
	v_mov_b32_e32 v40, v34
	v_mov_b32_e32 v12, v29
	s_branch .LBB0_25
.LBB0_24:                               ;   in Loop: Header=BB0_25 Depth=4
	s_or_b64 exec, exec, s[46:47]
	v_add_u32_e32 v13, 1, v12
	v_cmp_ge_i32_e32 vcc, v12, v28
	v_add_u32_e32 v40, s51, v40
	s_or_b64 s[44:45], vcc, s[44:45]
	v_mov_b32_e32 v12, v13
	s_andn2_b64 exec, exec, s[44:45]
	s_cbranch_execz .LBB0_14
.LBB0_25:                               ;   Parent Loop BB0_4 Depth=1
                                        ;     Parent Loop BB0_9 Depth=2
                                        ;       Parent Loop BB0_16 Depth=3
                                        ; =>      This Loop Header: Depth=4
                                        ;           Child Loop BB0_27 Depth 5
                                        ;           Child Loop BB0_33 Depth 5
	v_ashrrev_i32_e32 v13, 31, v12
	v_lshl_add_u64 v[14:15], v[12:13], 2, s[26:27]
	global_load_dword v13, v[14:15], off
	s_waitcnt vmcnt(1)
	v_mov_b32_e32 v15, v38
	v_mov_b32_e32 v14, v4
	s_and_saveexec_b64 s[46:47], s[8:9]
	s_cbranch_execz .LBB0_29
; %bb.26:                               ;   in Loop: Header=BB0_25 Depth=4
	s_mov_b64 s[48:49], 0
	v_mov_b32_e32 v15, v38
	v_mov_b32_e32 v14, v4
	;; [unrolled: 1-line block ×4, first 2 shown]
.LBB0_27:                               ;   Parent Loop BB0_4 Depth=1
                                        ;     Parent Loop BB0_9 Depth=2
                                        ;       Parent Loop BB0_16 Depth=3
                                        ;         Parent Loop BB0_25 Depth=4
                                        ; =>        This Inner Loop Header: Depth=5
	v_add_u32_e32 v41, 1, v14
	s_waitcnt vmcnt(0)
	v_cmp_lt_i32_e32 vcc, v15, v13
	s_nop 1
	v_cndmask_b32_e32 v17, v17, v41, vcc
	v_cndmask_b32_e32 v16, v14, v16, vcc
	v_add_u32_e32 v14, v16, v17
	v_ashrrev_i32_e32 v14, 1, v14
	v_ashrrev_i32_e32 v15, 31, v14
	v_lshl_add_u64 v[42:43], v[14:15], 2, s[26:27]
	global_load_dword v15, v[42:43], off
	v_cmp_ge_i32_e32 vcc, v17, v16
	s_or_b64 s[48:49], vcc, s[48:49]
	s_andn2_b64 exec, exec, s[48:49]
	s_cbranch_execnz .LBB0_27
; %bb.28:                               ;   in Loop: Header=BB0_25 Depth=4
	s_or_b64 exec, exec, s[48:49]
.LBB0_29:                               ;   in Loop: Header=BB0_25 Depth=4
	s_or_b64 exec, exec, s[46:47]
	s_waitcnt vmcnt(0)
	v_cmp_eq_u32_e32 vcc, v15, v13
	s_and_saveexec_b64 s[46:47], vcc
	s_cbranch_execz .LBB0_24
; %bb.30:                               ;   in Loop: Header=BB0_25 Depth=4
	v_subrev_u32_e32 v13, s33, v13
	v_mul_lo_u32 v15, v12, s51
	v_mul_lo_u32 v14, v14, s51
	;; [unrolled: 1-line block ×3, first 2 shown]
	v_add_u32_e32 v41, s54, v15
	v_add_u32_e32 v42, v14, v26
	;; [unrolled: 1-line block ×3, first 2 shown]
	s_mov_b32 s55, 0
	v_mov_b32_e32 v44, v40
	s_branch .LBB0_33
.LBB0_31:                               ;   in Loop: Header=BB0_33 Depth=5
	v_ashrrev_i32_e32 v17, 31, v16
	v_ashrrev_i32_e32 v15, 31, v14
	v_lshl_add_u64 v[16:17], v[16:17], 2, s[28:29]
	v_lshl_add_u64 v[14:15], v[14:15], 2, s[28:29]
	global_load_dword v16, v[16:17], off
	s_nop 0
	global_load_dword v14, v[14:15], off
	s_waitcnt vmcnt(0)
	v_fmac_f32_e32 v37, v16, v14
.LBB0_32:                               ;   in Loop: Header=BB0_33 Depth=5
	s_or_b64 exec, exec, s[48:49]
	s_add_i32 s55, s55, 1
	v_add_u32_e32 v43, s50, v43
	s_cmp_lg_u32 s50, s55
	v_add_u32_e32 v44, s50, v44
	s_cbranch_scc0 .LBB0_24
.LBB0_33:                               ;   Parent Loop BB0_4 Depth=1
                                        ;     Parent Loop BB0_9 Depth=2
                                        ;       Parent Loop BB0_16 Depth=3
                                        ;         Parent Loop BB0_25 Depth=4
                                        ; =>        This Inner Loop Header: Depth=5
	v_add_u32_e32 v14, s55, v13
	v_cmp_lt_i32_e32 vcc, v14, v39
	s_and_saveexec_b64 s[48:49], vcc
	s_cbranch_execz .LBB0_32
; %bb.34:                               ;   in Loop: Header=BB0_33 Depth=5
	s_andn2_b64 vcc, exec, s[2:3]
	v_mov_b32_e32 v14, v43
	v_mov_b32_e32 v16, v44
	s_cbranch_vccnz .LBB0_31
; %bb.35:                               ;   in Loop: Header=BB0_33 Depth=5
	v_add_u32_e32 v16, s55, v41
	v_add_u32_e32 v14, s55, v42
	s_branch .LBB0_31
.LBB0_36:                               ;   in Loop: Header=BB0_4 Depth=1
	s_or_b64 exec, exec, s[38:39]
.LBB0_37:                               ;   in Loop: Header=BB0_4 Depth=1
	s_or_b64 exec, exec, s[36:37]
	v_add_u32_e32 v14, v26, v21
	s_mov_b32 s40, 0
	v_mov_b32_e32 v15, v24
	s_branch .LBB0_40
.LBB0_38:                               ;   in Loop: Header=BB0_40 Depth=2
	s_waitcnt vmcnt(0)
	v_sub_f32_e32 v10, v28, v29
	v_div_scale_f32 v11, s[12:13], v17, v17, v10
	v_rcp_f32_e32 v12, v11
	v_div_scale_f32 v13, vcc, v10, v17, v10
	v_fma_f32 v16, -v11, v12, 1.0
	v_fmac_f32_e32 v12, v16, v12
	v_mul_f32_e32 v16, v13, v12
	v_fma_f32 v28, -v11, v16, v13
	v_fmac_f32_e32 v16, v28, v12
	v_fma_f32 v11, -v11, v16, v13
	v_div_fmas_f32 v11, v11, v12, v16
	v_div_fixup_f32 v10, v11, v17, v10
	v_fmac_f32_e32 v27, v10, v10
	global_store_dword v[8:9], v10, off
.LBB0_39:                               ;   in Loop: Header=BB0_40 Depth=2
	s_or_b64 exec, exec, s[10:11]
	s_add_i32 s40, s40, 1
	s_cmp_eq_u32 s40, s50
	v_add_u32_e32 v15, 1, v15
	buffer_wbl2 sc1
	s_waitcnt vmcnt(0)
	buffer_inv sc1
	s_cbranch_scc1 .LBB0_3
.LBB0_40:                               ;   Parent Loop BB0_4 Depth=1
                                        ; =>  This Loop Header: Depth=2
                                        ;       Child Loop BB0_44 Depth 3
                                        ;       Child Loop BB0_52 Depth 3
                                        ;         Child Loop BB0_54 Depth 4
                                        ;       Child Loop BB0_62 Depth 3
	s_mul_i32 s41, s40, s50
	v_add_u32_e32 v16, s41, v21
	v_add_u32_e32 v8, s40, v16
	v_ashrrev_i32_e32 v9, 31, v8
	v_cmp_eq_u32_e32 vcc, s40, v5
	v_lshl_add_u64 v[8:9], v[8:9], 2, s[28:29]
	s_and_saveexec_b64 s[12:13], vcc
	s_cbranch_execz .LBB0_42
; %bb.41:                               ;   in Loop: Header=BB0_40 Depth=2
	global_load_dword v10, v[8:9], off
	s_waitcnt vmcnt(0)
	v_sub_f32_e32 v10, v10, v27
	v_cmp_gt_f32_e32 vcc, 0, v10
	s_nop 1
	v_cndmask_b32_e64 v10, v10, -v10, vcc
	v_mul_f32_e32 v11, 0x4f800000, v10
	v_cmp_gt_f32_e32 vcc, s52, v10
	s_nop 1
	v_cndmask_b32_e32 v10, v10, v11, vcc
	v_sqrt_f32_e32 v11, v10
	s_nop 0
	v_add_u32_e32 v12, -1, v11
	v_add_u32_e32 v13, 1, v11
	v_fma_f32 v17, -v12, v11, v10
	v_fma_f32 v28, -v13, v11, v10
	v_cmp_ge_f32_e64 s[10:11], 0, v17
	s_nop 1
	v_cndmask_b32_e64 v11, v11, v12, s[10:11]
	v_cmp_lt_f32_e64 s[10:11], 0, v28
	s_nop 1
	v_cndmask_b32_e64 v11, v11, v13, s[10:11]
	v_mul_f32_e32 v12, 0x37800000, v11
	v_cndmask_b32_e32 v11, v11, v12, vcc
	v_cmp_class_f32_e32 vcc, v10, v20
	s_nop 1
	v_cndmask_b32_e32 v10, v11, v10, vcc
	global_store_dword v[8:9], v10, off
.LBB0_42:                               ;   in Loop: Header=BB0_40 Depth=2
	s_or_b64 exec, exec, s[12:13]
	buffer_wbl2 sc1
	s_waitcnt vmcnt(0)
	buffer_inv sc1
	global_load_dword v8, v[8:9], off
	s_waitcnt vmcnt(0)
	v_cmp_neq_f32_e32 vcc, 0, v8
	s_nop 1
	v_cndmask_b32_e32 v17, 1.0, v8, vcc
	s_nor_b64 s[12:13], vcc, s[0:1]
	s_and_saveexec_b64 s[10:11], s[12:13]
	s_cbranch_execz .LBB0_48
; %bb.43:                               ;   in Loop: Header=BB0_40 Depth=2
	s_mov_b64 s[12:13], exec
	s_brev_b32 s36, -2
.LBB0_44:                               ;   Parent Loop BB0_4 Depth=1
                                        ;     Parent Loop BB0_40 Depth=2
                                        ; =>    This Inner Loop Header: Depth=3
	s_ff1_i32_b64 s37, s[12:13]
	v_readlane_b32 s42, v18, s37
	s_lshl_b64 s[38:39], 1, s37
	s_min_i32 s36, s36, s42
	s_andn2_b64 s[12:13], s[12:13], s[38:39]
	s_cmp_lg_u64 s[12:13], 0
	s_cbranch_scc1 .LBB0_44
; %bb.45:                               ;   in Loop: Header=BB0_40 Depth=2
	v_mbcnt_lo_u32_b32 v8, exec_lo, 0
	v_mbcnt_hi_u32_b32 v8, exec_hi, v8
	v_cmp_eq_u32_e32 vcc, 0, v8
	s_and_saveexec_b64 s[12:13], vcc
	s_xor_b64 s[12:13], exec, s[12:13]
	s_cbranch_execz .LBB0_47
; %bb.46:                               ;   in Loop: Header=BB0_40 Depth=2
	v_mov_b32_e32 v8, s36
	global_atomic_smin v19, v8, s[22:23]
.LBB0_47:                               ;   in Loop: Header=BB0_40 Depth=2
	s_or_b64 exec, exec, s[12:13]
	v_mov_b32_e32 v17, 1.0
.LBB0_48:                               ;   in Loop: Header=BB0_40 Depth=2
	s_or_b64 exec, exec, s[10:11]
	v_cmp_lt_i32_e32 vcc, s40, v5
	s_and_saveexec_b64 s[10:11], vcc
	s_cbranch_execz .LBB0_39
; %bb.49:                               ;   in Loop: Header=BB0_40 Depth=2
	v_add_u32_e32 v8, v16, v5
	v_add_u32_e32 v9, s40, v14
	v_cndmask_b32_e64 v8, v8, v9, s[2:3]
	v_ashrrev_i32_e32 v9, 31, v8
	v_lshl_add_u64 v[8:9], v[8:9], 2, s[28:29]
	global_load_dword v28, v[8:9], off
	v_mov_b32_e32 v29, 0
	s_and_saveexec_b64 s[12:13], s[4:5]
	s_cbranch_execz .LBB0_59
; %bb.50:                               ;   in Loop: Header=BB0_40 Depth=2
	v_mov_b32_e32 v29, 0
	s_mov_b64 s[36:37], 0
	v_mov_b32_e32 v30, v15
	v_mov_b32_e32 v31, v25
	;; [unrolled: 1-line block ×3, first 2 shown]
	s_branch .LBB0_52
.LBB0_51:                               ;   in Loop: Header=BB0_52 Depth=3
	v_add_u32_e32 v32, 1, v32
	v_cmp_ge_i32_e32 vcc, v32, v1
	v_add_u32_e32 v31, s51, v31
	s_or_b64 s[36:37], vcc, s[36:37]
	v_add_u32_e32 v30, s51, v30
	s_andn2_b64 exec, exec, s[36:37]
	s_cbranch_execz .LBB0_58
.LBB0_52:                               ;   Parent Loop BB0_4 Depth=1
                                        ;     Parent Loop BB0_40 Depth=2
                                        ; =>    This Loop Header: Depth=3
                                        ;         Child Loop BB0_54 Depth 4
	v_mul_lo_u32 v10, v32, s51
	v_add_u32_e32 v33, s41, v10
	v_add_u32_e32 v34, v10, v26
	s_mov_b32 s42, 0
	s_mov_b32 s43, s50
	;; [unrolled: 1-line block ×3, first 2 shown]
	s_branch .LBB0_54
.LBB0_53:                               ;   in Loop: Header=BB0_54 Depth=4
	v_ashrrev_i32_e32 v13, 31, v12
	v_lshl_add_u64 v[12:13], v[12:13], 2, s[28:29]
	v_ashrrev_i32_e32 v11, 31, v10
	v_lshl_add_u64 v[10:11], v[10:11], 2, s[28:29]
	global_load_dword v35, v[12:13], off
	global_load_dword v36, v[10:11], off
	s_add_i32 s44, s44, 1
	s_add_i32 s42, s42, s50
	s_add_i32 s43, s43, -1
	s_cmp_eq_u32 s43, 0
	s_waitcnt vmcnt(0)
	v_fmac_f32_e32 v29, v35, v36
	s_cbranch_scc1 .LBB0_51
.LBB0_54:                               ;   Parent Loop BB0_4 Depth=1
                                        ;     Parent Loop BB0_40 Depth=2
                                        ;       Parent Loop BB0_52 Depth=3
                                        ; =>      This Inner Loop Header: Depth=4
	s_mov_b64 s[38:39], -1
	s_and_b64 vcc, exec, s[34:35]
                                        ; implicit-def: $vgpr12
                                        ; implicit-def: $vgpr10
	s_cbranch_vccz .LBB0_56
; %bb.55:                               ;   in Loop: Header=BB0_54 Depth=4
	v_add_u32_e32 v12, s42, v30
	v_add_u32_e32 v10, s42, v31
	s_mov_b64 s[38:39], 0
.LBB0_56:                               ;   in Loop: Header=BB0_54 Depth=4
	s_andn2_b64 vcc, exec, s[38:39]
	s_cbranch_vccnz .LBB0_53
; %bb.57:                               ;   in Loop: Header=BB0_54 Depth=4
	v_add_u32_e32 v12, s44, v33
	v_add_u32_e32 v10, s44, v34
	s_branch .LBB0_53
.LBB0_58:                               ;   in Loop: Header=BB0_40 Depth=2
	s_or_b64 exec, exec, s[36:37]
.LBB0_59:                               ;   in Loop: Header=BB0_40 Depth=2
	s_or_b64 exec, exec, s[12:13]
	s_cmp_eq_u32 s40, 0
	s_cbranch_scc1 .LBB0_38
; %bb.60:                               ;   in Loop: Header=BB0_40 Depth=2
	s_mov_b32 s36, 0
	v_mov_b32_e32 v30, v21
	s_branch .LBB0_62
.LBB0_61:                               ;   in Loop: Header=BB0_62 Depth=3
	v_ashrrev_i32_e32 v13, 31, v12
	v_lshl_add_u64 v[12:13], v[12:13], 2, s[28:29]
	v_ashrrev_i32_e32 v11, 31, v10
	v_lshl_add_u64 v[10:11], v[10:11], 2, s[28:29]
	global_load_dword v31, v[12:13], off
	global_load_dword v32, v[10:11], off
	s_add_i32 s36, s36, 1
	s_cmp_eq_u32 s40, s36
	v_add_u32_e32 v30, s50, v30
	s_waitcnt vmcnt(0)
	v_fmac_f32_e32 v29, v31, v32
	s_cbranch_scc1 .LBB0_38
.LBB0_62:                               ;   Parent Loop BB0_4 Depth=1
                                        ;     Parent Loop BB0_40 Depth=2
                                        ; =>    This Inner Loop Header: Depth=3
	s_mov_b64 s[12:13], -1
	s_and_b64 vcc, exec, s[34:35]
                                        ; implicit-def: $vgpr12
                                        ; implicit-def: $vgpr10
	s_cbranch_vccz .LBB0_64
; %bb.63:                               ;   in Loop: Header=BB0_62 Depth=3
	v_add_u32_e32 v12, s40, v30
	v_add_u32_e32 v10, v5, v30
	s_mov_b64 s[12:13], 0
.LBB0_64:                               ;   in Loop: Header=BB0_62 Depth=3
	s_andn2_b64 vcc, exec, s[12:13]
	s_cbranch_vccnz .LBB0_61
; %bb.65:                               ;   in Loop: Header=BB0_62 Depth=3
	v_add_u32_e32 v12, s36, v16
	v_add_u32_e32 v10, s36, v14
	s_branch .LBB0_61
.LBB0_66:
	s_or_b64 exec, exec, s[20:21]
	v_cmp_eq_u32_e32 vcc, 31, v0
	s_and_saveexec_b64 s[0:1], vcc
	s_cbranch_execz .LBB0_68
; %bb.67:
	v_lshl_add_u64 v[0:1], v[2:3], 2, s[18:19]
	v_mov_b32_e32 v2, 1
	buffer_wbl2 sc1
	global_store_dword v[0:1], v2, off sc1
.LBB0_68:
	s_or_b64 exec, exec, s[0:1]
                                        ; implicit-def: $vgpr0
                                        ; implicit-def: $vgpr2_vgpr3
.LBB0_69:
	s_andn2_saveexec_b64 s[0:1], s[14:15]
	s_cbranch_execz .LBB0_76
; %bb.70:
	v_cmp_eq_u32_e32 vcc, 31, v0
	s_and_saveexec_b64 s[0:1], vcc
	s_cbranch_execz .LBB0_76
; %bb.71:
	s_mov_b64 s[0:1], exec
	v_add_u32_e32 v0, s33, v2
	s_brev_b32 s2, -2
.LBB0_72:                               ; =>This Inner Loop Header: Depth=1
	s_ff1_i32_b64 s3, s[0:1]
	v_readlane_b32 s6, v0, s3
	s_lshl_b64 s[4:5], 1, s3
	s_min_i32 s2, s2, s6
	s_andn2_b64 s[0:1], s[0:1], s[4:5]
	s_cmp_lg_u64 s[0:1], 0
	s_cbranch_scc1 .LBB0_72
; %bb.73:
	v_mbcnt_lo_u32_b32 v0, exec_lo, 0
	v_mbcnt_hi_u32_b32 v0, exec_hi, v0
	v_cmp_eq_u32_e32 vcc, 0, v0
	s_and_saveexec_b64 s[0:1], vcc
	s_xor_b64 s[0:1], exec, s[0:1]
	s_cbranch_execz .LBB0_75
; %bb.74:
	v_mov_b32_e32 v0, 0
	v_mov_b32_e32 v1, s2
	global_atomic_smin v0, v1, s[22:23]
.LBB0_75:
	s_or_b64 exec, exec, s[0:1]
	v_lshl_add_u64 v[0:1], v[2:3], 2, s[18:19]
	v_mov_b32_e32 v2, 1
	buffer_wbl2 sc1
	s_waitcnt vmcnt(0)
	global_store_dword v[0:1], v2, off sc1
.LBB0_76:
	s_endpgm
	.section	.rodata,"a",@progbits
	.p2align	6, 0x0
	.amdhsa_kernel _ZN9rocsparseL23bsric0_binsearch_kernelILj32ELj32ELb0EfEEv20rocsparse_direction_iiPKiS3_PT2_S3_PiS3_S6_21rocsparse_index_base_
		.amdhsa_group_segment_fixed_size 0
		.amdhsa_private_segment_fixed_size 0
		.amdhsa_kernarg_size 76
		.amdhsa_user_sgpr_count 2
		.amdhsa_user_sgpr_dispatch_ptr 0
		.amdhsa_user_sgpr_queue_ptr 0
		.amdhsa_user_sgpr_kernarg_segment_ptr 1
		.amdhsa_user_sgpr_dispatch_id 0
		.amdhsa_user_sgpr_kernarg_preload_length 0
		.amdhsa_user_sgpr_kernarg_preload_offset 0
		.amdhsa_user_sgpr_private_segment_size 0
		.amdhsa_uses_dynamic_stack 0
		.amdhsa_enable_private_segment 0
		.amdhsa_system_sgpr_workgroup_id_x 1
		.amdhsa_system_sgpr_workgroup_id_y 0
		.amdhsa_system_sgpr_workgroup_id_z 0
		.amdhsa_system_sgpr_workgroup_info 0
		.amdhsa_system_vgpr_workitem_id 0
		.amdhsa_next_free_vgpr 45
		.amdhsa_next_free_sgpr 56
		.amdhsa_accum_offset 48
		.amdhsa_reserve_vcc 1
		.amdhsa_float_round_mode_32 0
		.amdhsa_float_round_mode_16_64 0
		.amdhsa_float_denorm_mode_32 3
		.amdhsa_float_denorm_mode_16_64 3
		.amdhsa_dx10_clamp 1
		.amdhsa_ieee_mode 1
		.amdhsa_fp16_overflow 0
		.amdhsa_tg_split 0
		.amdhsa_exception_fp_ieee_invalid_op 0
		.amdhsa_exception_fp_denorm_src 0
		.amdhsa_exception_fp_ieee_div_zero 0
		.amdhsa_exception_fp_ieee_overflow 0
		.amdhsa_exception_fp_ieee_underflow 0
		.amdhsa_exception_fp_ieee_inexact 0
		.amdhsa_exception_int_div_zero 0
	.end_amdhsa_kernel
	.section	.text._ZN9rocsparseL23bsric0_binsearch_kernelILj32ELj32ELb0EfEEv20rocsparse_direction_iiPKiS3_PT2_S3_PiS3_S6_21rocsparse_index_base_,"axG",@progbits,_ZN9rocsparseL23bsric0_binsearch_kernelILj32ELj32ELb0EfEEv20rocsparse_direction_iiPKiS3_PT2_S3_PiS3_S6_21rocsparse_index_base_,comdat
.Lfunc_end0:
	.size	_ZN9rocsparseL23bsric0_binsearch_kernelILj32ELj32ELb0EfEEv20rocsparse_direction_iiPKiS3_PT2_S3_PiS3_S6_21rocsparse_index_base_, .Lfunc_end0-_ZN9rocsparseL23bsric0_binsearch_kernelILj32ELj32ELb0EfEEv20rocsparse_direction_iiPKiS3_PT2_S3_PiS3_S6_21rocsparse_index_base_
                                        ; -- End function
	.set _ZN9rocsparseL23bsric0_binsearch_kernelILj32ELj32ELb0EfEEv20rocsparse_direction_iiPKiS3_PT2_S3_PiS3_S6_21rocsparse_index_base_.num_vgpr, 45
	.set _ZN9rocsparseL23bsric0_binsearch_kernelILj32ELj32ELb0EfEEv20rocsparse_direction_iiPKiS3_PT2_S3_PiS3_S6_21rocsparse_index_base_.num_agpr, 0
	.set _ZN9rocsparseL23bsric0_binsearch_kernelILj32ELj32ELb0EfEEv20rocsparse_direction_iiPKiS3_PT2_S3_PiS3_S6_21rocsparse_index_base_.numbered_sgpr, 56
	.set _ZN9rocsparseL23bsric0_binsearch_kernelILj32ELj32ELb0EfEEv20rocsparse_direction_iiPKiS3_PT2_S3_PiS3_S6_21rocsparse_index_base_.num_named_barrier, 0
	.set _ZN9rocsparseL23bsric0_binsearch_kernelILj32ELj32ELb0EfEEv20rocsparse_direction_iiPKiS3_PT2_S3_PiS3_S6_21rocsparse_index_base_.private_seg_size, 0
	.set _ZN9rocsparseL23bsric0_binsearch_kernelILj32ELj32ELb0EfEEv20rocsparse_direction_iiPKiS3_PT2_S3_PiS3_S6_21rocsparse_index_base_.uses_vcc, 1
	.set _ZN9rocsparseL23bsric0_binsearch_kernelILj32ELj32ELb0EfEEv20rocsparse_direction_iiPKiS3_PT2_S3_PiS3_S6_21rocsparse_index_base_.uses_flat_scratch, 0
	.set _ZN9rocsparseL23bsric0_binsearch_kernelILj32ELj32ELb0EfEEv20rocsparse_direction_iiPKiS3_PT2_S3_PiS3_S6_21rocsparse_index_base_.has_dyn_sized_stack, 0
	.set _ZN9rocsparseL23bsric0_binsearch_kernelILj32ELj32ELb0EfEEv20rocsparse_direction_iiPKiS3_PT2_S3_PiS3_S6_21rocsparse_index_base_.has_recursion, 0
	.set _ZN9rocsparseL23bsric0_binsearch_kernelILj32ELj32ELb0EfEEv20rocsparse_direction_iiPKiS3_PT2_S3_PiS3_S6_21rocsparse_index_base_.has_indirect_call, 0
	.section	.AMDGPU.csdata,"",@progbits
; Kernel info:
; codeLenInByte = 2472
; TotalNumSgprs: 62
; NumVgprs: 45
; NumAgprs: 0
; TotalNumVgprs: 45
; ScratchSize: 0
; MemoryBound: 0
; FloatMode: 240
; IeeeMode: 1
; LDSByteSize: 0 bytes/workgroup (compile time only)
; SGPRBlocks: 7
; VGPRBlocks: 5
; NumSGPRsForWavesPerEU: 62
; NumVGPRsForWavesPerEU: 45
; AccumOffset: 48
; Occupancy: 8
; WaveLimiterHint : 1
; COMPUTE_PGM_RSRC2:SCRATCH_EN: 0
; COMPUTE_PGM_RSRC2:USER_SGPR: 2
; COMPUTE_PGM_RSRC2:TRAP_HANDLER: 0
; COMPUTE_PGM_RSRC2:TGID_X_EN: 1
; COMPUTE_PGM_RSRC2:TGID_Y_EN: 0
; COMPUTE_PGM_RSRC2:TGID_Z_EN: 0
; COMPUTE_PGM_RSRC2:TIDIG_COMP_CNT: 0
; COMPUTE_PGM_RSRC3_GFX90A:ACCUM_OFFSET: 11
; COMPUTE_PGM_RSRC3_GFX90A:TG_SPLIT: 0
	.section	.text._ZN9rocsparseL23bsric0_binsearch_kernelILj64ELj64ELb1EfEEv20rocsparse_direction_iiPKiS3_PT2_S3_PiS3_S6_21rocsparse_index_base_,"axG",@progbits,_ZN9rocsparseL23bsric0_binsearch_kernelILj64ELj64ELb1EfEEv20rocsparse_direction_iiPKiS3_PT2_S3_PiS3_S6_21rocsparse_index_base_,comdat
	.globl	_ZN9rocsparseL23bsric0_binsearch_kernelILj64ELj64ELb1EfEEv20rocsparse_direction_iiPKiS3_PT2_S3_PiS3_S6_21rocsparse_index_base_ ; -- Begin function _ZN9rocsparseL23bsric0_binsearch_kernelILj64ELj64ELb1EfEEv20rocsparse_direction_iiPKiS3_PT2_S3_PiS3_S6_21rocsparse_index_base_
	.p2align	8
	.type	_ZN9rocsparseL23bsric0_binsearch_kernelILj64ELj64ELb1EfEEv20rocsparse_direction_iiPKiS3_PT2_S3_PiS3_S6_21rocsparse_index_base_,@function
_ZN9rocsparseL23bsric0_binsearch_kernelILj64ELj64ELb1EfEEv20rocsparse_direction_iiPKiS3_PT2_S3_PiS3_S6_21rocsparse_index_base_: ; @_ZN9rocsparseL23bsric0_binsearch_kernelILj64ELj64ELb1EfEEv20rocsparse_direction_iiPKiS3_PT2_S3_PiS3_S6_21rocsparse_index_base_
; %bb.0:
	s_load_dwordx8 s[16:23], s[0:1], 0x28
	s_ashr_i32 s3, s2, 31
	s_lshl_b64 s[2:3], s[2:3], 2
	v_mov_b32_e32 v1, 0
	s_load_dword s33, s[0:1], 0x48
	s_waitcnt lgkmcnt(0)
	s_add_u32 s2, s20, s2
	s_addc_u32 s3, s21, s3
	global_load_dword v2, v1, s[2:3]
	s_waitcnt vmcnt(0)
	v_ashrrev_i32_e32 v3, 31, v2
	v_lshlrev_b64 v[4:5], 2, v[2:3]
	v_lshl_add_u64 v[4:5], s[16:17], 0, v[4:5]
	global_load_dword v1, v[4:5], off
	s_waitcnt vmcnt(0)
	v_readfirstlane_b32 s2, v1
	s_cmp_lg_u32 s2, -1
	s_cselect_b64 s[2:3], -1, 0
	s_and_saveexec_b64 s[4:5], s[2:3]
	s_xor_b64 s[14:15], exec, s[4:5]
	s_cbranch_execz .LBB1_71
; %bb.1:
	s_load_dword s50, s[0:1], 0x8
	s_waitcnt lgkmcnt(0)
	v_cmp_gt_i32_e32 vcc, s50, v0
	s_and_saveexec_b64 s[20:21], vcc
	s_cbranch_execz .LBB1_68
; %bb.2:
	s_load_dwordx4 s[24:27], s[0:1], 0x10
	s_load_dword s4, s[0:1], 0x0
	s_load_dwordx2 s[28:29], s[0:1], 0x20
	s_mul_i32 s51, s50, s50
	v_cmp_ne_u32_e64 s[0:1], 0, v0
	s_waitcnt lgkmcnt(0)
	v_lshl_add_u64 v[4:5], v[2:3], 2, s[24:25]
	global_load_dwordx2 v[4:5], v[4:5], off
	s_cmp_eq_u32 s4, 0
	s_cselect_b64 s[2:3], -1, 0
	s_cmp_lg_u32 s4, 0
	v_add_u32_e32 v18, s33, v2
	s_mov_b64 s[30:31], 0
	v_mov_b32_e32 v19, 0
	s_mov_b32 s52, 0xf800000
	v_mov_b32_e32 v20, 0x260
	v_mul_lo_u32 v21, v1, s51
	s_cselect_b64 s[34:35], -1, 0
	s_waitcnt vmcnt(0)
	v_subrev_u32_e32 v22, s33, v4
	v_xad_u32 v23, s33, -1, v5
	v_add_u32_e32 v4, v23, v22
	v_ashrrev_i32_e32 v4, 1, v4
	v_mul_lo_u32 v24, s51, v22
	v_ashrrev_i32_e32 v5, 31, v4
	v_cmp_lt_i32_e64 s[4:5], v22, v1
	v_cmp_ge_i32_e64 s[6:7], v22, v1
	v_cmp_lt_i32_e64 s[8:9], v22, v23
	v_add_u32_e32 v25, v24, v0
	v_lshl_add_u64 v[6:7], v[4:5], 2, s[26:27]
	v_mov_b32_e32 v5, v0
	s_branch .LBB1_4
.LBB1_3:                                ;   in Loop: Header=BB1_4 Depth=1
	v_add_u32_e32 v5, 64, v5
	v_cmp_le_i32_e32 vcc, s50, v5
	s_or_b64 s[30:31], vcc, s[30:31]
	v_add_u32_e32 v25, 64, v25
	s_andn2_b64 exec, exec, s[30:31]
	s_cbranch_execz .LBB1_68
.LBB1_4:                                ; =>This Loop Header: Depth=1
                                        ;     Child Loop BB1_9 Depth 2
                                        ;       Child Loop BB1_13 Depth 3
                                        ;         Child Loop BB1_14 Depth 4
                                        ;       Child Loop BB1_18 Depth 3
                                        ;         Child Loop BB1_20 Depth 4
                                        ;         Child Loop BB1_27 Depth 4
                                        ;           Child Loop BB1_29 Depth 5
                                        ;           Child Loop BB1_35 Depth 5
                                        ;     Child Loop BB1_42 Depth 2
                                        ;       Child Loop BB1_46 Depth 3
                                        ;       Child Loop BB1_54 Depth 3
                                        ;         Child Loop BB1_56 Depth 4
                                        ;       Child Loop BB1_64 Depth 3
	v_mul_lo_u32 v26, v5, s50
	s_and_saveexec_b64 s[10:11], s[6:7]
	s_xor_b64 s[10:11], exec, s[10:11]
; %bb.5:                                ;   in Loop: Header=BB1_4 Depth=1
	v_mul_lo_u32 v26, v5, s50
; %bb.6:                                ;   in Loop: Header=BB1_4 Depth=1
	s_or_saveexec_b64 s[36:37], s[10:11]
	v_mov_b32_e32 v27, 0
	s_xor_b64 exec, exec, s[36:37]
	s_cbranch_execz .LBB1_39
; %bb.7:                                ;   in Loop: Header=BB1_4 Depth=1
	v_mov_b32_e32 v27, 0
	s_mov_b64 s[38:39], 0
	v_mov_b32_e32 v8, v22
	s_branch .LBB1_9
.LBB1_8:                                ;   in Loop: Header=BB1_9 Depth=2
	s_or_b64 exec, exec, s[40:41]
	v_add_u32_e32 v8, 1, v8
	v_cmp_ge_i32_e32 vcc, v8, v1
	s_xor_b64 s[10:11], s[10:11], -1
	s_or_b64 s[10:11], s[10:11], vcc
	s_and_b64 s[10:11], exec, s[10:11]
	s_or_b64 s[38:39], s[10:11], s[38:39]
	s_andn2_b64 exec, exec, s[38:39]
	s_cbranch_execz .LBB1_38
.LBB1_9:                                ;   Parent Loop BB1_4 Depth=1
                                        ; =>  This Loop Header: Depth=2
                                        ;       Child Loop BB1_13 Depth 3
                                        ;         Child Loop BB1_14 Depth 4
                                        ;       Child Loop BB1_18 Depth 3
                                        ;         Child Loop BB1_20 Depth 4
                                        ;         Child Loop BB1_27 Depth 4
                                        ;           Child Loop BB1_29 Depth 5
                                        ;           Child Loop BB1_35 Depth 5
	v_ashrrev_i32_e32 v9, 31, v8
	v_lshl_add_u64 v[10:11], v[8:9], 2, s[26:27]
	global_load_dword v9, v[10:11], off
	s_waitcnt vmcnt(0)
	v_subrev_u32_e32 v10, s33, v9
	v_ashrrev_i32_e32 v11, 31, v10
	v_lshl_add_u64 v[12:13], v[10:11], 2, s[16:17]
	global_load_dword v28, v[12:13], off
	s_waitcnt vmcnt(0)
	v_cmp_ne_u32_e64 s[10:11], -1, v28
	s_and_saveexec_b64 s[40:41], s[10:11]
	s_cbranch_execz .LBB1_8
; %bb.10:                               ;   in Loop: Header=BB1_9 Depth=2
	v_lshlrev_b64 v[12:13], 2, v[10:11]
	v_lshl_add_u64 v[14:15], s[24:25], 0, v[12:13]
	v_lshl_add_u64 v[12:13], s[18:19], 0, v[12:13]
	global_load_dword v11, v[14:15], off
	s_nop 0
	global_load_dword v14, v[12:13], off sc1
	s_waitcnt vmcnt(0)
	v_cmp_eq_u32_e32 vcc, 0, v14
	s_and_saveexec_b64 s[12:13], vcc
	s_cbranch_execz .LBB1_15
; %bb.11:                               ;   in Loop: Header=BB1_9 Depth=2
	s_mov_b32 s44, 0
	s_mov_b64 s[42:43], 0
	s_branch .LBB1_13
.LBB1_12:                               ;   in Loop: Header=BB1_13 Depth=3
	global_load_dword v14, v[12:13], off sc1
	s_cmpk_lt_u32 s44, 0xf43
	s_cselect_b64 s[46:47], -1, 0
	s_cmp_lg_u64 s[46:47], 0
	s_addc_u32 s44, s44, 0
	s_waitcnt vmcnt(0)
	v_cmp_ne_u32_e32 vcc, 0, v14
	s_or_b64 s[42:43], vcc, s[42:43]
	s_andn2_b64 exec, exec, s[42:43]
	s_cbranch_execz .LBB1_15
.LBB1_13:                               ;   Parent Loop BB1_4 Depth=1
                                        ;     Parent Loop BB1_9 Depth=2
                                        ; =>    This Loop Header: Depth=3
                                        ;         Child Loop BB1_14 Depth 4
	s_cmp_eq_u32 s44, 0
	s_mov_b32 s45, s44
	s_cbranch_scc1 .LBB1_12
.LBB1_14:                               ;   Parent Loop BB1_4 Depth=1
                                        ;     Parent Loop BB1_9 Depth=2
                                        ;       Parent Loop BB1_13 Depth=3
                                        ; =>      This Inner Loop Header: Depth=4
	s_add_i32 s45, s45, -1
	s_cmp_eq_u32 s45, 0
	s_sleep 1
	s_cbranch_scc0 .LBB1_14
	s_branch .LBB1_12
.LBB1_15:                               ;   in Loop: Header=BB1_9 Depth=2
	s_or_b64 exec, exec, s[12:13]
	v_subrev_u32_e32 v29, s33, v11
	v_mul_lo_u32 v30, v10, s50
	v_mul_lo_u32 v10, v8, s51
	;; [unrolled: 1-line block ×3, first 2 shown]
	v_add_u32_e32 v32, v10, v5
	v_add_u32_e32 v33, v10, v26
	v_cmp_le_i32_e64 s[12:13], v29, v28
	v_mul_lo_u32 v34, s51, v29
	s_mov_b32 s53, 0
	buffer_inv sc1
	s_branch .LBB1_18
.LBB1_16:                               ;   in Loop: Header=BB1_18 Depth=3
	s_or_b64 exec, exec, s[44:45]
.LBB1_17:                               ;   in Loop: Header=BB1_18 Depth=3
	s_or_b64 exec, exec, s[42:43]
	s_waitcnt vmcnt(0)
	v_sub_f32_e32 v12, v36, v37
	v_div_scale_f32 v13, s[42:43], v35, v35, v12
	v_rcp_f32_e32 v14, v13
	v_div_scale_f32 v15, vcc, v12, v35, v12
	s_add_i32 s53, s53, 1
	v_fma_f32 v16, -v13, v14, 1.0
	v_fmac_f32_e32 v14, v16, v14
	v_mul_f32_e32 v16, v15, v14
	v_fma_f32 v17, -v13, v16, v15
	v_fmac_f32_e32 v16, v17, v14
	v_fma_f32 v13, -v13, v16, v15
	v_div_fmas_f32 v13, v13, v14, v16
	v_div_fixup_f32 v12, v13, v35, v12
	v_fmac_f32_e32 v27, v12, v12
	s_cmp_eq_u32 s53, s50
	v_add_u32_e32 v34, 1, v34
	global_store_dword v[10:11], v12, off
	s_cbranch_scc1 .LBB1_8
.LBB1_18:                               ;   Parent Loop BB1_4 Depth=1
                                        ;     Parent Loop BB1_9 Depth=2
                                        ; =>    This Loop Header: Depth=3
                                        ;         Child Loop BB1_20 Depth 4
                                        ;         Child Loop BB1_27 Depth 4
                                        ;           Child Loop BB1_29 Depth 5
                                        ;           Child Loop BB1_35 Depth 5
	s_mul_i32 s54, s53, s50
	s_add_i32 s42, s54, s53
	v_add_u32_e32 v10, s42, v31
	v_ashrrev_i32_e32 v11, 31, v10
	v_lshl_add_u64 v[10:11], v[10:11], 2, s[28:29]
	global_load_dword v10, v[10:11], off
	s_waitcnt vmcnt(0)
	v_cmp_neq_f32_e32 vcc, 0, v10
	s_nop 1
	v_cndmask_b32_e32 v35, 1.0, v10, vcc
	s_nor_b64 s[44:45], vcc, s[0:1]
	s_and_saveexec_b64 s[42:43], s[44:45]
	s_cbranch_execz .LBB1_24
; %bb.19:                               ;   in Loop: Header=BB1_18 Depth=3
	s_mov_b64 s[44:45], exec
	s_brev_b32 s46, -2
.LBB1_20:                               ;   Parent Loop BB1_4 Depth=1
                                        ;     Parent Loop BB1_9 Depth=2
                                        ;       Parent Loop BB1_18 Depth=3
                                        ; =>      This Inner Loop Header: Depth=4
	s_ff1_i32_b64 s47, s[44:45]
	v_readlane_b32 s55, v9, s47
	s_lshl_b64 s[48:49], 1, s47
	s_min_i32 s46, s46, s55
	s_andn2_b64 s[44:45], s[44:45], s[48:49]
	s_cmp_lg_u64 s[44:45], 0
	s_cbranch_scc1 .LBB1_20
; %bb.21:                               ;   in Loop: Header=BB1_18 Depth=3
	v_mbcnt_lo_u32_b32 v10, exec_lo, 0
	v_mbcnt_hi_u32_b32 v10, exec_hi, v10
	v_cmp_eq_u32_e32 vcc, 0, v10
	s_and_saveexec_b64 s[44:45], vcc
	s_xor_b64 s[44:45], exec, s[44:45]
	s_cbranch_execz .LBB1_23
; %bb.22:                               ;   in Loop: Header=BB1_18 Depth=3
	v_mov_b32_e32 v10, s46
	global_atomic_smin v19, v10, s[22:23]
.LBB1_23:                               ;   in Loop: Header=BB1_18 Depth=3
	s_or_b64 exec, exec, s[44:45]
	v_mov_b32_e32 v35, 1.0
.LBB1_24:                               ;   in Loop: Header=BB1_18 Depth=3
	s_or_b64 exec, exec, s[42:43]
	v_add_u32_e32 v10, s54, v32
	v_add_u32_e32 v11, s53, v33
	v_cndmask_b32_e64 v10, v10, v11, s[2:3]
	v_ashrrev_i32_e32 v11, 31, v10
	v_lshl_add_u64 v[10:11], v[10:11], 2, s[28:29]
	global_load_dword v36, v[10:11], off
	v_mov_b32_e32 v37, 0
	s_and_saveexec_b64 s[42:43], s[12:13]
	s_cbranch_execz .LBB1_17
; %bb.25:                               ;   in Loop: Header=BB1_18 Depth=3
	global_load_dword v38, v[6:7], off
	v_add_u32_e32 v39, s53, v30
	v_mov_b32_e32 v37, 0
	s_mov_b64 s[44:45], 0
	v_mov_b32_e32 v40, v34
	v_mov_b32_e32 v12, v29
	s_branch .LBB1_27
.LBB1_26:                               ;   in Loop: Header=BB1_27 Depth=4
	s_or_b64 exec, exec, s[46:47]
	v_add_u32_e32 v13, 1, v12
	v_cmp_ge_i32_e32 vcc, v12, v28
	v_add_u32_e32 v40, s51, v40
	s_or_b64 s[44:45], vcc, s[44:45]
	v_mov_b32_e32 v12, v13
	s_andn2_b64 exec, exec, s[44:45]
	s_cbranch_execz .LBB1_16
.LBB1_27:                               ;   Parent Loop BB1_4 Depth=1
                                        ;     Parent Loop BB1_9 Depth=2
                                        ;       Parent Loop BB1_18 Depth=3
                                        ; =>      This Loop Header: Depth=4
                                        ;           Child Loop BB1_29 Depth 5
                                        ;           Child Loop BB1_35 Depth 5
	v_ashrrev_i32_e32 v13, 31, v12
	v_lshl_add_u64 v[14:15], v[12:13], 2, s[26:27]
	global_load_dword v13, v[14:15], off
	s_waitcnt vmcnt(1)
	v_mov_b32_e32 v15, v38
	v_mov_b32_e32 v14, v4
	s_and_saveexec_b64 s[46:47], s[8:9]
	s_cbranch_execz .LBB1_31
; %bb.28:                               ;   in Loop: Header=BB1_27 Depth=4
	s_mov_b64 s[48:49], 0
	v_mov_b32_e32 v15, v38
	v_mov_b32_e32 v14, v4
	;; [unrolled: 1-line block ×4, first 2 shown]
.LBB1_29:                               ;   Parent Loop BB1_4 Depth=1
                                        ;     Parent Loop BB1_9 Depth=2
                                        ;       Parent Loop BB1_18 Depth=3
                                        ;         Parent Loop BB1_27 Depth=4
                                        ; =>        This Inner Loop Header: Depth=5
	v_add_u32_e32 v41, 1, v14
	s_waitcnt vmcnt(0)
	v_cmp_lt_i32_e32 vcc, v15, v13
	s_nop 1
	v_cndmask_b32_e32 v17, v17, v41, vcc
	v_cndmask_b32_e32 v16, v14, v16, vcc
	v_add_u32_e32 v14, v16, v17
	v_ashrrev_i32_e32 v14, 1, v14
	v_ashrrev_i32_e32 v15, 31, v14
	v_lshl_add_u64 v[42:43], v[14:15], 2, s[26:27]
	global_load_dword v15, v[42:43], off
	v_cmp_ge_i32_e32 vcc, v17, v16
	s_or_b64 s[48:49], vcc, s[48:49]
	s_andn2_b64 exec, exec, s[48:49]
	s_cbranch_execnz .LBB1_29
; %bb.30:                               ;   in Loop: Header=BB1_27 Depth=4
	s_or_b64 exec, exec, s[48:49]
.LBB1_31:                               ;   in Loop: Header=BB1_27 Depth=4
	s_or_b64 exec, exec, s[46:47]
	s_waitcnt vmcnt(0)
	v_cmp_eq_u32_e32 vcc, v15, v13
	s_and_saveexec_b64 s[46:47], vcc
	s_cbranch_execz .LBB1_26
; %bb.32:                               ;   in Loop: Header=BB1_27 Depth=4
	v_subrev_u32_e32 v13, s33, v13
	v_mul_lo_u32 v15, v12, s51
	v_mul_lo_u32 v14, v14, s51
	;; [unrolled: 1-line block ×3, first 2 shown]
	v_add_u32_e32 v41, s54, v15
	v_add_u32_e32 v42, v14, v26
	;; [unrolled: 1-line block ×3, first 2 shown]
	s_mov_b32 s55, 0
	v_mov_b32_e32 v44, v40
	s_branch .LBB1_35
.LBB1_33:                               ;   in Loop: Header=BB1_35 Depth=5
	v_ashrrev_i32_e32 v17, 31, v16
	v_ashrrev_i32_e32 v15, 31, v14
	v_lshl_add_u64 v[16:17], v[16:17], 2, s[28:29]
	v_lshl_add_u64 v[14:15], v[14:15], 2, s[28:29]
	global_load_dword v16, v[16:17], off
	s_nop 0
	global_load_dword v14, v[14:15], off
	s_waitcnt vmcnt(0)
	v_fmac_f32_e32 v37, v16, v14
.LBB1_34:                               ;   in Loop: Header=BB1_35 Depth=5
	s_or_b64 exec, exec, s[48:49]
	s_add_i32 s55, s55, 1
	v_add_u32_e32 v43, s50, v43
	s_cmp_lg_u32 s50, s55
	v_add_u32_e32 v44, s50, v44
	s_cbranch_scc0 .LBB1_26
.LBB1_35:                               ;   Parent Loop BB1_4 Depth=1
                                        ;     Parent Loop BB1_9 Depth=2
                                        ;       Parent Loop BB1_18 Depth=3
                                        ;         Parent Loop BB1_27 Depth=4
                                        ; =>        This Inner Loop Header: Depth=5
	v_add_u32_e32 v14, s55, v13
	v_cmp_lt_i32_e32 vcc, v14, v39
	s_and_saveexec_b64 s[48:49], vcc
	s_cbranch_execz .LBB1_34
; %bb.36:                               ;   in Loop: Header=BB1_35 Depth=5
	s_andn2_b64 vcc, exec, s[2:3]
	v_mov_b32_e32 v14, v43
	v_mov_b32_e32 v16, v44
	s_cbranch_vccnz .LBB1_33
; %bb.37:                               ;   in Loop: Header=BB1_35 Depth=5
	v_add_u32_e32 v16, s55, v41
	v_add_u32_e32 v14, s55, v42
	s_branch .LBB1_33
.LBB1_38:                               ;   in Loop: Header=BB1_4 Depth=1
	s_or_b64 exec, exec, s[38:39]
.LBB1_39:                               ;   in Loop: Header=BB1_4 Depth=1
	s_or_b64 exec, exec, s[36:37]
	v_add_u32_e32 v14, v26, v21
	s_mov_b32 s40, 0
	v_mov_b32_e32 v15, v24
	s_branch .LBB1_42
.LBB1_40:                               ;   in Loop: Header=BB1_42 Depth=2
	s_waitcnt vmcnt(0)
	v_sub_f32_e32 v10, v28, v29
	v_div_scale_f32 v11, s[12:13], v17, v17, v10
	v_rcp_f32_e32 v12, v11
	v_div_scale_f32 v13, vcc, v10, v17, v10
	v_fma_f32 v16, -v11, v12, 1.0
	v_fmac_f32_e32 v12, v16, v12
	v_mul_f32_e32 v16, v13, v12
	v_fma_f32 v28, -v11, v16, v13
	v_fmac_f32_e32 v16, v28, v12
	v_fma_f32 v11, -v11, v16, v13
	v_div_fmas_f32 v11, v11, v12, v16
	v_div_fixup_f32 v10, v11, v17, v10
	v_fmac_f32_e32 v27, v10, v10
	global_store_dword v[8:9], v10, off
.LBB1_41:                               ;   in Loop: Header=BB1_42 Depth=2
	s_or_b64 exec, exec, s[10:11]
	s_add_i32 s40, s40, 1
	s_cmp_eq_u32 s40, s50
	v_add_u32_e32 v15, 1, v15
	buffer_wbl2 sc1
	s_waitcnt vmcnt(0)
	buffer_inv sc1
	s_cbranch_scc1 .LBB1_3
.LBB1_42:                               ;   Parent Loop BB1_4 Depth=1
                                        ; =>  This Loop Header: Depth=2
                                        ;       Child Loop BB1_46 Depth 3
                                        ;       Child Loop BB1_54 Depth 3
                                        ;         Child Loop BB1_56 Depth 4
                                        ;       Child Loop BB1_64 Depth 3
	s_mul_i32 s41, s40, s50
	v_add_u32_e32 v16, s41, v21
	v_add_u32_e32 v8, s40, v16
	v_ashrrev_i32_e32 v9, 31, v8
	v_cmp_eq_u32_e32 vcc, s40, v5
	v_lshl_add_u64 v[8:9], v[8:9], 2, s[28:29]
	s_and_saveexec_b64 s[12:13], vcc
	s_cbranch_execz .LBB1_44
; %bb.43:                               ;   in Loop: Header=BB1_42 Depth=2
	global_load_dword v10, v[8:9], off
	s_waitcnt vmcnt(0)
	v_sub_f32_e32 v10, v10, v27
	v_cmp_gt_f32_e32 vcc, 0, v10
	s_nop 1
	v_cndmask_b32_e64 v10, v10, -v10, vcc
	v_mul_f32_e32 v11, 0x4f800000, v10
	v_cmp_gt_f32_e32 vcc, s52, v10
	s_nop 1
	v_cndmask_b32_e32 v10, v10, v11, vcc
	v_sqrt_f32_e32 v11, v10
	s_nop 0
	v_add_u32_e32 v12, -1, v11
	v_add_u32_e32 v13, 1, v11
	v_fma_f32 v17, -v12, v11, v10
	v_fma_f32 v28, -v13, v11, v10
	v_cmp_ge_f32_e64 s[10:11], 0, v17
	s_nop 1
	v_cndmask_b32_e64 v11, v11, v12, s[10:11]
	v_cmp_lt_f32_e64 s[10:11], 0, v28
	s_nop 1
	v_cndmask_b32_e64 v11, v11, v13, s[10:11]
	v_mul_f32_e32 v12, 0x37800000, v11
	v_cndmask_b32_e32 v11, v11, v12, vcc
	v_cmp_class_f32_e32 vcc, v10, v20
	s_nop 1
	v_cndmask_b32_e32 v10, v11, v10, vcc
	global_store_dword v[8:9], v10, off
.LBB1_44:                               ;   in Loop: Header=BB1_42 Depth=2
	s_or_b64 exec, exec, s[12:13]
	buffer_wbl2 sc1
	s_waitcnt vmcnt(0)
	buffer_inv sc1
	global_load_dword v8, v[8:9], off
	s_waitcnt vmcnt(0)
	v_cmp_neq_f32_e32 vcc, 0, v8
	s_nop 1
	v_cndmask_b32_e32 v17, 1.0, v8, vcc
	s_nor_b64 s[12:13], vcc, s[0:1]
	s_and_saveexec_b64 s[10:11], s[12:13]
	s_cbranch_execz .LBB1_50
; %bb.45:                               ;   in Loop: Header=BB1_42 Depth=2
	s_mov_b64 s[12:13], exec
	s_brev_b32 s36, -2
.LBB1_46:                               ;   Parent Loop BB1_4 Depth=1
                                        ;     Parent Loop BB1_42 Depth=2
                                        ; =>    This Inner Loop Header: Depth=3
	s_ff1_i32_b64 s37, s[12:13]
	v_readlane_b32 s42, v18, s37
	s_lshl_b64 s[38:39], 1, s37
	s_min_i32 s36, s36, s42
	s_andn2_b64 s[12:13], s[12:13], s[38:39]
	s_cmp_lg_u64 s[12:13], 0
	s_cbranch_scc1 .LBB1_46
; %bb.47:                               ;   in Loop: Header=BB1_42 Depth=2
	v_mbcnt_lo_u32_b32 v8, exec_lo, 0
	v_mbcnt_hi_u32_b32 v8, exec_hi, v8
	v_cmp_eq_u32_e32 vcc, 0, v8
	s_and_saveexec_b64 s[12:13], vcc
	s_xor_b64 s[12:13], exec, s[12:13]
	s_cbranch_execz .LBB1_49
; %bb.48:                               ;   in Loop: Header=BB1_42 Depth=2
	v_mov_b32_e32 v8, s36
	global_atomic_smin v19, v8, s[22:23]
.LBB1_49:                               ;   in Loop: Header=BB1_42 Depth=2
	s_or_b64 exec, exec, s[12:13]
	v_mov_b32_e32 v17, 1.0
.LBB1_50:                               ;   in Loop: Header=BB1_42 Depth=2
	s_or_b64 exec, exec, s[10:11]
	v_cmp_lt_i32_e32 vcc, s40, v5
	s_and_saveexec_b64 s[10:11], vcc
	s_cbranch_execz .LBB1_41
; %bb.51:                               ;   in Loop: Header=BB1_42 Depth=2
	v_add_u32_e32 v8, v16, v5
	v_add_u32_e32 v9, s40, v14
	v_cndmask_b32_e64 v8, v8, v9, s[2:3]
	v_ashrrev_i32_e32 v9, 31, v8
	v_lshl_add_u64 v[8:9], v[8:9], 2, s[28:29]
	global_load_dword v28, v[8:9], off
	v_mov_b32_e32 v29, 0
	s_and_saveexec_b64 s[12:13], s[4:5]
	s_cbranch_execz .LBB1_61
; %bb.52:                               ;   in Loop: Header=BB1_42 Depth=2
	v_mov_b32_e32 v29, 0
	s_mov_b64 s[36:37], 0
	v_mov_b32_e32 v30, v15
	v_mov_b32_e32 v31, v25
	;; [unrolled: 1-line block ×3, first 2 shown]
	s_branch .LBB1_54
.LBB1_53:                               ;   in Loop: Header=BB1_54 Depth=3
	v_add_u32_e32 v32, 1, v32
	v_cmp_ge_i32_e32 vcc, v32, v1
	v_add_u32_e32 v31, s51, v31
	s_or_b64 s[36:37], vcc, s[36:37]
	v_add_u32_e32 v30, s51, v30
	s_andn2_b64 exec, exec, s[36:37]
	s_cbranch_execz .LBB1_60
.LBB1_54:                               ;   Parent Loop BB1_4 Depth=1
                                        ;     Parent Loop BB1_42 Depth=2
                                        ; =>    This Loop Header: Depth=3
                                        ;         Child Loop BB1_56 Depth 4
	v_mul_lo_u32 v10, v32, s51
	v_add_u32_e32 v33, s41, v10
	v_add_u32_e32 v34, v10, v26
	s_mov_b32 s42, 0
	s_mov_b32 s43, s50
	;; [unrolled: 1-line block ×3, first 2 shown]
	s_branch .LBB1_56
.LBB1_55:                               ;   in Loop: Header=BB1_56 Depth=4
	v_ashrrev_i32_e32 v13, 31, v12
	v_lshl_add_u64 v[12:13], v[12:13], 2, s[28:29]
	v_ashrrev_i32_e32 v11, 31, v10
	v_lshl_add_u64 v[10:11], v[10:11], 2, s[28:29]
	global_load_dword v35, v[12:13], off
	global_load_dword v36, v[10:11], off
	s_add_i32 s44, s44, 1
	s_add_i32 s42, s42, s50
	s_add_i32 s43, s43, -1
	s_cmp_eq_u32 s43, 0
	s_waitcnt vmcnt(0)
	v_fmac_f32_e32 v29, v35, v36
	s_cbranch_scc1 .LBB1_53
.LBB1_56:                               ;   Parent Loop BB1_4 Depth=1
                                        ;     Parent Loop BB1_42 Depth=2
                                        ;       Parent Loop BB1_54 Depth=3
                                        ; =>      This Inner Loop Header: Depth=4
	s_mov_b64 s[38:39], -1
	s_and_b64 vcc, exec, s[34:35]
                                        ; implicit-def: $vgpr12
                                        ; implicit-def: $vgpr10
	s_cbranch_vccz .LBB1_58
; %bb.57:                               ;   in Loop: Header=BB1_56 Depth=4
	v_add_u32_e32 v12, s42, v30
	v_add_u32_e32 v10, s42, v31
	s_mov_b64 s[38:39], 0
.LBB1_58:                               ;   in Loop: Header=BB1_56 Depth=4
	s_andn2_b64 vcc, exec, s[38:39]
	s_cbranch_vccnz .LBB1_55
; %bb.59:                               ;   in Loop: Header=BB1_56 Depth=4
	v_add_u32_e32 v12, s44, v33
	v_add_u32_e32 v10, s44, v34
	s_branch .LBB1_55
.LBB1_60:                               ;   in Loop: Header=BB1_42 Depth=2
	s_or_b64 exec, exec, s[36:37]
.LBB1_61:                               ;   in Loop: Header=BB1_42 Depth=2
	s_or_b64 exec, exec, s[12:13]
	s_cmp_eq_u32 s40, 0
	s_cbranch_scc1 .LBB1_40
; %bb.62:                               ;   in Loop: Header=BB1_42 Depth=2
	s_mov_b32 s36, 0
	v_mov_b32_e32 v30, v21
	s_branch .LBB1_64
.LBB1_63:                               ;   in Loop: Header=BB1_64 Depth=3
	v_ashrrev_i32_e32 v13, 31, v12
	v_lshl_add_u64 v[12:13], v[12:13], 2, s[28:29]
	v_ashrrev_i32_e32 v11, 31, v10
	v_lshl_add_u64 v[10:11], v[10:11], 2, s[28:29]
	global_load_dword v31, v[12:13], off
	global_load_dword v32, v[10:11], off
	s_add_i32 s36, s36, 1
	s_cmp_eq_u32 s40, s36
	v_add_u32_e32 v30, s50, v30
	s_waitcnt vmcnt(0)
	v_fmac_f32_e32 v29, v31, v32
	s_cbranch_scc1 .LBB1_40
.LBB1_64:                               ;   Parent Loop BB1_4 Depth=1
                                        ;     Parent Loop BB1_42 Depth=2
                                        ; =>    This Inner Loop Header: Depth=3
	s_mov_b64 s[12:13], -1
	s_and_b64 vcc, exec, s[34:35]
                                        ; implicit-def: $vgpr12
                                        ; implicit-def: $vgpr10
	s_cbranch_vccz .LBB1_66
; %bb.65:                               ;   in Loop: Header=BB1_64 Depth=3
	v_add_u32_e32 v12, s40, v30
	v_add_u32_e32 v10, v5, v30
	s_mov_b64 s[12:13], 0
.LBB1_66:                               ;   in Loop: Header=BB1_64 Depth=3
	s_andn2_b64 vcc, exec, s[12:13]
	s_cbranch_vccnz .LBB1_63
; %bb.67:                               ;   in Loop: Header=BB1_64 Depth=3
	v_add_u32_e32 v12, s36, v16
	v_add_u32_e32 v10, s36, v14
	s_branch .LBB1_63
.LBB1_68:
	s_or_b64 exec, exec, s[20:21]
	v_cmp_eq_u32_e32 vcc, 63, v0
	s_and_saveexec_b64 s[0:1], vcc
	s_cbranch_execz .LBB1_70
; %bb.69:
	v_lshl_add_u64 v[0:1], v[2:3], 2, s[18:19]
	v_mov_b32_e32 v2, 1
	buffer_wbl2 sc1
	global_store_dword v[0:1], v2, off sc1
.LBB1_70:
	s_or_b64 exec, exec, s[0:1]
                                        ; implicit-def: $vgpr0
                                        ; implicit-def: $vgpr2_vgpr3
.LBB1_71:
	s_andn2_saveexec_b64 s[0:1], s[14:15]
	s_cbranch_execz .LBB1_78
; %bb.72:
	v_cmp_eq_u32_e32 vcc, 63, v0
	s_and_saveexec_b64 s[0:1], vcc
	s_cbranch_execz .LBB1_78
; %bb.73:
	s_mov_b64 s[0:1], exec
	v_add_u32_e32 v0, s33, v2
	s_brev_b32 s2, -2
.LBB1_74:                               ; =>This Inner Loop Header: Depth=1
	s_ff1_i32_b64 s3, s[0:1]
	v_readlane_b32 s6, v0, s3
	s_lshl_b64 s[4:5], 1, s3
	s_min_i32 s2, s2, s6
	s_andn2_b64 s[0:1], s[0:1], s[4:5]
	s_cmp_lg_u64 s[0:1], 0
	s_cbranch_scc1 .LBB1_74
; %bb.75:
	v_mbcnt_lo_u32_b32 v0, exec_lo, 0
	v_mbcnt_hi_u32_b32 v0, exec_hi, v0
	v_cmp_eq_u32_e32 vcc, 0, v0
	s_and_saveexec_b64 s[0:1], vcc
	s_xor_b64 s[0:1], exec, s[0:1]
	s_cbranch_execz .LBB1_77
; %bb.76:
	v_mov_b32_e32 v0, 0
	v_mov_b32_e32 v1, s2
	global_atomic_smin v0, v1, s[22:23]
.LBB1_77:
	s_or_b64 exec, exec, s[0:1]
	v_lshl_add_u64 v[0:1], v[2:3], 2, s[18:19]
	v_mov_b32_e32 v2, 1
	buffer_wbl2 sc1
	s_waitcnt vmcnt(0)
	global_store_dword v[0:1], v2, off sc1
.LBB1_78:
	s_endpgm
	.section	.rodata,"a",@progbits
	.p2align	6, 0x0
	.amdhsa_kernel _ZN9rocsparseL23bsric0_binsearch_kernelILj64ELj64ELb1EfEEv20rocsparse_direction_iiPKiS3_PT2_S3_PiS3_S6_21rocsparse_index_base_
		.amdhsa_group_segment_fixed_size 0
		.amdhsa_private_segment_fixed_size 0
		.amdhsa_kernarg_size 76
		.amdhsa_user_sgpr_count 2
		.amdhsa_user_sgpr_dispatch_ptr 0
		.amdhsa_user_sgpr_queue_ptr 0
		.amdhsa_user_sgpr_kernarg_segment_ptr 1
		.amdhsa_user_sgpr_dispatch_id 0
		.amdhsa_user_sgpr_kernarg_preload_length 0
		.amdhsa_user_sgpr_kernarg_preload_offset 0
		.amdhsa_user_sgpr_private_segment_size 0
		.amdhsa_uses_dynamic_stack 0
		.amdhsa_enable_private_segment 0
		.amdhsa_system_sgpr_workgroup_id_x 1
		.amdhsa_system_sgpr_workgroup_id_y 0
		.amdhsa_system_sgpr_workgroup_id_z 0
		.amdhsa_system_sgpr_workgroup_info 0
		.amdhsa_system_vgpr_workitem_id 0
		.amdhsa_next_free_vgpr 45
		.amdhsa_next_free_sgpr 56
		.amdhsa_accum_offset 48
		.amdhsa_reserve_vcc 1
		.amdhsa_float_round_mode_32 0
		.amdhsa_float_round_mode_16_64 0
		.amdhsa_float_denorm_mode_32 3
		.amdhsa_float_denorm_mode_16_64 3
		.amdhsa_dx10_clamp 1
		.amdhsa_ieee_mode 1
		.amdhsa_fp16_overflow 0
		.amdhsa_tg_split 0
		.amdhsa_exception_fp_ieee_invalid_op 0
		.amdhsa_exception_fp_denorm_src 0
		.amdhsa_exception_fp_ieee_div_zero 0
		.amdhsa_exception_fp_ieee_overflow 0
		.amdhsa_exception_fp_ieee_underflow 0
		.amdhsa_exception_fp_ieee_inexact 0
		.amdhsa_exception_int_div_zero 0
	.end_amdhsa_kernel
	.section	.text._ZN9rocsparseL23bsric0_binsearch_kernelILj64ELj64ELb1EfEEv20rocsparse_direction_iiPKiS3_PT2_S3_PiS3_S6_21rocsparse_index_base_,"axG",@progbits,_ZN9rocsparseL23bsric0_binsearch_kernelILj64ELj64ELb1EfEEv20rocsparse_direction_iiPKiS3_PT2_S3_PiS3_S6_21rocsparse_index_base_,comdat
.Lfunc_end1:
	.size	_ZN9rocsparseL23bsric0_binsearch_kernelILj64ELj64ELb1EfEEv20rocsparse_direction_iiPKiS3_PT2_S3_PiS3_S6_21rocsparse_index_base_, .Lfunc_end1-_ZN9rocsparseL23bsric0_binsearch_kernelILj64ELj64ELb1EfEEv20rocsparse_direction_iiPKiS3_PT2_S3_PiS3_S6_21rocsparse_index_base_
                                        ; -- End function
	.set _ZN9rocsparseL23bsric0_binsearch_kernelILj64ELj64ELb1EfEEv20rocsparse_direction_iiPKiS3_PT2_S3_PiS3_S6_21rocsparse_index_base_.num_vgpr, 45
	.set _ZN9rocsparseL23bsric0_binsearch_kernelILj64ELj64ELb1EfEEv20rocsparse_direction_iiPKiS3_PT2_S3_PiS3_S6_21rocsparse_index_base_.num_agpr, 0
	.set _ZN9rocsparseL23bsric0_binsearch_kernelILj64ELj64ELb1EfEEv20rocsparse_direction_iiPKiS3_PT2_S3_PiS3_S6_21rocsparse_index_base_.numbered_sgpr, 56
	.set _ZN9rocsparseL23bsric0_binsearch_kernelILj64ELj64ELb1EfEEv20rocsparse_direction_iiPKiS3_PT2_S3_PiS3_S6_21rocsparse_index_base_.num_named_barrier, 0
	.set _ZN9rocsparseL23bsric0_binsearch_kernelILj64ELj64ELb1EfEEv20rocsparse_direction_iiPKiS3_PT2_S3_PiS3_S6_21rocsparse_index_base_.private_seg_size, 0
	.set _ZN9rocsparseL23bsric0_binsearch_kernelILj64ELj64ELb1EfEEv20rocsparse_direction_iiPKiS3_PT2_S3_PiS3_S6_21rocsparse_index_base_.uses_vcc, 1
	.set _ZN9rocsparseL23bsric0_binsearch_kernelILj64ELj64ELb1EfEEv20rocsparse_direction_iiPKiS3_PT2_S3_PiS3_S6_21rocsparse_index_base_.uses_flat_scratch, 0
	.set _ZN9rocsparseL23bsric0_binsearch_kernelILj64ELj64ELb1EfEEv20rocsparse_direction_iiPKiS3_PT2_S3_PiS3_S6_21rocsparse_index_base_.has_dyn_sized_stack, 0
	.set _ZN9rocsparseL23bsric0_binsearch_kernelILj64ELj64ELb1EfEEv20rocsparse_direction_iiPKiS3_PT2_S3_PiS3_S6_21rocsparse_index_base_.has_recursion, 0
	.set _ZN9rocsparseL23bsric0_binsearch_kernelILj64ELj64ELb1EfEEv20rocsparse_direction_iiPKiS3_PT2_S3_PiS3_S6_21rocsparse_index_base_.has_indirect_call, 0
	.section	.AMDGPU.csdata,"",@progbits
; Kernel info:
; codeLenInByte = 2528
; TotalNumSgprs: 62
; NumVgprs: 45
; NumAgprs: 0
; TotalNumVgprs: 45
; ScratchSize: 0
; MemoryBound: 0
; FloatMode: 240
; IeeeMode: 1
; LDSByteSize: 0 bytes/workgroup (compile time only)
; SGPRBlocks: 7
; VGPRBlocks: 5
; NumSGPRsForWavesPerEU: 62
; NumVGPRsForWavesPerEU: 45
; AccumOffset: 48
; Occupancy: 8
; WaveLimiterHint : 1
; COMPUTE_PGM_RSRC2:SCRATCH_EN: 0
; COMPUTE_PGM_RSRC2:USER_SGPR: 2
; COMPUTE_PGM_RSRC2:TRAP_HANDLER: 0
; COMPUTE_PGM_RSRC2:TGID_X_EN: 1
; COMPUTE_PGM_RSRC2:TGID_Y_EN: 0
; COMPUTE_PGM_RSRC2:TGID_Z_EN: 0
; COMPUTE_PGM_RSRC2:TIDIG_COMP_CNT: 0
; COMPUTE_PGM_RSRC3_GFX90A:ACCUM_OFFSET: 11
; COMPUTE_PGM_RSRC3_GFX90A:TG_SPLIT: 0
	.section	.text._ZN9rocsparseL26bsric0_2_8_unrolled_kernelILi1ELi32ELi1EfEEv20rocsparse_direction_iiPKiS3_PT2_S3_PiS3_S6_21rocsparse_index_base_,"axG",@progbits,_ZN9rocsparseL26bsric0_2_8_unrolled_kernelILi1ELi32ELi1EfEEv20rocsparse_direction_iiPKiS3_PT2_S3_PiS3_S6_21rocsparse_index_base_,comdat
	.globl	_ZN9rocsparseL26bsric0_2_8_unrolled_kernelILi1ELi32ELi1EfEEv20rocsparse_direction_iiPKiS3_PT2_S3_PiS3_S6_21rocsparse_index_base_ ; -- Begin function _ZN9rocsparseL26bsric0_2_8_unrolled_kernelILi1ELi32ELi1EfEEv20rocsparse_direction_iiPKiS3_PT2_S3_PiS3_S6_21rocsparse_index_base_
	.p2align	8
	.type	_ZN9rocsparseL26bsric0_2_8_unrolled_kernelILi1ELi32ELi1EfEEv20rocsparse_direction_iiPKiS3_PT2_S3_PiS3_S6_21rocsparse_index_base_,@function
_ZN9rocsparseL26bsric0_2_8_unrolled_kernelILi1ELi32ELi1EfEEv20rocsparse_direction_iiPKiS3_PT2_S3_PiS3_S6_21rocsparse_index_base_: ; @_ZN9rocsparseL26bsric0_2_8_unrolled_kernelILi1ELi32ELi1EfEEv20rocsparse_direction_iiPKiS3_PT2_S3_PiS3_S6_21rocsparse_index_base_
; %bb.0:
	s_load_dwordx8 s[4:11], s[0:1], 0x28
	s_mov_b32 s3, 0
	s_lshl_b64 s[2:3], s[2:3], 2
	s_waitcnt lgkmcnt(0)
	s_add_u32 s2, s8, s2
	s_addc_u32 s3, s9, s3
	s_load_dword s8, s[2:3], 0x0
	s_waitcnt lgkmcnt(0)
	s_ashr_i32 s9, s8, 31
	s_lshl_b64 s[2:3], s[8:9], 2
	s_add_u32 s12, s4, s2
	s_addc_u32 s13, s5, s3
	s_load_dword s16, s[12:13], 0x0
	s_load_dword s9, s[0:1], 0x48
	s_waitcnt lgkmcnt(0)
	s_cmp_lg_u32 s16, -1
	s_cbranch_scc0 .LBB2_15
; %bb.1:
	s_load_dwordx4 s[12:15], s[0:1], 0x10
	s_waitcnt lgkmcnt(0)
	s_add_u32 s18, s12, s2
	s_addc_u32 s19, s13, s3
	s_load_dword s22, s[18:19], 0x0
	s_waitcnt lgkmcnt(0)
	s_sub_i32 s17, s22, s9
	s_cmp_gt_i32 s17, s16
	s_cbranch_scc1 .LBB2_13
; %bb.2:
	s_add_i32 s18, s16, s9
	s_sub_i32 s23, s18, s22
	s_add_i32 s23, s23, 1
	s_mov_b64 s[20:21], -1
	s_cmp_lt_u32 s23, 2
	s_mov_b32 s18, s17
	s_cbranch_scc1 .LBB2_10
; %bb.3:
	s_add_i32 s18, s23, -2
	s_lshr_b32 s21, s18, 1
	s_add_i32 s21, s21, 1
	s_cmp_lt_u32 s18, 14
	s_mov_b32 s20, 0
	s_cbranch_scc1 .LBB2_6
; %bb.4:
	s_and_b32 s24, s21, -8
	s_movk_i32 s25, 0x100
.LBB2_5:                                ; =>This Inner Loop Header: Depth=1
	s_add_i32 s18, s17, s20
	s_ashr_i32 s19, s18, 31
	s_lshl_b64 s[26:27], s[18:19], 2
	s_add_u32 s26, s14, s26
	s_addc_u32 s27, s15, s27
	s_load_dwordx2 s[30:31], s[26:27], 0x0
	s_add_i32 s28, s18, 2
	s_ashr_i32 s29, s28, 31
	s_lshl_b64 s[26:27], s[28:29], 2
	v_mov_b32_e32 v0, s25
	s_waitcnt lgkmcnt(0)
	s_sub_i32 s19, s31, s9
	s_sub_i32 s28, s30, s9
	s_add_u32 s26, s14, s26
	s_addc_u32 s27, s15, s27
	s_load_dwordx2 s[30:31], s[26:27], 0x0
	v_mov_b32_e32 v1, s28
	s_add_i32 s28, s18, 4
	s_ashr_i32 s29, s28, 31
	v_mov_b32_e32 v2, s19
	s_lshl_b64 s[26:27], s[28:29], 2
	s_waitcnt lgkmcnt(0)
	s_sub_i32 s19, s31, s9
	s_sub_i32 s28, s30, s9
	s_add_u32 s26, s14, s26
	s_addc_u32 s27, s15, s27
	s_load_dwordx2 s[30:31], s[26:27], 0x0
	ds_write2_b32 v0, v1, v2 offset1:1
	v_mov_b32_e32 v1, s28
	s_add_i32 s28, s18, 6
	s_ashr_i32 s29, s28, 31
	v_mov_b32_e32 v2, s19
	s_lshl_b64 s[26:27], s[28:29], 2
	s_waitcnt lgkmcnt(0)
	s_sub_i32 s19, s31, s9
	s_sub_i32 s28, s30, s9
	s_add_u32 s26, s14, s26
	s_addc_u32 s27, s15, s27
	s_load_dwordx2 s[30:31], s[26:27], 0x0
	ds_write2_b32 v0, v1, v2 offset0:2 offset1:3
	v_mov_b32_e32 v1, s28
	s_add_i32 s28, s18, 8
	s_ashr_i32 s29, s28, 31
	v_mov_b32_e32 v2, s19
	s_lshl_b64 s[26:27], s[28:29], 2
	s_waitcnt lgkmcnt(0)
	s_sub_i32 s19, s31, s9
	s_sub_i32 s28, s30, s9
	s_add_u32 s26, s14, s26
	s_addc_u32 s27, s15, s27
	s_load_dwordx2 s[30:31], s[26:27], 0x0
	ds_write2_b32 v0, v1, v2 offset0:4 offset1:5
	;; [unrolled: 12-line block ×3, first 2 shown]
	v_mov_b32_e32 v1, s28
	s_add_i32 s28, s18, 12
	s_ashr_i32 s29, s28, 31
	v_mov_b32_e32 v2, s19
	s_lshl_b64 s[26:27], s[28:29], 2
	s_waitcnt lgkmcnt(0)
	s_sub_i32 s19, s31, s9
	s_sub_i32 s28, s30, s9
	s_add_u32 s26, s14, s26
	s_addc_u32 s27, s15, s27
	ds_write2_b32 v0, v1, v2 offset0:8 offset1:9
	v_mov_b32_e32 v1, s28
	s_load_dwordx2 s[28:29], s[26:27], 0x0
	s_add_i32 s18, s18, 14
	v_mov_b32_e32 v2, s19
	s_ashr_i32 s19, s18, 31
	s_lshl_b64 s[18:19], s[18:19], 2
	s_waitcnt lgkmcnt(0)
	s_sub_i32 s26, s29, s9
	s_sub_i32 s27, s28, s9
	s_add_u32 s18, s14, s18
	s_addc_u32 s19, s15, s19
	ds_write2_b32 v0, v1, v2 offset0:10 offset1:11
	v_mov_b32_e32 v1, s27
	v_mov_b32_e32 v2, s26
	s_load_dwordx2 s[26:27], s[18:19], 0x0
	s_add_i32 s20, s20, 16
	s_add_i32 s25, s25, 64
	s_add_i32 s24, s24, -8
	ds_write2_b32 v0, v1, v2 offset0:12 offset1:13
	s_waitcnt lgkmcnt(0)
	s_sub_i32 s18, s27, s9
	s_sub_i32 s19, s26, s9
	v_mov_b32_e32 v1, s19
	v_mov_b32_e32 v2, s18
	s_cmp_lg_u32 s24, 0
	ds_write2_b32 v0, v1, v2 offset0:14 offset1:15
	s_cbranch_scc1 .LBB2_5
.LBB2_6:
	s_and_b32 s21, s21, 7
	s_cmp_eq_u32 s21, 0
	s_cbranch_scc1 .LBB2_9
; %bb.7:
	s_lshl_b32 s18, s20, 2
	s_add_i32 s24, s18, 0x100
	s_add_i32 s18, s20, s22
	s_sub_i32 s18, s18, s9
.LBB2_8:                                ; =>This Inner Loop Header: Depth=1
	s_ashr_i32 s19, s18, 31
	s_lshl_b64 s[26:27], s[18:19], 2
	s_add_u32 s26, s14, s26
	s_addc_u32 s27, s15, s27
	s_load_dwordx2 s[28:29], s[26:27], 0x0
	v_mov_b32_e32 v0, s24
	s_add_i32 s24, s24, 8
	s_add_i32 s18, s18, 2
	s_add_i32 s21, s21, -1
	s_waitcnt lgkmcnt(0)
	s_sub_i32 s19, s29, s9
	s_sub_i32 s20, s28, s9
	v_mov_b32_e32 v1, s20
	v_mov_b32_e32 v2, s19
	s_cmp_lg_u32 s21, 0
	ds_write2_b32 v0, v1, v2 offset1:1
	s_cbranch_scc1 .LBB2_8
.LBB2_9:
	s_and_b32 s19, s23, -2
	s_add_i32 s18, s17, s19
	s_cmp_lg_u32 s23, s19
	s_cselect_b64 s[20:21], -1, 0
.LBB2_10:
	s_and_b64 vcc, exec, s[20:21]
	s_cbranch_vccz .LBB2_13
; %bb.11:
	s_add_i32 s19, s18, s9
	s_sub_i32 s19, s19, s22
	s_lshl_b32 s19, s19, 2
	s_add_i32 s21, s19, 0x100
	s_ashr_i32 s19, s18, 31
	s_add_i32 s20, s18, -1
	s_lshl_b64 s[18:19], s[18:19], 2
	s_add_u32 s18, s14, s18
	s_addc_u32 s19, s15, s19
.LBB2_12:                               ; =>This Inner Loop Header: Depth=1
	s_load_dword s22, s[18:19], 0x0
	v_mov_b32_e32 v0, s21
	s_add_i32 s20, s20, 1
	s_add_i32 s21, s21, 4
	s_waitcnt lgkmcnt(0)
	s_sub_i32 s22, s22, s9
	s_add_u32 s18, s18, 4
	s_addc_u32 s19, s19, 0
	v_mov_b32_e32 v1, s22
	s_cmp_ge_i32 s20, s16
	ds_write_b32 v0, v1
	s_cbranch_scc0 .LBB2_12
.LBB2_13:
	s_load_dwordx2 s[0:1], s[0:1], 0x20
	v_mov_b32_e32 v0, 0
	s_cmp_lt_i32 s17, s16
	ds_write_b32 v0, v0 offset:408
	s_waitcnt lgkmcnt(0)
	s_cbranch_scc1 .LBB2_16
; %bb.14:
	s_mov_b32 s33, 0
	s_cbranch_execz .LBB2_17
	s_branch .LBB2_48
.LBB2_15:
	s_mov_b64 s[0:1], 0
	s_cbranch_execnz .LBB2_60
	s_branch .LBB2_61
.LBB2_16:
                                        ; implicit-def: $sgpr33
.LBB2_17:
	s_mov_b32 s33, 0
	v_mov_b32_e32 v0, 0
	v_mov_b32_e32 v1, 0x190
	;; [unrolled: 1-line block ×5, first 2 shown]
	s_mov_b32 s18, s17
	s_branch .LBB2_19
.LBB2_18:                               ;   in Loop: Header=BB2_19 Depth=1
                                        ; implicit-def: $sgpr18
	s_cbranch_execnz .LBB2_48
.LBB2_19:                               ; =>This Loop Header: Depth=1
                                        ;     Child Loop BB2_22 Depth 2
                                        ;     Child Loop BB2_33 Depth 2
	;; [unrolled: 1-line block ×4, first 2 shown]
	s_ashr_i32 s19, s18, 31
	s_lshl_b64 s[20:21], s[18:19], 2
	s_add_u32 s22, s14, s20
	s_addc_u32 s23, s15, s21
	s_load_dword s19, s[22:23], 0x0
	s_waitcnt lgkmcnt(0)
	s_sub_i32 s26, s19, s9
	s_ashr_i32 s27, s26, 31
	s_lshl_b64 s[24:25], s[26:27], 2
	s_add_u32 s22, s4, s24
	s_addc_u32 s23, s5, s25
	s_load_dword s22, s[22:23], 0x0
	s_waitcnt lgkmcnt(0)
	s_cmp_eq_u32 s22, -1
	s_cbranch_scc1 .LBB2_18
; %bb.20:                               ;   in Loop: Header=BB2_19 Depth=1
	s_add_u32 s28, s12, s24
	s_addc_u32 s29, s13, s25
	s_load_dword s23, s[28:29], 0x0
	s_mov_b32 s27, 0
	ds_read_b32 v6, v0 offset:256
	s_waitcnt lgkmcnt(0)
	s_sub_i32 s28, s23, s9
	s_add_u32 s20, s0, s20
	s_addc_u32 s21, s1, s21
	global_load_dword v5, v0, s[20:21]
	s_cmp_le_i32 s28, s22
	s_cselect_b64 s[30:31], -1, 0
	v_cmp_ge_i32_e32 vcc, s26, v6
	s_and_b64 s[30:31], s[30:31], vcc
	s_andn2_b64 vcc, exec, s[30:31]
	s_waitcnt vmcnt(0)
	ds_write_b32 v1, v5
	s_cbranch_vccnz .LBB2_32
; %bb.21:                               ;   in Loop: Header=BB2_19 Depth=1
	s_mov_b32 s23, 0
	s_mov_b32 s34, 0
.LBB2_22:                               ;   Parent Loop BB2_19 Depth=1
                                        ; =>  This Inner Loop Header: Depth=2
	s_ashr_i32 s29, s28, 31
	s_lshl_b64 s[30:31], s[28:29], 2
	s_add_u32 s30, s14, s30
	s_addc_u32 s31, s15, s31
	s_lshl_b32 s29, s34, 2
	s_load_dword s27, s[30:31], 0x0
	v_mov_b32_e32 v5, s29
	ds_read_b32 v5, v5 offset:256
	s_mov_b64 s[30:31], -1
                                        ; implicit-def: $sgpr36
                                        ; implicit-def: $sgpr35
	s_waitcnt lgkmcnt(0)
	s_sub_i32 s37, s27, s9
                                        ; implicit-def: $sgpr27
	v_cmp_ge_i32_e32 vcc, s37, v5
	v_readfirstlane_b32 s29, v5
	s_cbranch_vccz .LBB2_28
; %bb.23:                               ;   in Loop: Header=BB2_22 Depth=2
	s_cmp_le_i32 s37, s29
                                        ; implicit-def: $sgpr27
                                        ; implicit-def: $sgpr36
                                        ; implicit-def: $sgpr35
	s_cbranch_scc0 .LBB2_25
; %bb.24:                               ;   in Loop: Header=BB2_22 Depth=2
	s_add_i32 s27, s34, s17
	s_lshl_b32 s30, s23, 2
	v_mov_b32_e32 v5, s30
	v_mov_b32_e32 v6, s27
	;; [unrolled: 1-line block ×3, first 2 shown]
	ds_write2_b32 v5, v7, v6 offset1:32
	s_add_i32 s35, s34, 1
	s_add_i32 s36, s28, 1
	;; [unrolled: 1-line block ×3, first 2 shown]
	s_mov_b64 s[30:31], 0
.LBB2_25:                               ;   in Loop: Header=BB2_22 Depth=2
	s_andn2_b64 vcc, exec, s[30:31]
	s_cbranch_vccnz .LBB2_27
; %bb.26:                               ;   in Loop: Header=BB2_22 Depth=2
	s_add_i32 s35, s34, 1
	s_mov_b32 s27, s23
	s_mov_b32 s36, s28
.LBB2_27:                               ;   in Loop: Header=BB2_22 Depth=2
	s_mov_b64 s[30:31], 0
.LBB2_28:                               ;   in Loop: Header=BB2_22 Depth=2
	s_andn2_b64 vcc, exec, s[30:31]
	s_cbranch_vccnz .LBB2_30
; %bb.29:                               ;   in Loop: Header=BB2_22 Depth=2
	s_add_i32 s36, s28, 1
	s_mov_b32 s35, s34
	s_mov_b32 s27, s23
.LBB2_30:                               ;   in Loop: Header=BB2_22 Depth=2
	s_cmp_le_i32 s36, s22
	s_cselect_b64 s[30:31], -1, 0
	s_cmp_le_i32 s29, s26
	s_cselect_b64 s[28:29], -1, 0
	s_and_b64 s[28:29], s[30:31], s[28:29]
	s_and_b64 vcc, exec, s[28:29]
	s_cbranch_vccz .LBB2_32
; %bb.31:                               ;   in Loop: Header=BB2_22 Depth=2
	s_mov_b32 s23, s27
	s_mov_b32 s28, s36
	;; [unrolled: 1-line block ×3, first 2 shown]
	s_branch .LBB2_22
.LBB2_32:                               ;   in Loop: Header=BB2_19 Depth=1
	s_add_u32 s24, s6, s24
	s_addc_u32 s25, s7, s25
	s_waitcnt lgkmcnt(0)
.LBB2_33:                               ;   Parent Loop BB2_19 Depth=1
                                        ; =>  This Inner Loop Header: Depth=2
	global_load_dword v5, v0, s[24:25] sc1
	s_waitcnt vmcnt(0)
	v_cmp_eq_u32_e32 vcc, 0, v5
	s_cbranch_vccnz .LBB2_33
; %bb.34:                               ;   in Loop: Header=BB2_19 Depth=1
	s_ashr_i32 s23, s22, 31
	s_lshl_b64 s[22:23], s[22:23], 2
	s_add_u32 s22, s0, s22
	s_addc_u32 s23, s1, s23
	buffer_inv sc1
	global_load_dword v5, v0, s[22:23]
	s_cmp_lt_i32 s27, 2
	s_waitcnt vmcnt(0)
	ds_write_b32 v3, v5
	v_mov_b32_e32 v5, 0
	s_waitcnt lgkmcnt(0)
	s_cbranch_scc1 .LBB2_42
; %bb.35:                               ;   in Loop: Header=BB2_19 Depth=1
	s_add_i32 s22, s27, -2
	s_add_i32 s23, s27, -1
	s_cmp_lt_u32 s22, 7
	s_cbranch_scc1 .LBB2_39
; %bb.36:                               ;   in Loop: Header=BB2_19 Depth=1
	s_and_b32 s22, s23, -8
	s_mov_b32 s24, 0
	v_mov_b32_e32 v5, 0
	s_mov_b32 s25, 0
.LBB2_37:                               ;   Parent Loop BB2_19 Depth=1
                                        ; =>  This Inner Loop Header: Depth=2
	v_mov_b32_e32 v18, s24
	ds_read_b128 v[6:9], v18
	ds_read_b128 v[10:13], v18 offset:128
	ds_read_b128 v[14:17], v18 offset:16
	;; [unrolled: 1-line block ×3, first 2 shown]
	s_add_i32 s25, s25, 8
	s_waitcnt lgkmcnt(3)
	v_ashrrev_i32_e32 v23, 31, v6
	v_mov_b32_e32 v22, v6
	v_ashrrev_i32_e32 v27, 31, v7
	v_mov_b32_e32 v26, v7
	s_waitcnt lgkmcnt(2)
	v_ashrrev_i32_e32 v7, 31, v11
	v_mov_b32_e32 v6, v11
	v_ashrrev_i32_e32 v25, 31, v10
	v_mov_b32_e32 v24, v10
	;; [unrolled: 2-line block ×6, first 2 shown]
	s_waitcnt lgkmcnt(1)
	v_ashrrev_i32_e32 v13, 31, v14
	v_mov_b32_e32 v12, v14
	s_waitcnt lgkmcnt(0)
	v_ashrrev_i32_e32 v33, 31, v18
	v_mov_b32_e32 v32, v18
	v_ashrrev_i32_e32 v35, 31, v15
	v_mov_b32_e32 v34, v15
	;; [unrolled: 2-line block ×7, first 2 shown]
	v_lshlrev_b64 v[20:21], 2, v[22:23]
	v_lshlrev_b64 v[6:7], 2, v[6:7]
	;; [unrolled: 1-line block ×16, first 2 shown]
	v_lshl_add_u64 v[20:21], s[0:1], 0, v[20:21]
	v_lshl_add_u64 v[6:7], s[0:1], 0, v[6:7]
	;; [unrolled: 1-line block ×16, first 2 shown]
	global_load_dword v38, v[20:21], off
	global_load_dword v39, v[22:23], off
	;; [unrolled: 1-line block ×15, first 2 shown]
                                        ; kill: killed $vgpr22_vgpr23
                                        ; kill: killed $vgpr36_vgpr37
                                        ; kill: killed $vgpr26_vgpr27
                                        ; kill: killed $vgpr14_vgpr15
                                        ; kill: killed $vgpr24_vgpr25
                                        ; kill: killed $vgpr12_vgpr13
                                        ; kill: killed $vgpr28_vgpr29
                                        ; kill: killed $vgpr18_vgpr19
                                        ; kill: killed $vgpr6_vgpr7
                                        ; kill: killed $vgpr30_vgpr31
                                        ; kill: killed $vgpr20_vgpr21
                                        ; kill: killed $vgpr8_vgpr9
                                        ; kill: killed $vgpr34_vgpr35
                                        ; kill: killed $vgpr10_vgpr11
                                        ; kill: killed $vgpr32_vgpr33
	global_load_dword v6, v[16:17], off
	s_add_i32 s24, s24, 32
	s_cmp_eq_u32 s22, s25
	s_waitcnt vmcnt(14)
	v_fmac_f32_e32 v5, v38, v39
	s_waitcnt vmcnt(10)
	v_fmac_f32_e32 v5, v40, v43
	;; [unrolled: 2-line block ×8, first 2 shown]
	s_cbranch_scc0 .LBB2_37
; %bb.38:                               ;   in Loop: Header=BB2_19 Depth=1
	s_and_b32 s23, s23, 7
	s_cmp_eq_u32 s23, 0
	s_cbranch_scc0 .LBB2_40
	s_branch .LBB2_42
.LBB2_39:                               ;   in Loop: Header=BB2_19 Depth=1
	s_mov_b32 s22, 0
	v_mov_b32_e32 v5, 0
	s_and_b32 s23, s23, 7
	s_cmp_eq_u32 s23, 0
	s_cbranch_scc1 .LBB2_42
.LBB2_40:                               ;   in Loop: Header=BB2_19 Depth=1
	s_lshl_b32 s22, s22, 2
.LBB2_41:                               ;   Parent Loop BB2_19 Depth=1
                                        ; =>  This Inner Loop Header: Depth=2
	v_mov_b32_e32 v6, s22
	ds_read2_b32 v[6:7], v6 offset1:32
	s_add_i32 s22, s22, 4
	s_add_i32 s23, s23, -1
	s_cmp_lg_u32 s23, 0
	s_waitcnt lgkmcnt(0)
	v_ashrrev_i32_e32 v9, 31, v6
	v_mov_b32_e32 v8, v6
	v_ashrrev_i32_e32 v11, 31, v7
	v_mov_b32_e32 v10, v7
	v_lshlrev_b64 v[6:7], 2, v[8:9]
	v_lshlrev_b64 v[8:9], 2, v[10:11]
	v_lshl_add_u64 v[6:7], s[0:1], 0, v[6:7]
	v_lshl_add_u64 v[8:9], s[0:1], 0, v[8:9]
	global_load_dword v10, v[6:7], off
	global_load_dword v11, v[8:9], off
	s_waitcnt vmcnt(0)
	v_fmac_f32_e32 v5, v10, v11
	s_cbranch_scc1 .LBB2_41
.LBB2_42:                               ;   in Loop: Header=BB2_19 Depth=1
	ds_write_b32 v2, v5
	s_waitcnt lgkmcnt(0)
	ds_read_b32 v6, v0 offset:384
	ds_read_b32 v5, v1
	s_waitcnt lgkmcnt(1)
	v_cmp_eq_f32_e32 vcc, 0, v6
	s_cbranch_vccz .LBB2_46
; %bb.43:                               ;   in Loop: Header=BB2_19 Depth=1
	v_mbcnt_lo_u32_b32 v6, exec_lo, 0
	v_mbcnt_hi_u32_b32 v6, exec_hi, v6
	v_cmp_ne_u32_e32 vcc, 0, v6
	s_and_b64 s[22:23], vcc, exec
	s_cbranch_scc1 .LBB2_45
; %bb.44:                               ;   in Loop: Header=BB2_19 Depth=1
	v_mov_b32_e32 v6, s19
	global_atomic_smin v0, v6, s[10:11]
.LBB2_45:                               ;   in Loop: Header=BB2_19 Depth=1
	v_mov_b32_e32 v6, 1.0
	s_branch .LBB2_47
.LBB2_46:                               ;   in Loop: Header=BB2_19 Depth=1
	v_cmp_neq_f32_e32 vcc, 0, v6
	s_nop 1
	v_cndmask_b32_e32 v6, 1.0, v6, vcc
.LBB2_47:                               ;   in Loop: Header=BB2_19 Depth=1
	ds_read_b32 v7, v2
	s_add_i32 s18, s18, 1
	s_cmp_ge_i32 s18, s16
	s_waitcnt lgkmcnt(0)
	v_sub_f32_e32 v5, v5, v7
	v_div_scale_f32 v7, s[22:23], v6, v6, v5
	v_rcp_f32_e32 v8, v7
	v_div_scale_f32 v9, vcc, v5, v6, v5
	v_fma_f32 v10, -v7, v8, 1.0
	v_fmac_f32_e32 v8, v10, v8
	v_mul_f32_e32 v10, v9, v8
	v_fma_f32 v11, -v7, v10, v9
	v_fmac_f32_e32 v10, v11, v8
	v_fma_f32 v7, -v7, v10, v9
	v_div_fmas_f32 v7, v7, v8, v10
	v_div_fixup_f32 v5, v7, v6, v5
	ds_write_b32 v1, v5
	s_waitcnt lgkmcnt(0)
	ds_read_b32 v6, v1
	ds_read_b32 v7, v4
	s_waitcnt lgkmcnt(0)
	v_fmac_f32_e32 v7, v5, v6
	ds_write_b32 v4, v7
	s_waitcnt lgkmcnt(0)
	ds_read_b32 v5, v1
	s_waitcnt lgkmcnt(0)
	global_store_dword v0, v5, s[20:21]
	buffer_wbl2 sc1
	s_waitcnt vmcnt(0)
	buffer_inv sc1
	s_cselect_b64 s[20:21], -1, 0
	s_and_b64 vcc, exec, s[20:21]
	s_cbranch_vccz .LBB2_19
.LBB2_48:
	s_ashr_i32 s17, s16, 31
	s_lshl_b64 s[4:5], s[16:17], 2
	s_add_u32 s4, s0, s4
	s_addc_u32 s5, s1, s5
	v_mov_b32_e32 v0, 0
	global_load_dword v1, v0, s[4:5]
	s_cmp_lg_u32 s33, 0
	s_cselect_b64 s[12:13], -1, 0
	s_add_i32 s14, s8, s9
	s_waitcnt vmcnt(0)
	ds_write_b32 v0, v1 offset:400
	s_waitcnt lgkmcnt(0)
	s_branch .LBB2_53
; %bb.49:
	ds_read_b32 v0, v0 offset:400
	s_waitcnt lgkmcnt(0)
	v_cmp_neq_f32_e64 s[0:1], 0, v0
	s_or_b64 s[16:17], s[0:1], s[12:13]
	s_and_b64 vcc, exec, s[16:17]
	s_cbranch_vccnz .LBB2_54
; %bb.50:
	v_mbcnt_lo_u32_b32 v0, exec_lo, 0
	v_mbcnt_hi_u32_b32 v0, exec_hi, v0
	v_cmp_ne_u32_e32 vcc, 0, v0
	s_and_b64 s[0:1], vcc, exec
	s_cbranch_scc1 .LBB2_52
; %bb.51:
	v_mov_b32_e32 v0, 0
	v_mov_b32_e32 v1, s14
	global_atomic_smin v0, v1, s[10:11]
.LBB2_52:
	v_mov_b32_e32 v0, 1.0
	s_branch .LBB2_55
.LBB2_53:
	s_cbranch_execnz .LBB2_56
	s_branch .LBB2_59
.LBB2_54:
	v_cndmask_b32_e64 v0, 1.0, v0, s[0:1]
.LBB2_55:
	v_mov_b32_e32 v1, 0x190
	v_mov_b32_e32 v2, 0x198
	ds_read_b32 v3, v1
	ds_read_b32 v4, v2
	s_waitcnt lgkmcnt(0)
	v_sub_f32_e32 v3, v3, v4
	v_div_scale_f32 v4, s[0:1], v0, v0, v3
	v_rcp_f32_e32 v5, v4
	v_div_scale_f32 v6, vcc, v3, v0, v3
	v_fma_f32 v7, -v4, v5, 1.0
	v_fmac_f32_e32 v5, v7, v5
	v_mul_f32_e32 v7, v6, v5
	v_fma_f32 v8, -v4, v7, v6
	v_fmac_f32_e32 v7, v8, v5
	v_fma_f32 v4, -v4, v7, v6
	v_div_fmas_f32 v4, v4, v5, v7
	v_div_fixup_f32 v0, v4, v0, v3
	ds_write_b32 v1, v0
	v_mov_b32_e32 v1, 0
	s_waitcnt lgkmcnt(0)
	ds_read_b32 v1, v1 offset:400
	ds_read_b32 v3, v2
	s_waitcnt lgkmcnt(0)
	v_fmac_f32_e32 v3, v0, v1
	ds_write_b32 v2, v3
	s_branch .LBB2_59
.LBB2_56:
	v_mov_b32_e32 v2, 0
	ds_read2_b32 v[0:1], v2 offset0:100 offset1:102
	s_mov_b32 s0, 0xf800000
	s_waitcnt lgkmcnt(0)
	v_sub_f32_e32 v0, v0, v1
	v_cmp_gt_f32_e32 vcc, 0, v0
	s_nop 1
	v_cndmask_b32_e64 v0, v0, -v0, vcc
	v_mul_f32_e32 v1, 0x4f800000, v0
	v_cmp_gt_f32_e32 vcc, s0, v0
	s_nop 1
	v_cndmask_b32_e32 v0, v0, v1, vcc
	v_sqrt_f32_e32 v1, v0
	s_nop 0
	v_add_u32_e32 v3, -1, v1
	v_add_u32_e32 v4, 1, v1
	v_fma_f32 v5, -v3, v1, v0
	v_fma_f32 v6, -v4, v1, v0
	v_cmp_ge_f32_e64 s[0:1], 0, v5
	s_nop 1
	v_cndmask_b32_e64 v1, v1, v3, s[0:1]
	v_cmp_lt_f32_e64 s[0:1], 0, v6
	s_nop 1
	v_cndmask_b32_e64 v1, v1, v4, s[0:1]
	v_mul_f32_e32 v3, 0x37800000, v1
	v_cndmask_b32_e32 v1, v1, v3, vcc
	v_mov_b32_e32 v3, 0x260
	v_cmp_class_f32_e32 vcc, v0, v3
	s_nop 1
	v_cndmask_b32_e32 v0, v1, v0, vcc
	ds_write_b32 v2, v0 offset:400
	s_waitcnt lgkmcnt(0)
	ds_read_b32 v0, v2 offset:400
	s_waitcnt lgkmcnt(0)
	v_cmp_neq_f32_e32 vcc, 0, v0
	s_or_b64 s[0:1], vcc, s[12:13]
	s_and_b64 vcc, exec, s[0:1]
	s_cbranch_vccnz .LBB2_59
; %bb.57:
	v_mbcnt_lo_u32_b32 v0, exec_lo, 0
	v_mbcnt_hi_u32_b32 v0, exec_hi, v0
	v_cmp_ne_u32_e32 vcc, 0, v0
	s_and_b64 s[0:1], vcc, exec
	s_cbranch_scc1 .LBB2_59
; %bb.58:
	v_mov_b32_e32 v0, 0
	v_mov_b32_e32 v1, s14
	global_atomic_smin v0, v1, s[10:11]
.LBB2_59:
	v_mov_b32_e32 v0, 0x190
	s_waitcnt lgkmcnt(0)
	ds_read_b32 v0, v0
	v_mov_b32_e32 v1, 0
	s_cmp_eq_u32 s33, 0
	s_cselect_b64 s[0:1], -1, 0
	s_waitcnt lgkmcnt(0)
	global_store_dword v1, v0, s[4:5]
	s_branch .LBB2_61
.LBB2_60:
	s_cbranch_execnz .LBB2_64
.LBB2_61:
	s_and_b64 vcc, exec, s[0:1]
	s_cbranch_vccz .LBB2_63
.LBB2_62:
	s_add_u32 s0, s6, s2
	s_addc_u32 s1, s7, s3
	v_mov_b32_e32 v0, 0
	v_mov_b32_e32 v1, 1
	buffer_wbl2 sc1
	s_waitcnt vmcnt(0)
	global_store_dword v0, v1, s[0:1] sc1
.LBB2_63:
	s_endpgm
.LBB2_64:
	v_mbcnt_lo_u32_b32 v0, exec_lo, 0
	v_mbcnt_hi_u32_b32 v0, exec_hi, v0
	v_cmp_ne_u32_e32 vcc, 0, v0
	s_and_b64 s[0:1], vcc, exec
	s_cbranch_scc0 .LBB2_66
; %bb.65:
	s_cbranch_execnz .LBB2_62
	s_branch .LBB2_63
.LBB2_66:
	s_add_i32 s0, s8, s9
	v_mov_b32_e32 v0, 0
	v_mov_b32_e32 v1, s0
	global_atomic_smin v0, v1, s[10:11]
	s_cbranch_execnz .LBB2_62
	s_branch .LBB2_63
	.section	.rodata,"a",@progbits
	.p2align	6, 0x0
	.amdhsa_kernel _ZN9rocsparseL26bsric0_2_8_unrolled_kernelILi1ELi32ELi1EfEEv20rocsparse_direction_iiPKiS3_PT2_S3_PiS3_S6_21rocsparse_index_base_
		.amdhsa_group_segment_fixed_size 416
		.amdhsa_private_segment_fixed_size 0
		.amdhsa_kernarg_size 76
		.amdhsa_user_sgpr_count 2
		.amdhsa_user_sgpr_dispatch_ptr 0
		.amdhsa_user_sgpr_queue_ptr 0
		.amdhsa_user_sgpr_kernarg_segment_ptr 1
		.amdhsa_user_sgpr_dispatch_id 0
		.amdhsa_user_sgpr_kernarg_preload_length 0
		.amdhsa_user_sgpr_kernarg_preload_offset 0
		.amdhsa_user_sgpr_private_segment_size 0
		.amdhsa_uses_dynamic_stack 0
		.amdhsa_enable_private_segment 0
		.amdhsa_system_sgpr_workgroup_id_x 1
		.amdhsa_system_sgpr_workgroup_id_y 0
		.amdhsa_system_sgpr_workgroup_id_z 0
		.amdhsa_system_sgpr_workgroup_info 0
		.amdhsa_system_vgpr_workitem_id 0
		.amdhsa_next_free_vgpr 53
		.amdhsa_next_free_sgpr 38
		.amdhsa_accum_offset 56
		.amdhsa_reserve_vcc 1
		.amdhsa_float_round_mode_32 0
		.amdhsa_float_round_mode_16_64 0
		.amdhsa_float_denorm_mode_32 3
		.amdhsa_float_denorm_mode_16_64 3
		.amdhsa_dx10_clamp 1
		.amdhsa_ieee_mode 1
		.amdhsa_fp16_overflow 0
		.amdhsa_tg_split 0
		.amdhsa_exception_fp_ieee_invalid_op 0
		.amdhsa_exception_fp_denorm_src 0
		.amdhsa_exception_fp_ieee_div_zero 0
		.amdhsa_exception_fp_ieee_overflow 0
		.amdhsa_exception_fp_ieee_underflow 0
		.amdhsa_exception_fp_ieee_inexact 0
		.amdhsa_exception_int_div_zero 0
	.end_amdhsa_kernel
	.section	.text._ZN9rocsparseL26bsric0_2_8_unrolled_kernelILi1ELi32ELi1EfEEv20rocsparse_direction_iiPKiS3_PT2_S3_PiS3_S6_21rocsparse_index_base_,"axG",@progbits,_ZN9rocsparseL26bsric0_2_8_unrolled_kernelILi1ELi32ELi1EfEEv20rocsparse_direction_iiPKiS3_PT2_S3_PiS3_S6_21rocsparse_index_base_,comdat
.Lfunc_end2:
	.size	_ZN9rocsparseL26bsric0_2_8_unrolled_kernelILi1ELi32ELi1EfEEv20rocsparse_direction_iiPKiS3_PT2_S3_PiS3_S6_21rocsparse_index_base_, .Lfunc_end2-_ZN9rocsparseL26bsric0_2_8_unrolled_kernelILi1ELi32ELi1EfEEv20rocsparse_direction_iiPKiS3_PT2_S3_PiS3_S6_21rocsparse_index_base_
                                        ; -- End function
	.set _ZN9rocsparseL26bsric0_2_8_unrolled_kernelILi1ELi32ELi1EfEEv20rocsparse_direction_iiPKiS3_PT2_S3_PiS3_S6_21rocsparse_index_base_.num_vgpr, 53
	.set _ZN9rocsparseL26bsric0_2_8_unrolled_kernelILi1ELi32ELi1EfEEv20rocsparse_direction_iiPKiS3_PT2_S3_PiS3_S6_21rocsparse_index_base_.num_agpr, 0
	.set _ZN9rocsparseL26bsric0_2_8_unrolled_kernelILi1ELi32ELi1EfEEv20rocsparse_direction_iiPKiS3_PT2_S3_PiS3_S6_21rocsparse_index_base_.numbered_sgpr, 38
	.set _ZN9rocsparseL26bsric0_2_8_unrolled_kernelILi1ELi32ELi1EfEEv20rocsparse_direction_iiPKiS3_PT2_S3_PiS3_S6_21rocsparse_index_base_.num_named_barrier, 0
	.set _ZN9rocsparseL26bsric0_2_8_unrolled_kernelILi1ELi32ELi1EfEEv20rocsparse_direction_iiPKiS3_PT2_S3_PiS3_S6_21rocsparse_index_base_.private_seg_size, 0
	.set _ZN9rocsparseL26bsric0_2_8_unrolled_kernelILi1ELi32ELi1EfEEv20rocsparse_direction_iiPKiS3_PT2_S3_PiS3_S6_21rocsparse_index_base_.uses_vcc, 1
	.set _ZN9rocsparseL26bsric0_2_8_unrolled_kernelILi1ELi32ELi1EfEEv20rocsparse_direction_iiPKiS3_PT2_S3_PiS3_S6_21rocsparse_index_base_.uses_flat_scratch, 0
	.set _ZN9rocsparseL26bsric0_2_8_unrolled_kernelILi1ELi32ELi1EfEEv20rocsparse_direction_iiPKiS3_PT2_S3_PiS3_S6_21rocsparse_index_base_.has_dyn_sized_stack, 0
	.set _ZN9rocsparseL26bsric0_2_8_unrolled_kernelILi1ELi32ELi1EfEEv20rocsparse_direction_iiPKiS3_PT2_S3_PiS3_S6_21rocsparse_index_base_.has_recursion, 0
	.set _ZN9rocsparseL26bsric0_2_8_unrolled_kernelILi1ELi32ELi1EfEEv20rocsparse_direction_iiPKiS3_PT2_S3_PiS3_S6_21rocsparse_index_base_.has_indirect_call, 0
	.section	.AMDGPU.csdata,"",@progbits
; Kernel info:
; codeLenInByte = 3312
; TotalNumSgprs: 44
; NumVgprs: 53
; NumAgprs: 0
; TotalNumVgprs: 53
; ScratchSize: 0
; MemoryBound: 0
; FloatMode: 240
; IeeeMode: 1
; LDSByteSize: 416 bytes/workgroup (compile time only)
; SGPRBlocks: 5
; VGPRBlocks: 6
; NumSGPRsForWavesPerEU: 44
; NumVGPRsForWavesPerEU: 53
; AccumOffset: 56
; Occupancy: 8
; WaveLimiterHint : 1
; COMPUTE_PGM_RSRC2:SCRATCH_EN: 0
; COMPUTE_PGM_RSRC2:USER_SGPR: 2
; COMPUTE_PGM_RSRC2:TRAP_HANDLER: 0
; COMPUTE_PGM_RSRC2:TGID_X_EN: 1
; COMPUTE_PGM_RSRC2:TGID_Y_EN: 0
; COMPUTE_PGM_RSRC2:TGID_Z_EN: 0
; COMPUTE_PGM_RSRC2:TIDIG_COMP_CNT: 0
; COMPUTE_PGM_RSRC3_GFX90A:ACCUM_OFFSET: 13
; COMPUTE_PGM_RSRC3_GFX90A:TG_SPLIT: 0
	.section	.text._ZN9rocsparseL26bsric0_2_8_unrolled_kernelILi4ELi32ELi2EfEEv20rocsparse_direction_iiPKiS3_PT2_S3_PiS3_S6_21rocsparse_index_base_,"axG",@progbits,_ZN9rocsparseL26bsric0_2_8_unrolled_kernelILi4ELi32ELi2EfEEv20rocsparse_direction_iiPKiS3_PT2_S3_PiS3_S6_21rocsparse_index_base_,comdat
	.globl	_ZN9rocsparseL26bsric0_2_8_unrolled_kernelILi4ELi32ELi2EfEEv20rocsparse_direction_iiPKiS3_PT2_S3_PiS3_S6_21rocsparse_index_base_ ; -- Begin function _ZN9rocsparseL26bsric0_2_8_unrolled_kernelILi4ELi32ELi2EfEEv20rocsparse_direction_iiPKiS3_PT2_S3_PiS3_S6_21rocsparse_index_base_
	.p2align	8
	.type	_ZN9rocsparseL26bsric0_2_8_unrolled_kernelILi4ELi32ELi2EfEEv20rocsparse_direction_iiPKiS3_PT2_S3_PiS3_S6_21rocsparse_index_base_,@function
_ZN9rocsparseL26bsric0_2_8_unrolled_kernelILi4ELi32ELi2EfEEv20rocsparse_direction_iiPKiS3_PT2_S3_PiS3_S6_21rocsparse_index_base_: ; @_ZN9rocsparseL26bsric0_2_8_unrolled_kernelILi4ELi32ELi2EfEEv20rocsparse_direction_iiPKiS3_PT2_S3_PiS3_S6_21rocsparse_index_base_
; %bb.0:
	s_load_dwordx8 s[4:11], s[0:1], 0x28
	s_mov_b32 s3, 0
	s_lshl_b64 s[2:3], s[2:3], 2
	v_and_b32_e32 v4, 0x3ff, v0
	v_bfe_u32 v5, v0, 10, 10
	s_waitcnt lgkmcnt(0)
	s_add_u32 s2, s8, s2
	s_addc_u32 s3, s9, s3
	s_load_dword s16, s[2:3], 0x0
	s_waitcnt lgkmcnt(0)
	s_ashr_i32 s17, s16, 31
	s_lshl_b64 s[8:9], s[16:17], 2
	s_add_u32 s2, s4, s8
	s_addc_u32 s3, s5, s9
	s_load_dword s33, s[2:3], 0x0
	s_load_dword s17, s[0:1], 0x48
	s_waitcnt lgkmcnt(0)
	s_cmp_lg_u32 s33, -1
	s_cbranch_scc0 .LBB3_16
; %bb.1:
	s_load_dwordx4 s[12:15], s[0:1], 0x10
	v_lshlrev_b32_e32 v7, 1, v5
	v_add_u32_e32 v6, v7, v4
	s_waitcnt lgkmcnt(0)
	s_add_u32 s2, s12, s8
	s_addc_u32 s3, s13, s9
	s_load_dword s24, s[2:3], 0x0
	s_waitcnt lgkmcnt(0)
	s_sub_i32 s34, s24, s17
	v_add_u32_e32 v0, s34, v6
	v_cmp_ge_i32_e32 vcc, s33, v0
	s_and_saveexec_b64 s[2:3], vcc
	s_cbranch_execz .LBB3_14
; %bb.2:
	v_add_u32_e32 v1, s24, v6
	v_subrev_u32_e32 v1, s17, v1
	v_add_u32_e32 v1, 4, v1
	s_add_i32 s18, s33, 1
	v_max_i32_e32 v1, s18, v1
	v_not_b32_e32 v2, v4
	v_add3_u32 v1, s17, v1, v2
	v_add_u32_e32 v2, s24, v7
	v_sub_u32_e32 v1, v1, v2
	v_cmp_lt_u32_e32 vcc, 3, v1
	s_mov_b64 s[20:21], -1
	s_and_saveexec_b64 s[18:19], vcc
	s_cbranch_execz .LBB3_11
; %bb.3:
	v_lshrrev_b32_e32 v8, 2, v1
	v_add_u32_e32 v2, -1, v8
	v_add_u32_e32 v1, 4, v0
	v_lshrrev_b32_e32 v3, 1, v2
	v_add_u32_e32 v9, 1, v3
	v_cmp_lt_u32_e32 vcc, 13, v2
	v_mov_b64_e32 v[2:3], v[0:1]
	s_and_saveexec_b64 s[20:21], vcc
	s_cbranch_execz .LBB3_7
; %bb.4:
	v_and_b32_e32 v10, -8, v9
	s_mov_b64 s[22:23], 0
	v_mov_b64_e32 v[2:3], v[0:1]
.LBB3_5:                                ; =>This Inner Loop Header: Depth=1
	v_ashrrev_i32_e32 v15, 31, v2
	v_mov_b32_e32 v14, v2
	v_ashrrev_i32_e32 v13, 31, v3
	v_mov_b32_e32 v12, v3
	v_add_u32_e32 v16, 8, v2
	v_add_u32_e32 v18, 8, v3
	v_lshl_add_u64 v[14:15], v[14:15], 2, s[14:15]
	v_add_u32_e32 v20, 16, v2
	v_add_u32_e32 v22, 16, v3
	;; [unrolled: 1-line block ×12, first 2 shown]
	v_lshl_add_u64 v[12:13], v[12:13], 2, s[14:15]
	v_ashrrev_i32_e32 v19, 31, v18
	v_ashrrev_i32_e32 v17, 31, v16
	global_load_dword v1, v[14:15], off
	global_load_dword v11, v[12:13], off
	v_ashrrev_i32_e32 v23, 31, v22
	v_ashrrev_i32_e32 v21, 31, v20
	;; [unrolled: 1-line block ×12, first 2 shown]
	v_lshl_add_u64 v[12:13], v[16:17], 2, s[14:15]
	v_lshl_add_u64 v[14:15], v[18:19], 2, s[14:15]
	;; [unrolled: 1-line block ×13, first 2 shown]
	global_load_dword v17, v[14:15], off
	v_lshl_add_u64 v[14:15], v[42:43], 2, s[14:15]
	global_load_dword v19, v[12:13], off
	global_load_dword v21, v[46:47], off
	;; [unrolled: 1-line block ×13, first 2 shown]
	v_subrev_u32_e32 v13, s34, v2
	v_add_u32_e32 v10, -8, v10
	v_subrev_u32_e32 v12, s34, v3
	v_lshlrev_b32_e32 v13, 2, v13
	v_subrev_u32_e32 v15, s34, v16
	v_cmp_eq_u32_e32 vcc, 0, v10
	v_add_u32_e32 v3, 64, v3
	v_add_u32_e32 v2, 64, v2
	v_lshlrev_b32_e32 v12, 2, v12
	v_subrev_u32_e32 v14, s34, v18
	v_subrev_u32_e32 v16, s34, v22
	v_subrev_u32_e32 v18, s34, v20
	v_subrev_u32_e32 v20, s34, v26
	v_subrev_u32_e32 v22, s34, v24
	v_subrev_u32_e32 v24, s34, v30
	v_subrev_u32_e32 v26, s34, v28
	v_subrev_u32_e32 v28, s34, v34
	v_subrev_u32_e32 v30, s34, v32
	v_subrev_u32_e32 v32, s34, v38
	v_subrev_u32_e32 v34, s34, v36
	v_subrev_u32_e32 v36, s34, v42
	v_subrev_u32_e32 v38, s34, v40
	v_lshlrev_b32_e32 v15, 2, v15
	s_or_b64 s[22:23], vcc, s[22:23]
	v_lshlrev_b32_e32 v14, 2, v14
	v_lshlrev_b32_e32 v18, 2, v18
	;; [unrolled: 1-line block ×13, first 2 shown]
	s_waitcnt vmcnt(15)
	v_subrev_u32_e32 v1, s17, v1
	s_waitcnt vmcnt(14)
	v_subrev_u32_e32 v11, s17, v11
	ds_write_b32 v13, v1 offset:256
	ds_write_b32 v12, v11 offset:256
	s_waitcnt vmcnt(12)
	v_subrev_u32_e32 v11, s17, v19
	s_waitcnt vmcnt(11)
	v_subrev_u32_e32 v12, s17, v21
	;; [unrolled: 2-line block ×8, first 2 shown]
	v_subrev_u32_e32 v1, s17, v17
	v_subrev_u32_e32 v17, s17, v25
	;; [unrolled: 1-line block ×3, first 2 shown]
	s_waitcnt vmcnt(2)
	v_subrev_u32_e32 v31, s17, v39
	s_waitcnt vmcnt(1)
	v_subrev_u32_e32 v33, s17, v41
	s_waitcnt vmcnt(0)
	v_subrev_u32_e32 v35, s17, v43
	ds_write_b32 v15, v11 offset:256
	ds_write_b32 v14, v1 offset:256
	;; [unrolled: 1-line block ×14, first 2 shown]
	s_andn2_b64 exec, exec, s[22:23]
	s_cbranch_execnz .LBB3_5
; %bb.6:
	s_or_b64 exec, exec, s[22:23]
.LBB3_7:
	s_or_b64 exec, exec, s[20:21]
	v_and_b32_e32 v1, 7, v9
	v_cmp_ne_u32_e32 vcc, 0, v1
	s_and_saveexec_b64 s[20:21], vcc
	s_cbranch_execz .LBB3_10
; %bb.8:
	s_mov_b64 s[22:23], 0
.LBB3_9:                                ; =>This Inner Loop Header: Depth=1
	v_ashrrev_i32_e32 v11, 31, v3
	v_mov_b32_e32 v10, v3
	v_ashrrev_i32_e32 v13, 31, v2
	v_mov_b32_e32 v12, v2
	v_lshl_add_u64 v[10:11], v[10:11], 2, s[14:15]
	v_lshl_add_u64 v[12:13], v[12:13], 2, s[14:15]
	global_load_dword v9, v[10:11], off
	global_load_dword v14, v[12:13], off
	v_add_u32_e32 v1, -1, v1
	v_subrev_u32_e32 v11, s34, v2
	v_cmp_eq_u32_e32 vcc, 0, v1
	v_subrev_u32_e32 v10, s34, v3
	v_add_u32_e32 v3, 8, v3
	v_add_u32_e32 v2, 8, v2
	v_lshlrev_b32_e32 v11, 2, v11
	s_or_b64 s[22:23], vcc, s[22:23]
	v_lshlrev_b32_e32 v10, 2, v10
	s_waitcnt vmcnt(1)
	v_subrev_u32_e32 v9, s17, v9
	s_waitcnt vmcnt(0)
	v_subrev_u32_e32 v12, s17, v14
	ds_write_b32 v11, v12 offset:256
	ds_write_b32 v10, v9 offset:256
	s_andn2_b64 exec, exec, s[22:23]
	s_cbranch_execnz .LBB3_9
.LBB3_10:
	s_or_b64 exec, exec, s[20:21]
	v_add_u32_e32 v1, 1, v8
	v_and_b32_e32 v2, 0x7ffffffe, v1
	v_cmp_ne_u32_e32 vcc, v1, v2
	v_lshl_add_u32 v0, v2, 2, v0
	s_orn2_b64 s[20:21], vcc, exec
.LBB3_11:
	s_or_b64 exec, exec, s[18:19]
	s_and_b64 exec, exec, s[20:21]
	s_cbranch_execz .LBB3_14
; %bb.12:
	v_add_u32_e32 v1, s17, v0
	v_subrev_u32_e32 v1, s24, v1
	v_mov_b32_e32 v2, 0x100
	v_lshl_add_u32 v8, v1, 2, v2
	v_ashrrev_i32_e32 v1, 31, v0
	v_lshl_add_u64 v[2:3], v[0:1], 2, s[14:15]
	s_mov_b64 s[18:19], 0
.LBB3_13:                               ; =>This Inner Loop Header: Depth=1
	global_load_dword v1, v[2:3], off
	v_add_u32_e32 v0, 4, v0
	v_cmp_lt_i32_e32 vcc, s33, v0
	v_lshl_add_u64 v[2:3], v[2:3], 0, 16
	s_or_b64 s[18:19], vcc, s[18:19]
	s_waitcnt vmcnt(0)
	v_subrev_u32_e32 v1, s17, v1
	ds_write_b32 v8, v1
	v_add_u32_e32 v8, 16, v8
	s_andn2_b64 exec, exec, s[18:19]
	s_cbranch_execnz .LBB3_13
.LBB3_14:
	s_or_b64 exec, exec, s[2:3]
	s_load_dwordx2 s[18:19], s[0:1], 0x20
	v_mov_b32_e32 v0, 0x1e0
	v_mad_u32_u24 v9, v5, 12, v0
	v_lshl_add_u32 v8, v4, 2, v9
	v_mov_b32_e32 v0, 0
	s_cmp_lt_i32 s34, s33
	ds_write_b32 v8, v0
	s_waitcnt lgkmcnt(0)
	s_cbranch_scc1 .LBB3_18
; %bb.15:
	v_lshl_add_u32 v11, v4, 1, v5
	v_or_b32_e32 v10, v4, v5
	s_load_dword s35, s[0:1], 0x0
	s_cbranch_execz .LBB3_19
	s_branch .LBB3_64
.LBB3_16:
	s_cbranch_execnz .LBB3_83
.LBB3_17:
	s_endpgm
.LBB3_18:
                                        ; implicit-def: $vgpr11
                                        ; implicit-def: $vgpr10
	s_load_dword s35, s[0:1], 0x0
.LBB3_19:
	s_waitcnt lgkmcnt(0)
	s_cmp_lg_u32 s35, 0
	v_mul_u32_u24_e32 v1, 12, v5
	v_lshlrev_b32_e32 v2, 2, v4
	s_movk_i32 s0, 0x180
	s_cselect_b64 s[20:21], -1, 0
	s_cmp_eq_u32 s35, 0
	v_lshlrev_b32_e32 v12, 1, v4
	v_mov_b32_e32 v0, 0x1c0
	v_add3_u32 v15, v1, v2, s0
	v_mov_b32_e32 v1, 0x1a0
	v_add_u32_e32 v11, v12, v5
	v_mad_u32_u24 v13, v5, 12, v0
	v_mad_u32_u24 v18, v5, 12, v1
	;; [unrolled: 1-line block ×3, first 2 shown]
	v_or_b32_e32 v10, v4, v5
	s_cselect_b64 vcc, -1, 0
	v_cndmask_b32_e64 v0, 0, 1, s[20:21]
	v_add_u32_e32 v14, v13, v2
	v_add_u32_e32 v16, 2, v4
	;; [unrolled: 1-line block ×4, first 2 shown]
	v_cmp_ne_u32_e64 s[0:1], 0, v10
	v_cndmask_b32_e32 v21, v11, v6, vcc
	v_mov_b32_e32 v22, 0
	v_cmp_ne_u32_e64 s[2:3], 1, v0
	s_mov_b32 s22, s34
	s_branch .LBB3_22
.LBB3_20:                               ;   in Loop: Header=BB3_22 Depth=1
	s_or_b64 exec, exec, s[26:27]
	v_mov_b32_e32 v3, 1.0
.LBB3_21:                               ;   in Loop: Header=BB3_22 Depth=1
	s_or_b64 exec, exec, s[24:25]
	ds_read_b32 v23, v22 offset:396
	ds_read_b32 v24, v13
	ds_read_b32 v25, v18 offset:4
	s_add_i32 s22, s22, 1
	s_cmp_ge_i32 s22, s33
	s_waitcnt lgkmcnt(0)
	v_fmac_f32_e32 v25, v23, v24
	v_sub_f32_e32 v2, v2, v25
	v_div_scale_f32 v23, s[24:25], v3, v3, v2
	v_rcp_f32_e32 v24, v23
	v_div_scale_f32 v25, vcc, v2, v3, v2
	s_cselect_b64 s[24:25], -1, 0
	v_fma_f32 v26, -v23, v24, 1.0
	v_fmac_f32_e32 v24, v26, v24
	v_mul_f32_e32 v26, v25, v24
	v_fma_f32 v27, -v23, v26, v25
	v_fmac_f32_e32 v26, v27, v24
	v_fma_f32 v23, -v23, v26, v25
	v_div_fmas_f32 v23, v23, v24, v26
	v_div_fixup_f32 v2, v23, v3, v2
	ds_write_b32 v13, v2 offset:4
	s_waitcnt lgkmcnt(0)
	ds_read_b32 v3, v20 offset:4
	ds_read_b32 v23, v8
	s_waitcnt lgkmcnt(0)
	v_fmac_f32_e32 v23, v2, v3
	ds_write_b32 v8, v23
	s_waitcnt lgkmcnt(0)
	ds_read_b32 v2, v14
	s_waitcnt lgkmcnt(0)
	global_store_dword v[0:1], v2, off
	buffer_wbl2 sc1
	s_waitcnt vmcnt(0)
	buffer_inv sc1
	s_and_b64 vcc, exec, s[24:25]
	s_cbranch_vccnz .LBB3_64
.LBB3_22:                               ; =>This Loop Header: Depth=1
                                        ;     Child Loop BB3_25 Depth 2
                                        ;     Child Loop BB3_36 Depth 2
	;; [unrolled: 1-line block ×3, first 2 shown]
	s_ashr_i32 s23, s22, 31
	s_lshl_b64 s[24:25], s[22:23], 2
	s_add_u32 s24, s14, s24
	s_addc_u32 s25, s15, s25
	s_load_dword s23, s[24:25], 0x0
	s_waitcnt lgkmcnt(0)
	s_sub_i32 s26, s23, s17
	s_ashr_i32 s27, s26, 31
	s_lshl_b64 s[24:25], s[26:27], 2
	s_add_u32 s28, s4, s24
	s_addc_u32 s29, s5, s25
	s_load_dword s27, s[28:29], 0x0
	s_waitcnt lgkmcnt(0)
	s_cmp_eq_u32 s27, -1
	s_cbranch_scc1 .LBB3_49
; %bb.23:                               ;   in Loop: Header=BB3_22 Depth=1
	v_lshl_add_u32 v0, s22, 2, v21
	v_ashrrev_i32_e32 v1, 31, v0
	v_lshl_add_u64 v[0:1], v[0:1], 2, s[18:19]
	global_load_dword v2, v[0:1], off
	s_add_u32 s28, s12, s24
	s_addc_u32 s29, s13, s25
	s_load_dword s28, s[28:29], 0x0
	ds_read_b32 v3, v22 offset:256
	s_mov_b32 s29, 0
	s_waitcnt lgkmcnt(0)
	s_sub_i32 s28, s28, s17
	s_cmp_le_i32 s28, s27
	v_cmp_ge_i32_e32 vcc, s26, v3
	s_cselect_b64 s[30:31], -1, 0
	s_and_b64 s[30:31], s[30:31], vcc
	s_andn2_b64 vcc, exec, s[30:31]
	s_waitcnt vmcnt(0)
	ds_write_b32 v14, v2
	s_cbranch_vccnz .LBB3_35
; %bb.24:                               ;   in Loop: Header=BB3_22 Depth=1
	s_mov_b32 s36, 0
	s_mov_b32 s37, 0
.LBB3_25:                               ;   Parent Loop BB3_22 Depth=1
                                        ; =>  This Inner Loop Header: Depth=2
	s_ashr_i32 s29, s28, 31
	s_lshl_b64 s[30:31], s[28:29], 2
	s_add_u32 s30, s14, s30
	s_addc_u32 s31, s15, s31
	s_load_dword s29, s[30:31], 0x0
	s_lshl_b32 s30, s37, 2
	v_mov_b32_e32 v2, s30
	ds_read_b32 v2, v2 offset:256
	s_mov_b64 s[30:31], -1
	s_waitcnt lgkmcnt(0)
	s_sub_i32 s41, s29, s17
                                        ; implicit-def: $sgpr29
                                        ; implicit-def: $sgpr40
                                        ; implicit-def: $sgpr39
	v_cmp_ge_i32_e32 vcc, s41, v2
	v_readfirstlane_b32 s38, v2
	s_cbranch_vccz .LBB3_31
; %bb.26:                               ;   in Loop: Header=BB3_25 Depth=2
	s_cmp_le_i32 s41, s38
                                        ; implicit-def: $sgpr29
                                        ; implicit-def: $sgpr40
                                        ; implicit-def: $sgpr39
	s_cbranch_scc0 .LBB3_28
; %bb.27:                               ;   in Loop: Header=BB3_25 Depth=2
	s_add_i32 s29, s37, s34
	s_lshl_b32 s29, s29, 2
	s_lshl_b32 s30, s36, 2
	v_mov_b32_e32 v3, s29
	s_lshl_b32 s29, s28, 2
	v_mov_b32_e32 v2, s30
	v_mov_b32_e32 v23, s29
	ds_write2_b32 v2, v23, v3 offset1:32
	s_add_i32 s39, s37, 1
	s_add_i32 s40, s28, 1
	;; [unrolled: 1-line block ×3, first 2 shown]
	s_mov_b64 s[30:31], 0
.LBB3_28:                               ;   in Loop: Header=BB3_25 Depth=2
	s_andn2_b64 vcc, exec, s[30:31]
	s_cbranch_vccnz .LBB3_30
; %bb.29:                               ;   in Loop: Header=BB3_25 Depth=2
	s_add_i32 s39, s37, 1
	s_mov_b32 s29, s36
	s_mov_b32 s40, s28
.LBB3_30:                               ;   in Loop: Header=BB3_25 Depth=2
	s_mov_b64 s[30:31], 0
.LBB3_31:                               ;   in Loop: Header=BB3_25 Depth=2
	s_andn2_b64 vcc, exec, s[30:31]
	s_cbranch_vccnz .LBB3_33
; %bb.32:                               ;   in Loop: Header=BB3_25 Depth=2
	s_add_i32 s40, s28, 1
	s_mov_b32 s39, s37
	s_mov_b32 s29, s36
.LBB3_33:                               ;   in Loop: Header=BB3_25 Depth=2
	s_cmp_le_i32 s40, s27
	s_cselect_b64 s[30:31], -1, 0
	s_cmp_le_i32 s38, s26
	s_cselect_b64 s[36:37], -1, 0
	s_and_b64 s[30:31], s[30:31], s[36:37]
	s_and_b64 vcc, exec, s[30:31]
	s_cbranch_vccz .LBB3_35
; %bb.34:                               ;   in Loop: Header=BB3_25 Depth=2
	s_mov_b32 s36, s29
	s_mov_b32 s28, s40
	;; [unrolled: 1-line block ×3, first 2 shown]
	s_branch .LBB3_25
.LBB3_35:                               ;   in Loop: Header=BB3_22 Depth=1
	s_add_u32 s24, s6, s24
	s_addc_u32 s25, s7, s25
	s_waitcnt lgkmcnt(0)
.LBB3_36:                               ;   Parent Loop BB3_22 Depth=1
                                        ; =>  This Inner Loop Header: Depth=2
	global_load_dword v2, v22, s[24:25] sc1
	s_waitcnt vmcnt(0)
	v_cmp_eq_u32_e32 vcc, 0, v2
	s_cbranch_vccnz .LBB3_36
; %bb.37:                               ;   in Loop: Header=BB3_22 Depth=1
	v_lshl_add_u32 v2, s27, 2, v21
	v_ashrrev_i32_e32 v3, 31, v2
	v_lshl_add_u64 v[2:3], v[2:3], 2, s[18:19]
	buffer_inv sc1
	global_load_dword v2, v[2:3], off
	s_cmp_lt_i32 s29, 2
	v_mov_b32_e32 v23, 0
	s_waitcnt vmcnt(0)
	ds_write_b32 v15, v2
	s_waitcnt lgkmcnt(0)
	s_cbranch_scc1 .LBB3_57
; %bb.38:                               ;   in Loop: Header=BB3_22 Depth=1
	s_add_i32 s26, s29, -1
	s_cmp_eq_u32 s29, 2
	s_cbranch_scc1 .LBB3_50
; %bb.39:                               ;   in Loop: Header=BB3_22 Depth=1
	s_and_b32 s27, s26, -2
	s_mov_b32 s28, 0
	v_mov_b32_e32 v23, 0
	s_mov_b32 s29, 0
	s_branch .LBB3_41
.LBB3_40:                               ;   in Loop: Header=BB3_41 Depth=2
	s_add_i32 s29, s29, 2
	s_add_i32 s28, s28, 8
	s_cmp_eq_u32 s27, s29
	s_cbranch_scc1 .LBB3_51
.LBB3_41:                               ;   Parent Loop BB3_22 Depth=1
                                        ; =>  This Inner Loop Header: Depth=2
	s_waitcnt lgkmcnt(0)
	v_mov_b32_e32 v2, s28
	ds_read2_b32 v[2:3], v2 offset1:32
	s_mov_b64 s[24:25], -1
	s_and_b64 vcc, exec, s[20:21]
                                        ; implicit-def: $vgpr24
	s_cbranch_vccz .LBB3_43
; %bb.42:                               ;   in Loop: Header=BB3_41 Depth=2
	s_waitcnt lgkmcnt(0)
	v_add_u32_e32 v24, v2, v4
	v_ashrrev_i32_e32 v25, 31, v24
	v_add_u32_e32 v26, v3, v5
	v_add_u32_e32 v28, v16, v2
	;; [unrolled: 1-line block ×3, first 2 shown]
	v_lshl_add_u64 v[24:25], v[24:25], 2, s[18:19]
	v_ashrrev_i32_e32 v27, 31, v26
	v_ashrrev_i32_e32 v29, 31, v28
	;; [unrolled: 1-line block ×3, first 2 shown]
	v_lshl_add_u64 v[26:27], v[26:27], 2, s[18:19]
	v_lshl_add_u64 v[28:29], v[28:29], 2, s[18:19]
	;; [unrolled: 1-line block ×3, first 2 shown]
	global_load_dword v32, v[24:25], off
	global_load_dword v33, v[26:27], off
	;; [unrolled: 1-line block ×4, first 2 shown]
	s_mov_b64 s[24:25], 0
	s_waitcnt vmcnt(2)
	v_fma_f32 v24, v32, v33, v23
	s_waitcnt vmcnt(0)
	v_fmac_f32_e32 v24, v34, v35
.LBB3_43:                               ;   in Loop: Header=BB3_41 Depth=2
	s_andn2_b64 vcc, exec, s[24:25]
	s_cbranch_vccnz .LBB3_45
; %bb.44:                               ;   in Loop: Header=BB3_41 Depth=2
	s_waitcnt lgkmcnt(0)
	v_add_u32_e32 v24, v2, v12
	v_ashrrev_i32_e32 v25, 31, v24
	v_add_u32_e32 v2, v3, v7
	v_lshl_add_u64 v[24:25], v[24:25], 2, s[18:19]
	v_ashrrev_i32_e32 v3, 31, v2
	v_lshl_add_u64 v[2:3], v[2:3], 2, s[18:19]
	global_load_dwordx2 v[26:27], v[24:25], off
	global_load_dwordx2 v[28:29], v[2:3], off
	s_waitcnt vmcnt(0)
	v_fmac_f32_e32 v23, v26, v28
	v_fmac_f32_e32 v23, v27, v29
	v_mov_b32_e32 v24, v23
.LBB3_45:                               ;   in Loop: Header=BB3_41 Depth=2
	s_waitcnt lgkmcnt(0)
	v_mov_b32_e32 v2, s28
	ds_read2_b32 v[2:3], v2 offset0:1 offset1:33
	s_and_b64 vcc, exec, s[2:3]
	s_mov_b64 s[24:25], -1
                                        ; implicit-def: $vgpr23
	s_cbranch_vccnz .LBB3_47
; %bb.46:                               ;   in Loop: Header=BB3_41 Depth=2
	s_waitcnt lgkmcnt(0)
	v_add_u32_e32 v26, v2, v4
	v_ashrrev_i32_e32 v27, 31, v26
	v_add_u32_e32 v28, v3, v5
	v_add_u32_e32 v30, v16, v2
	;; [unrolled: 1-line block ×3, first 2 shown]
	v_lshl_add_u64 v[26:27], v[26:27], 2, s[18:19]
	v_ashrrev_i32_e32 v29, 31, v28
	v_ashrrev_i32_e32 v31, 31, v30
	v_ashrrev_i32_e32 v33, 31, v32
	v_lshl_add_u64 v[28:29], v[28:29], 2, s[18:19]
	v_lshl_add_u64 v[30:31], v[30:31], 2, s[18:19]
	;; [unrolled: 1-line block ×3, first 2 shown]
	global_load_dword v23, v[26:27], off
	global_load_dword v25, v[28:29], off
	;; [unrolled: 1-line block ×4, first 2 shown]
	s_mov_b64 s[24:25], 0
	s_waitcnt vmcnt(2)
	v_fma_f32 v23, v23, v25, v24
	s_waitcnt vmcnt(0)
	v_fmac_f32_e32 v23, v34, v35
.LBB3_47:                               ;   in Loop: Header=BB3_41 Depth=2
	s_andn2_b64 vcc, exec, s[24:25]
	s_cbranch_vccnz .LBB3_40
; %bb.48:                               ;   in Loop: Header=BB3_41 Depth=2
	s_waitcnt lgkmcnt(0)
	v_add_u32_e32 v26, v2, v12
	v_ashrrev_i32_e32 v27, 31, v26
	v_add_u32_e32 v2, v3, v7
	v_lshl_add_u64 v[26:27], v[26:27], 2, s[18:19]
	v_ashrrev_i32_e32 v3, 31, v2
	v_lshl_add_u64 v[2:3], v[2:3], 2, s[18:19]
	global_load_dwordx2 v[28:29], v[26:27], off
	global_load_dwordx2 v[30:31], v[2:3], off
	s_waitcnt vmcnt(0)
	v_fmac_f32_e32 v24, v28, v30
	v_fmac_f32_e32 v24, v29, v31
	v_mov_b32_e32 v23, v24
	s_branch .LBB3_40
.LBB3_49:                               ;   in Loop: Header=BB3_22 Depth=1
                                        ; implicit-def: $sgpr22
	s_cbranch_execz .LBB3_22
	s_branch .LBB3_64
.LBB3_50:                               ;   in Loop: Header=BB3_22 Depth=1
	v_mov_b32_e32 v23, 0
	s_mov_b32 s27, 0
.LBB3_51:                               ;   in Loop: Header=BB3_22 Depth=1
	s_bitcmp0_b32 s26, 0
	s_cbranch_scc1 .LBB3_57
; %bb.52:                               ;   in Loop: Header=BB3_22 Depth=1
	s_lshl_b32 s24, s27, 2
	s_waitcnt lgkmcnt(0)
	v_mov_b32_e32 v2, s24
	ds_read2_b32 v[2:3], v2 offset1:32
	s_and_b64 vcc, exec, s[2:3]
	s_mov_b64 s[24:25], -1
                                        ; implicit-def: $vgpr24
	s_cbranch_vccnz .LBB3_54
; %bb.53:                               ;   in Loop: Header=BB3_22 Depth=1
	s_waitcnt lgkmcnt(0)
	v_add_u32_e32 v24, v2, v4
	v_ashrrev_i32_e32 v25, 31, v24
	v_add_u32_e32 v26, v3, v5
	v_add_u32_e32 v28, v16, v2
	;; [unrolled: 1-line block ×3, first 2 shown]
	v_lshl_add_u64 v[24:25], v[24:25], 2, s[18:19]
	v_ashrrev_i32_e32 v27, 31, v26
	v_ashrrev_i32_e32 v29, 31, v28
	v_ashrrev_i32_e32 v31, 31, v30
	v_lshl_add_u64 v[26:27], v[26:27], 2, s[18:19]
	v_lshl_add_u64 v[28:29], v[28:29], 2, s[18:19]
	;; [unrolled: 1-line block ×3, first 2 shown]
	global_load_dword v32, v[24:25], off
	global_load_dword v33, v[26:27], off
	;; [unrolled: 1-line block ×4, first 2 shown]
	s_mov_b64 s[24:25], 0
	s_waitcnt vmcnt(2)
	v_fma_f32 v24, v32, v33, v23
	s_waitcnt vmcnt(0)
	v_fmac_f32_e32 v24, v34, v35
.LBB3_54:                               ;   in Loop: Header=BB3_22 Depth=1
	s_andn2_b64 vcc, exec, s[24:25]
	s_cbranch_vccnz .LBB3_56
; %bb.55:                               ;   in Loop: Header=BB3_22 Depth=1
	s_waitcnt lgkmcnt(0)
	v_add_u32_e32 v24, v2, v12
	v_ashrrev_i32_e32 v25, 31, v24
	v_add_u32_e32 v2, v3, v7
	v_lshl_add_u64 v[24:25], v[24:25], 2, s[18:19]
	v_ashrrev_i32_e32 v3, 31, v2
	v_lshl_add_u64 v[2:3], v[2:3], 2, s[18:19]
	global_load_dwordx2 v[26:27], v[24:25], off
	global_load_dwordx2 v[28:29], v[2:3], off
	s_waitcnt vmcnt(0)
	v_fmac_f32_e32 v23, v26, v28
	v_fmac_f32_e32 v23, v27, v29
	v_mov_b32_e32 v24, v23
.LBB3_56:                               ;   in Loop: Header=BB3_22 Depth=1
	v_mov_b32_e32 v23, v24
.LBB3_57:                               ;   in Loop: Header=BB3_22 Depth=1
	ds_write_b32 v19, v23
	s_waitcnt lgkmcnt(0)
	ds_read_b32 v3, v22 offset:384
	ds_read_b32 v2, v13
	s_waitcnt lgkmcnt(1)
	v_cmp_neq_f32_e32 vcc, 0, v3
	s_nop 1
	v_cndmask_b32_e32 v3, 1.0, v3, vcc
	s_nor_b64 s[26:27], vcc, s[0:1]
	s_and_saveexec_b64 s[24:25], s[26:27]
	s_cbranch_execz .LBB3_61
; %bb.58:                               ;   in Loop: Header=BB3_22 Depth=1
	v_mbcnt_lo_u32_b32 v3, exec_lo, 0
	v_mbcnt_hi_u32_b32 v3, exec_hi, v3
	v_cmp_eq_u32_e32 vcc, 0, v3
	s_and_saveexec_b64 s[26:27], vcc
	s_cbranch_execz .LBB3_60
; %bb.59:                               ;   in Loop: Header=BB3_22 Depth=1
	v_mov_b32_e32 v3, s23
	global_atomic_smin v22, v3, s[10:11]
.LBB3_60:                               ;   in Loop: Header=BB3_22 Depth=1
	s_or_b64 exec, exec, s[26:27]
	v_mov_b32_e32 v3, 1.0
.LBB3_61:                               ;   in Loop: Header=BB3_22 Depth=1
	s_or_b64 exec, exec, s[24:25]
	ds_read_b32 v23, v18
	s_waitcnt lgkmcnt(0)
	v_sub_f32_e32 v2, v2, v23
	v_div_scale_f32 v23, s[24:25], v3, v3, v2
	v_rcp_f32_e32 v24, v23
	v_div_scale_f32 v25, vcc, v2, v3, v2
	v_fma_f32 v26, -v23, v24, 1.0
	v_fmac_f32_e32 v24, v26, v24
	v_mul_f32_e32 v26, v25, v24
	v_fma_f32 v27, -v23, v26, v25
	v_fmac_f32_e32 v26, v27, v24
	v_fma_f32 v23, -v23, v26, v25
	v_div_fmas_f32 v23, v23, v24, v26
	v_div_fixup_f32 v2, v23, v3, v2
	ds_write_b32 v13, v2
	s_waitcnt lgkmcnt(0)
	ds_read_b32 v3, v20
	ds_read_b32 v23, v8
	s_waitcnt lgkmcnt(0)
	v_fmac_f32_e32 v23, v2, v3
	ds_write_b32 v8, v23
	s_waitcnt lgkmcnt(0)
	ds_read_b32 v3, v22 offset:400
	ds_read_b32 v2, v13 offset:4
	s_waitcnt lgkmcnt(1)
	v_cmp_neq_f32_e32 vcc, 0, v3
	s_nop 1
	v_cndmask_b32_e32 v3, 1.0, v3, vcc
	s_nor_b64 s[26:27], vcc, s[0:1]
	s_and_saveexec_b64 s[24:25], s[26:27]
	s_cbranch_execz .LBB3_21
; %bb.62:                               ;   in Loop: Header=BB3_22 Depth=1
	v_mbcnt_lo_u32_b32 v3, exec_lo, 0
	v_mbcnt_hi_u32_b32 v3, exec_hi, v3
	v_cmp_eq_u32_e32 vcc, 0, v3
	s_and_saveexec_b64 s[26:27], vcc
	s_cbranch_execz .LBB3_20
; %bb.63:                               ;   in Loop: Header=BB3_22 Depth=1
	v_mov_b32_e32 v3, s23
	global_atomic_smin v22, v3, s[10:11]
	s_branch .LBB3_20
.LBB3_64:
	s_waitcnt lgkmcnt(0)
	s_cmp_eq_u32 s35, 0
	s_cselect_b64 vcc, -1, 0
	v_cndmask_b32_e32 v0, v11, v6, vcc
	v_lshl_add_u32 v0, s33, 2, v0
	v_ashrrev_i32_e32 v1, 31, v0
	v_lshl_add_u64 v[0:1], v[0:1], 2, s[18:19]
	global_load_dword v6, v[0:1], off
	v_mov_b32_e32 v2, 0x1c0
	v_mad_u32_u24 v3, v5, 12, v2
	v_cmp_ne_u32_e32 vcc, 0, v5
	v_lshl_add_u32 v2, v4, 2, v3
	v_cmp_eq_u32_e64 s[0:1], 0, v5
	s_waitcnt vmcnt(0)
	ds_write_b32 v2, v6
	s_waitcnt lgkmcnt(0)
	s_and_saveexec_b64 s[4:5], s[0:1]
	s_cbranch_execz .LBB3_66
; %bb.65:
	v_mov_b32_e32 v11, 0
	ds_read2_b32 v[6:7], v11 offset0:112 offset1:120
	s_mov_b32 s2, 0xf800000
	s_waitcnt lgkmcnt(0)
	v_sub_f32_e32 v6, v6, v7
	v_cmp_gt_f32_e64 s[0:1], 0, v6
	s_nop 1
	v_cndmask_b32_e64 v6, v6, -v6, s[0:1]
	v_mul_f32_e32 v7, 0x4f800000, v6
	v_cmp_gt_f32_e64 s[0:1], s2, v6
	s_nop 1
	v_cndmask_b32_e64 v6, v6, v7, s[0:1]
	v_sqrt_f32_e32 v7, v6
	s_nop 0
	v_add_u32_e32 v12, -1, v7
	v_add_u32_e32 v13, 1, v7
	v_fma_f32 v14, -v12, v7, v6
	v_fma_f32 v15, -v13, v7, v6
	v_cmp_ge_f32_e64 s[2:3], 0, v14
	s_nop 1
	v_cndmask_b32_e64 v7, v7, v12, s[2:3]
	v_cmp_lt_f32_e64 s[2:3], 0, v15
	s_nop 1
	v_cndmask_b32_e64 v7, v7, v13, s[2:3]
	v_mul_f32_e32 v12, 0x37800000, v7
	v_cndmask_b32_e64 v7, v7, v12, s[0:1]
	v_mov_b32_e32 v12, 0x260
	v_cmp_class_f32_e64 s[0:1], v6, v12
	s_nop 1
	v_cndmask_b32_e64 v6, v7, v6, s[0:1]
	ds_write_b32 v11, v6 offset:448
.LBB3_66:
	s_or_b64 exec, exec, s[4:5]
	v_mov_b32_e32 v6, 0
	s_waitcnt lgkmcnt(0)
	ds_read_b32 v6, v6 offset:448
	v_cmp_ne_u32_e64 s[0:1], 0, v10
	s_add_i32 s14, s16, s17
	s_waitcnt lgkmcnt(0)
	v_cmp_neq_f32_e64 s[2:3], 0, v6
	s_nop 1
	v_cndmask_b32_e64 v7, 1.0, v6, s[2:3]
	s_nor_b64 s[2:3], s[2:3], s[0:1]
	s_and_saveexec_b64 s[4:5], s[2:3]
	s_cbranch_execz .LBB3_70
; %bb.67:
	v_mbcnt_lo_u32_b32 v6, exec_lo, 0
	v_mbcnt_hi_u32_b32 v6, exec_hi, v6
	v_cmp_eq_u32_e64 s[2:3], 0, v6
	s_and_saveexec_b64 s[12:13], s[2:3]
	s_cbranch_execz .LBB3_69
; %bb.68:
	v_mov_b32_e32 v6, 0
	v_mov_b32_e32 v7, s14
	global_atomic_smin v6, v7, s[10:11]
.LBB3_69:
	s_or_b64 exec, exec, s[12:13]
	v_mov_b32_e32 v7, 1.0
.LBB3_70:
	s_or_b64 exec, exec, s[4:5]
	v_mov_b32_e32 v6, 0x1c0
	v_mad_u32_u24 v6, v4, 12, v6
	s_and_saveexec_b64 s[2:3], vcc
	s_cbranch_execz .LBB3_72
; %bb.71:
	ds_read_b32 v11, v3
	ds_read_b32 v12, v9
	s_waitcnt lgkmcnt(0)
	v_sub_f32_e32 v11, v11, v12
	v_div_scale_f32 v12, s[4:5], v7, v7, v11
	v_rcp_f32_e32 v13, v12
	v_div_scale_f32 v14, vcc, v11, v7, v11
	v_fma_f32 v15, -v12, v13, 1.0
	v_fmac_f32_e32 v13, v15, v13
	v_mul_f32_e32 v15, v14, v13
	v_fma_f32 v16, -v12, v15, v14
	v_fmac_f32_e32 v15, v16, v13
	v_fma_f32 v12, -v12, v15, v14
	v_div_fmas_f32 v12, v12, v13, v15
	v_div_fixup_f32 v7, v12, v7, v11
	ds_write_b32 v3, v7
	s_waitcnt lgkmcnt(0)
	ds_read_b32 v11, v6
	ds_read_b32 v12, v8
	s_waitcnt lgkmcnt(0)
	v_fmac_f32_e32 v12, v7, v11
	ds_write_b32 v8, v12
.LBB3_72:
	s_or_b64 exec, exec, s[2:3]
	v_cmp_eq_u32_e32 vcc, 1, v5
	s_waitcnt lgkmcnt(0)
	s_and_saveexec_b64 s[4:5], vcc
	s_cbranch_execz .LBB3_74
; %bb.73:
	v_mov_b32_e32 v7, 0
	ds_read2_b32 v[12:13], v7 offset0:116 offset1:124
	s_mov_b32 s2, 0xf800000
	s_waitcnt lgkmcnt(0)
	v_sub_f32_e32 v11, v12, v13
	v_cmp_gt_f32_e32 vcc, 0, v11
	s_nop 1
	v_cndmask_b32_e64 v11, v11, -v11, vcc
	v_mul_f32_e32 v12, 0x4f800000, v11
	v_cmp_gt_f32_e32 vcc, s2, v11
	s_nop 1
	v_cndmask_b32_e32 v11, v11, v12, vcc
	v_sqrt_f32_e32 v12, v11
	s_nop 0
	v_add_u32_e32 v13, -1, v12
	v_add_u32_e32 v14, 1, v12
	v_fma_f32 v15, -v13, v12, v11
	v_fma_f32 v16, -v14, v12, v11
	v_cmp_ge_f32_e64 s[2:3], 0, v15
	s_nop 1
	v_cndmask_b32_e64 v12, v12, v13, s[2:3]
	v_cmp_lt_f32_e64 s[2:3], 0, v16
	s_nop 1
	v_cndmask_b32_e64 v12, v12, v14, s[2:3]
	v_mul_f32_e32 v13, 0x37800000, v12
	v_cndmask_b32_e32 v12, v12, v13, vcc
	v_mov_b32_e32 v13, 0x260
	v_cmp_class_f32_e32 vcc, v11, v13
	s_nop 1
	v_cndmask_b32_e32 v11, v12, v11, vcc
	ds_write_b32 v7, v11 offset:464
.LBB3_74:
	s_or_b64 exec, exec, s[4:5]
	v_mov_b32_e32 v7, 0
	s_waitcnt lgkmcnt(0)
	ds_read_b32 v7, v7 offset:464
	s_waitcnt lgkmcnt(0)
	v_cmp_neq_f32_e32 vcc, 0, v7
	s_nop 1
	v_cndmask_b32_e32 v7, 1.0, v7, vcc
	s_nor_b64 s[2:3], vcc, s[0:1]
	s_and_saveexec_b64 s[0:1], s[2:3]
	s_cbranch_execz .LBB3_78
; %bb.75:
	v_mbcnt_lo_u32_b32 v7, exec_lo, 0
	v_mbcnt_hi_u32_b32 v7, exec_hi, v7
	v_cmp_eq_u32_e32 vcc, 0, v7
	s_and_saveexec_b64 s[2:3], vcc
	s_cbranch_execz .LBB3_77
; %bb.76:
	v_mov_b32_e32 v7, 0
	v_mov_b32_e32 v11, s14
	global_atomic_smin v7, v11, s[10:11]
.LBB3_77:
	s_or_b64 exec, exec, s[2:3]
	v_mov_b32_e32 v7, 1.0
.LBB3_78:
	s_or_b64 exec, exec, s[0:1]
	v_cmp_lt_u32_e32 vcc, 1, v5
	s_and_saveexec_b64 s[0:1], vcc
	s_cbranch_execz .LBB3_80
; %bb.79:
	ds_read_b32 v11, v3 offset:4
	ds_read_b32 v9, v9 offset:4
	s_waitcnt lgkmcnt(0)
	v_sub_f32_e32 v9, v11, v9
	v_div_scale_f32 v11, s[2:3], v7, v7, v9
	v_rcp_f32_e32 v12, v11
	v_div_scale_f32 v13, vcc, v9, v7, v9
	v_fma_f32 v14, -v11, v12, 1.0
	v_fmac_f32_e32 v12, v14, v12
	v_mul_f32_e32 v14, v13, v12
	v_fma_f32 v15, -v11, v14, v13
	v_fmac_f32_e32 v14, v15, v12
	v_fma_f32 v11, -v11, v14, v13
	v_div_fmas_f32 v11, v11, v12, v14
	v_div_fixup_f32 v7, v11, v7, v9
	ds_write_b32 v3, v7 offset:4
	s_waitcnt lgkmcnt(0)
	ds_read_b32 v3, v6 offset:4
	ds_read_b32 v6, v8
	s_waitcnt lgkmcnt(0)
	v_fmac_f32_e32 v6, v7, v3
	ds_write_b32 v8, v6
.LBB3_80:
	s_or_b64 exec, exec, s[0:1]
	s_waitcnt lgkmcnt(0)
	ds_read_b32 v2, v2
	v_cmp_eq_u32_e32 vcc, 0, v10
	s_waitcnt lgkmcnt(0)
	global_store_dword v[0:1], v2, off
	s_and_saveexec_b64 s[0:1], vcc
	s_cbranch_execz .LBB3_82
; %bb.81:
	s_add_u32 s2, s6, s8
	s_addc_u32 s3, s7, s9
	v_mov_b32_e32 v0, 0
	v_mov_b32_e32 v1, 1
	buffer_wbl2 sc1
	s_waitcnt vmcnt(0)
	global_store_dword v0, v1, s[2:3] sc1
.LBB3_82:
	s_or_b64 exec, exec, s[0:1]
	s_branch .LBB3_17
.LBB3_83:
	v_or_b32_e32 v0, v4, v5
	v_cmp_eq_u32_e32 vcc, 0, v0
	s_and_saveexec_b64 s[0:1], vcc
	s_cbranch_execz .LBB3_17
; %bb.84:
	v_mbcnt_lo_u32_b32 v0, exec_lo, 0
	v_mbcnt_hi_u32_b32 v0, exec_hi, v0
	v_cmp_eq_u32_e32 vcc, 0, v0
	s_and_saveexec_b64 s[0:1], vcc
	s_cbranch_execz .LBB3_86
; %bb.85:
	s_add_i32 s2, s16, s17
	v_mov_b32_e32 v0, 0
	v_mov_b32_e32 v1, s2
	global_atomic_smin v0, v1, s[10:11]
.LBB3_86:
	s_or_b64 exec, exec, s[0:1]
	s_add_u32 s0, s6, s8
	s_addc_u32 s1, s7, s9
	v_mov_b32_e32 v0, 0
	v_mov_b32_e32 v1, 1
	buffer_wbl2 sc1
	s_waitcnt vmcnt(0)
	global_store_dword v0, v1, s[0:1] sc1
	s_endpgm
	.section	.rodata,"a",@progbits
	.p2align	6, 0x0
	.amdhsa_kernel _ZN9rocsparseL26bsric0_2_8_unrolled_kernelILi4ELi32ELi2EfEEv20rocsparse_direction_iiPKiS3_PT2_S3_PiS3_S6_21rocsparse_index_base_
		.amdhsa_group_segment_fixed_size 504
		.amdhsa_private_segment_fixed_size 0
		.amdhsa_kernarg_size 76
		.amdhsa_user_sgpr_count 2
		.amdhsa_user_sgpr_dispatch_ptr 0
		.amdhsa_user_sgpr_queue_ptr 0
		.amdhsa_user_sgpr_kernarg_segment_ptr 1
		.amdhsa_user_sgpr_dispatch_id 0
		.amdhsa_user_sgpr_kernarg_preload_length 0
		.amdhsa_user_sgpr_kernarg_preload_offset 0
		.amdhsa_user_sgpr_private_segment_size 0
		.amdhsa_uses_dynamic_stack 0
		.amdhsa_enable_private_segment 0
		.amdhsa_system_sgpr_workgroup_id_x 1
		.amdhsa_system_sgpr_workgroup_id_y 0
		.amdhsa_system_sgpr_workgroup_id_z 0
		.amdhsa_system_sgpr_workgroup_info 0
		.amdhsa_system_vgpr_workitem_id 1
		.amdhsa_next_free_vgpr 66
		.amdhsa_next_free_sgpr 42
		.amdhsa_accum_offset 68
		.amdhsa_reserve_vcc 1
		.amdhsa_float_round_mode_32 0
		.amdhsa_float_round_mode_16_64 0
		.amdhsa_float_denorm_mode_32 3
		.amdhsa_float_denorm_mode_16_64 3
		.amdhsa_dx10_clamp 1
		.amdhsa_ieee_mode 1
		.amdhsa_fp16_overflow 0
		.amdhsa_tg_split 0
		.amdhsa_exception_fp_ieee_invalid_op 0
		.amdhsa_exception_fp_denorm_src 0
		.amdhsa_exception_fp_ieee_div_zero 0
		.amdhsa_exception_fp_ieee_overflow 0
		.amdhsa_exception_fp_ieee_underflow 0
		.amdhsa_exception_fp_ieee_inexact 0
		.amdhsa_exception_int_div_zero 0
	.end_amdhsa_kernel
	.section	.text._ZN9rocsparseL26bsric0_2_8_unrolled_kernelILi4ELi32ELi2EfEEv20rocsparse_direction_iiPKiS3_PT2_S3_PiS3_S6_21rocsparse_index_base_,"axG",@progbits,_ZN9rocsparseL26bsric0_2_8_unrolled_kernelILi4ELi32ELi2EfEEv20rocsparse_direction_iiPKiS3_PT2_S3_PiS3_S6_21rocsparse_index_base_,comdat
.Lfunc_end3:
	.size	_ZN9rocsparseL26bsric0_2_8_unrolled_kernelILi4ELi32ELi2EfEEv20rocsparse_direction_iiPKiS3_PT2_S3_PiS3_S6_21rocsparse_index_base_, .Lfunc_end3-_ZN9rocsparseL26bsric0_2_8_unrolled_kernelILi4ELi32ELi2EfEEv20rocsparse_direction_iiPKiS3_PT2_S3_PiS3_S6_21rocsparse_index_base_
                                        ; -- End function
	.set _ZN9rocsparseL26bsric0_2_8_unrolled_kernelILi4ELi32ELi2EfEEv20rocsparse_direction_iiPKiS3_PT2_S3_PiS3_S6_21rocsparse_index_base_.num_vgpr, 66
	.set _ZN9rocsparseL26bsric0_2_8_unrolled_kernelILi4ELi32ELi2EfEEv20rocsparse_direction_iiPKiS3_PT2_S3_PiS3_S6_21rocsparse_index_base_.num_agpr, 0
	.set _ZN9rocsparseL26bsric0_2_8_unrolled_kernelILi4ELi32ELi2EfEEv20rocsparse_direction_iiPKiS3_PT2_S3_PiS3_S6_21rocsparse_index_base_.numbered_sgpr, 42
	.set _ZN9rocsparseL26bsric0_2_8_unrolled_kernelILi4ELi32ELi2EfEEv20rocsparse_direction_iiPKiS3_PT2_S3_PiS3_S6_21rocsparse_index_base_.num_named_barrier, 0
	.set _ZN9rocsparseL26bsric0_2_8_unrolled_kernelILi4ELi32ELi2EfEEv20rocsparse_direction_iiPKiS3_PT2_S3_PiS3_S6_21rocsparse_index_base_.private_seg_size, 0
	.set _ZN9rocsparseL26bsric0_2_8_unrolled_kernelILi4ELi32ELi2EfEEv20rocsparse_direction_iiPKiS3_PT2_S3_PiS3_S6_21rocsparse_index_base_.uses_vcc, 1
	.set _ZN9rocsparseL26bsric0_2_8_unrolled_kernelILi4ELi32ELi2EfEEv20rocsparse_direction_iiPKiS3_PT2_S3_PiS3_S6_21rocsparse_index_base_.uses_flat_scratch, 0
	.set _ZN9rocsparseL26bsric0_2_8_unrolled_kernelILi4ELi32ELi2EfEEv20rocsparse_direction_iiPKiS3_PT2_S3_PiS3_S6_21rocsparse_index_base_.has_dyn_sized_stack, 0
	.set _ZN9rocsparseL26bsric0_2_8_unrolled_kernelILi4ELi32ELi2EfEEv20rocsparse_direction_iiPKiS3_PT2_S3_PiS3_S6_21rocsparse_index_base_.has_recursion, 0
	.set _ZN9rocsparseL26bsric0_2_8_unrolled_kernelILi4ELi32ELi2EfEEv20rocsparse_direction_iiPKiS3_PT2_S3_PiS3_S6_21rocsparse_index_base_.has_indirect_call, 0
	.section	.AMDGPU.csdata,"",@progbits
; Kernel info:
; codeLenInByte = 4644
; TotalNumSgprs: 48
; NumVgprs: 66
; NumAgprs: 0
; TotalNumVgprs: 66
; ScratchSize: 0
; MemoryBound: 0
; FloatMode: 240
; IeeeMode: 1
; LDSByteSize: 504 bytes/workgroup (compile time only)
; SGPRBlocks: 5
; VGPRBlocks: 8
; NumSGPRsForWavesPerEU: 48
; NumVGPRsForWavesPerEU: 66
; AccumOffset: 68
; Occupancy: 7
; WaveLimiterHint : 1
; COMPUTE_PGM_RSRC2:SCRATCH_EN: 0
; COMPUTE_PGM_RSRC2:USER_SGPR: 2
; COMPUTE_PGM_RSRC2:TRAP_HANDLER: 0
; COMPUTE_PGM_RSRC2:TGID_X_EN: 1
; COMPUTE_PGM_RSRC2:TGID_Y_EN: 0
; COMPUTE_PGM_RSRC2:TGID_Z_EN: 0
; COMPUTE_PGM_RSRC2:TIDIG_COMP_CNT: 1
; COMPUTE_PGM_RSRC3_GFX90A:ACCUM_OFFSET: 16
; COMPUTE_PGM_RSRC3_GFX90A:TG_SPLIT: 0
	.section	.text._ZN9rocsparseL26bsric0_2_8_unrolled_kernelILi9ELi32ELi3EfEEv20rocsparse_direction_iiPKiS3_PT2_S3_PiS3_S6_21rocsparse_index_base_,"axG",@progbits,_ZN9rocsparseL26bsric0_2_8_unrolled_kernelILi9ELi32ELi3EfEEv20rocsparse_direction_iiPKiS3_PT2_S3_PiS3_S6_21rocsparse_index_base_,comdat
	.globl	_ZN9rocsparseL26bsric0_2_8_unrolled_kernelILi9ELi32ELi3EfEEv20rocsparse_direction_iiPKiS3_PT2_S3_PiS3_S6_21rocsparse_index_base_ ; -- Begin function _ZN9rocsparseL26bsric0_2_8_unrolled_kernelILi9ELi32ELi3EfEEv20rocsparse_direction_iiPKiS3_PT2_S3_PiS3_S6_21rocsparse_index_base_
	.p2align	8
	.type	_ZN9rocsparseL26bsric0_2_8_unrolled_kernelILi9ELi32ELi3EfEEv20rocsparse_direction_iiPKiS3_PT2_S3_PiS3_S6_21rocsparse_index_base_,@function
_ZN9rocsparseL26bsric0_2_8_unrolled_kernelILi9ELi32ELi3EfEEv20rocsparse_direction_iiPKiS3_PT2_S3_PiS3_S6_21rocsparse_index_base_: ; @_ZN9rocsparseL26bsric0_2_8_unrolled_kernelILi9ELi32ELi3EfEEv20rocsparse_direction_iiPKiS3_PT2_S3_PiS3_S6_21rocsparse_index_base_
; %bb.0:
	s_load_dwordx8 s[4:11], s[0:1], 0x28
	s_mov_b32 s3, 0
	s_lshl_b64 s[2:3], s[2:3], 2
	v_and_b32_e32 v6, 0x3ff, v0
	v_bfe_u32 v7, v0, 10, 10
	s_waitcnt lgkmcnt(0)
	s_add_u32 s2, s8, s2
	s_addc_u32 s3, s9, s3
	s_load_dword s16, s[2:3], 0x0
	s_waitcnt lgkmcnt(0)
	s_ashr_i32 s17, s16, 31
	s_lshl_b64 s[8:9], s[16:17], 2
	s_add_u32 s2, s4, s8
	s_addc_u32 s3, s5, s9
	s_load_dword s30, s[2:3], 0x0
	s_load_dword s17, s[0:1], 0x48
	s_waitcnt lgkmcnt(0)
	s_cmp_lg_u32 s30, -1
	s_cbranch_scc0 .LBB4_96
; %bb.1:
	s_load_dwordx4 s[12:15], s[0:1], 0x10
	s_load_dwordx2 s[18:19], s[0:1], 0x20
	v_mad_u32_u24 v8, v7, 3, v6
	v_mul_u32_u24_e32 v9, 3, v7
	s_waitcnt lgkmcnt(0)
	s_add_u32 s2, s12, s8
	s_addc_u32 s3, s13, s9
	s_load_dword s26, s[2:3], 0x0
	s_waitcnt lgkmcnt(0)
	s_sub_i32 s31, s26, s17
	v_add_u32_e32 v0, s31, v8
	v_cmp_ge_i32_e32 vcc, s30, v0
	s_and_saveexec_b64 s[20:21], vcc
	s_cbranch_execz .LBB4_14
; %bb.2:
	v_add_u32_e32 v1, s26, v6
	v_add_u32_e32 v2, v1, v9
	v_subrev_u32_e32 v2, s17, v2
	v_add_u32_e32 v2, 9, v2
	s_add_i32 s2, s30, 1
	v_max_i32_e32 v2, s2, v2
	v_add_u32_e32 v2, s17, v2
	v_sub_u32_e32 v1, v2, v1
	v_add_u32_e32 v1, -9, v1
	v_cmp_ne_u32_e32 vcc, v1, v9
	s_mov_b64 s[22:23], -1
	s_nop 0
	v_addc_co_u32_e64 v2, s[2:3], 0, v9, vcc
	v_sub_u32_e32 v1, v1, v2
	s_mov_b32 s2, 0x38e38e39
	v_mul_hi_u32 v1, v1, s2
	v_lshrrev_b32_e32 v1, 1, v1
	v_addc_co_u32_e32 v4, vcc, 0, v1, vcc
	v_cmp_ne_u32_e32 vcc, 0, v4
	s_and_saveexec_b64 s[2:3], vcc
	s_cbranch_execz .LBB4_11
; %bb.3:
	v_add_u32_e32 v2, -1, v4
	v_add_u32_e32 v1, 9, v0
	v_lshrrev_b32_e32 v2, 1, v2
	v_add_u32_e32 v5, 1, v2
	v_cmp_lt_u32_e32 vcc, 14, v4
	v_mov_b64_e32 v[2:3], v[0:1]
	s_and_saveexec_b64 s[22:23], vcc
	s_cbranch_execz .LBB4_7
; %bb.4:
	v_and_b32_e32 v10, -8, v5
	s_mov_b64 s[24:25], 0
	v_mov_b64_e32 v[2:3], v[0:1]
.LBB4_5:                                ; =>This Inner Loop Header: Depth=1
	v_ashrrev_i32_e32 v15, 31, v2
	v_mov_b32_e32 v14, v2
	v_ashrrev_i32_e32 v13, 31, v3
	v_mov_b32_e32 v12, v3
	v_add_u32_e32 v16, 18, v2
	v_add_u32_e32 v18, 18, v3
	v_lshl_add_u64 v[14:15], v[14:15], 2, s[14:15]
	v_add_u32_e32 v20, 36, v2
	v_add_u32_e32 v22, 36, v3
	;; [unrolled: 1-line block ×12, first 2 shown]
	v_lshl_add_u64 v[12:13], v[12:13], 2, s[14:15]
	v_ashrrev_i32_e32 v19, 31, v18
	v_ashrrev_i32_e32 v17, 31, v16
	global_load_dword v1, v[14:15], off
	global_load_dword v11, v[12:13], off
	v_ashrrev_i32_e32 v23, 31, v22
	v_ashrrev_i32_e32 v21, 31, v20
	;; [unrolled: 1-line block ×12, first 2 shown]
	v_lshl_add_u64 v[12:13], v[16:17], 2, s[14:15]
	v_lshl_add_u64 v[14:15], v[18:19], 2, s[14:15]
	;; [unrolled: 1-line block ×13, first 2 shown]
	global_load_dword v17, v[14:15], off
	v_lshl_add_u64 v[14:15], v[42:43], 2, s[14:15]
	global_load_dword v19, v[12:13], off
	global_load_dword v21, v[46:47], off
	;; [unrolled: 1-line block ×13, first 2 shown]
	v_subrev_u32_e32 v13, s31, v2
	v_add_u32_e32 v10, -8, v10
	v_subrev_u32_e32 v12, s31, v3
	v_lshlrev_b32_e32 v13, 2, v13
	v_subrev_u32_e32 v15, s31, v16
	v_cmp_eq_u32_e32 vcc, 0, v10
	v_add_u32_e32 v3, 0x90, v3
	v_add_u32_e32 v2, 0x90, v2
	v_lshlrev_b32_e32 v12, 2, v12
	v_subrev_u32_e32 v14, s31, v18
	v_subrev_u32_e32 v16, s31, v22
	;; [unrolled: 1-line block ×13, first 2 shown]
	v_lshlrev_b32_e32 v15, 2, v15
	s_or_b64 s[24:25], vcc, s[24:25]
	v_lshlrev_b32_e32 v14, 2, v14
	v_lshlrev_b32_e32 v18, 2, v18
	v_lshlrev_b32_e32 v16, 2, v16
	v_lshlrev_b32_e32 v22, 2, v22
	v_lshlrev_b32_e32 v20, 2, v20
	v_lshlrev_b32_e32 v26, 2, v26
	v_lshlrev_b32_e32 v24, 2, v24
	v_lshlrev_b32_e32 v30, 2, v30
	v_lshlrev_b32_e32 v28, 2, v28
	v_lshlrev_b32_e32 v34, 2, v34
	v_lshlrev_b32_e32 v32, 2, v32
	v_lshlrev_b32_e32 v38, 2, v38
	v_lshlrev_b32_e32 v36, 2, v36
	s_waitcnt vmcnt(15)
	v_subrev_u32_e32 v1, s17, v1
	s_waitcnt vmcnt(14)
	v_subrev_u32_e32 v11, s17, v11
	ds_write_b32 v13, v1 offset:256
	ds_write_b32 v12, v11 offset:256
	s_waitcnt vmcnt(12)
	v_subrev_u32_e32 v11, s17, v19
	s_waitcnt vmcnt(11)
	v_subrev_u32_e32 v12, s17, v21
	;; [unrolled: 2-line block ×8, first 2 shown]
	v_subrev_u32_e32 v1, s17, v17
	v_subrev_u32_e32 v17, s17, v25
	;; [unrolled: 1-line block ×3, first 2 shown]
	s_waitcnt vmcnt(2)
	v_subrev_u32_e32 v31, s17, v39
	s_waitcnt vmcnt(1)
	v_subrev_u32_e32 v33, s17, v41
	;; [unrolled: 2-line block ×3, first 2 shown]
	ds_write_b32 v15, v11 offset:256
	ds_write_b32 v14, v1 offset:256
	;; [unrolled: 1-line block ×14, first 2 shown]
	s_andn2_b64 exec, exec, s[24:25]
	s_cbranch_execnz .LBB4_5
; %bb.6:
	s_or_b64 exec, exec, s[24:25]
.LBB4_7:
	s_or_b64 exec, exec, s[22:23]
	v_and_b32_e32 v1, 7, v5
	v_cmp_ne_u32_e32 vcc, 0, v1
	s_and_saveexec_b64 s[22:23], vcc
	s_cbranch_execz .LBB4_10
; %bb.8:
	v_sub_u32_e32 v1, 0, v1
	s_mov_b64 s[24:25], 0
.LBB4_9:                                ; =>This Inner Loop Header: Depth=1
	v_ashrrev_i32_e32 v11, 31, v3
	v_mov_b32_e32 v10, v3
	v_ashrrev_i32_e32 v13, 31, v2
	v_mov_b32_e32 v12, v2
	v_lshl_add_u64 v[10:11], v[10:11], 2, s[14:15]
	v_lshl_add_u64 v[12:13], v[12:13], 2, s[14:15]
	global_load_dword v5, v[10:11], off
	global_load_dword v14, v[12:13], off
	v_subrev_u32_e32 v11, s31, v2
	v_add_co_u32_e32 v1, vcc, 1, v1
	v_subrev_u32_e32 v10, s31, v3
	v_add_u32_e32 v3, 18, v3
	v_add_u32_e32 v2, 18, v2
	v_lshlrev_b32_e32 v11, 2, v11
	s_or_b64 s[24:25], vcc, s[24:25]
	v_lshlrev_b32_e32 v10, 2, v10
	s_waitcnt vmcnt(1)
	v_subrev_u32_e32 v5, s17, v5
	s_waitcnt vmcnt(0)
	v_subrev_u32_e32 v12, s17, v14
	ds_write_b32 v11, v12 offset:256
	ds_write_b32 v10, v5 offset:256
	s_andn2_b64 exec, exec, s[24:25]
	s_cbranch_execnz .LBB4_9
.LBB4_10:
	s_or_b64 exec, exec, s[22:23]
	v_add_u32_e32 v2, 1, v4
	v_and_b32_e32 v3, 0x7ffffffe, v2
	v_mad_u64_u32 v[0:1], s[22:23], v3, 9, v[0:1]
	v_cmp_ne_u32_e32 vcc, v2, v3
	s_orn2_b64 s[22:23], vcc, exec
.LBB4_11:
	s_or_b64 exec, exec, s[2:3]
	s_and_b64 exec, exec, s[22:23]
	s_cbranch_execz .LBB4_14
; %bb.12:
	v_add_u32_e32 v1, s17, v0
	v_subrev_u32_e32 v1, s26, v1
	v_mov_b32_e32 v2, 0x100
	v_lshl_add_u32 v4, v1, 2, v2
	v_ashrrev_i32_e32 v1, 31, v0
	v_lshl_add_u64 v[2:3], v[0:1], 2, s[14:15]
	s_mov_b64 s[2:3], 0
.LBB4_13:                               ; =>This Inner Loop Header: Depth=1
	global_load_dword v1, v[2:3], off
	v_add_u32_e32 v0, 9, v0
	v_cmp_lt_i32_e32 vcc, s30, v0
	v_lshl_add_u64 v[2:3], v[2:3], 0, 36
	s_or_b64 s[2:3], vcc, s[2:3]
	s_waitcnt vmcnt(0)
	v_subrev_u32_e32 v1, s17, v1
	ds_write_b32 v4, v1
	v_add_u32_e32 v4, 36, v4
	s_andn2_b64 exec, exec, s[2:3]
	s_cbranch_execnz .LBB4_13
.LBB4_14:
	s_or_b64 exec, exec, s[20:21]
	s_load_dword s33, s[0:1], 0x0
	v_mov_b32_e32 v0, 0x210
	v_lshl_add_u32 v11, v7, 4, v0
	v_lshl_add_u32 v10, v6, 2, v11
	v_mov_b32_e32 v12, 0
	s_cmp_ge_i32 s31, s30
	v_mad_u32_u24 v1, v6, 3, v7
	ds_write_b32 v10, v12
	s_waitcnt lgkmcnt(0)
	s_cbranch_scc1 .LBB4_64
; %bb.15:
	s_cmp_lg_u32 s33, 0
	v_lshlrev_b32_e32 v2, 4, v7
	v_lshlrev_b32_e32 v3, 2, v6
	s_movk_i32 s0, 0x180
	s_cselect_b64 s[2:3], -1, 0
	s_cmp_eq_u32 s33, 0
	v_add_u32_e32 v14, 0x1e0, v2
	v_add3_u32 v16, v2, v3, s0
	v_add_u32_e32 v21, 0x1b0, v2
	v_mov_b32_e32 v2, 0x1e0
	v_mad_u32_u24 v0, v6, 3, v7
	v_lshl_add_u32 v23, v6, 4, v2
	v_or_b32_e32 v2, v6, v7
	s_cselect_b64 vcc, -1, 0
	v_mul_u32_u24_e32 v13, 3, v6
	v_add_u32_e32 v15, v14, v3
	v_add_u32_e32 v17, 3, v6
	;; [unrolled: 1-line block ×6, first 2 shown]
	v_cmp_ne_u32_e64 s[0:1], 0, v2
	v_cndmask_b32_e32 v0, v0, v8, vcc
	s_mov_b32 s20, s31
	s_branch .LBB4_18
.LBB4_16:                               ;   in Loop: Header=BB4_18 Depth=1
	s_or_b64 exec, exec, s[24:25]
	v_mov_b32_e32 v5, 1.0
.LBB4_17:                               ;   in Loop: Header=BB4_18 Depth=1
	s_or_b64 exec, exec, s[22:23]
	ds_read_b64 v[24:25], v12 offset:416
	ds_read_b64 v[26:27], v14
	ds_read_b32 v28, v21 offset:8
	s_add_i32 s20, s20, 1
	s_cmp_ge_i32 s20, s30
	s_waitcnt lgkmcnt(0)
	v_fmac_f32_e32 v28, v24, v26
	v_fmac_f32_e32 v28, v25, v27
	v_sub_f32_e32 v4, v4, v28
	v_div_scale_f32 v24, s[22:23], v5, v5, v4
	v_rcp_f32_e32 v25, v24
	v_div_scale_f32 v26, vcc, v4, v5, v4
	s_cselect_b64 s[22:23], -1, 0
	v_fma_f32 v27, -v24, v25, 1.0
	v_fmac_f32_e32 v25, v27, v25
	v_mul_f32_e32 v27, v26, v25
	v_fma_f32 v28, -v24, v27, v26
	v_fmac_f32_e32 v27, v28, v25
	v_fma_f32 v24, -v24, v27, v26
	v_div_fmas_f32 v24, v24, v25, v27
	v_div_fixup_f32 v4, v24, v5, v4
	ds_write_b32 v14, v4 offset:8
	s_waitcnt lgkmcnt(0)
	ds_read_b32 v5, v23 offset:8
	ds_read_b32 v24, v10
	s_waitcnt lgkmcnt(0)
	v_fmac_f32_e32 v24, v4, v5
	ds_write_b32 v10, v24
	s_waitcnt lgkmcnt(0)
	ds_read_b32 v4, v15
	s_waitcnt lgkmcnt(0)
	global_store_dword v[2:3], v4, off
	buffer_wbl2 sc1
	s_waitcnt vmcnt(0)
	buffer_inv sc1
	s_and_b64 vcc, exec, s[22:23]
	s_cbranch_vccnz .LBB4_64
.LBB4_18:                               ; =>This Loop Header: Depth=1
                                        ;     Child Loop BB4_21 Depth 2
                                        ;     Child Loop BB4_32 Depth 2
	;; [unrolled: 1-line block ×3, first 2 shown]
	s_ashr_i32 s21, s20, 31
	s_lshl_b64 s[22:23], s[20:21], 2
	s_add_u32 s22, s14, s22
	s_addc_u32 s23, s15, s23
	s_load_dword s21, s[22:23], 0x0
	s_waitcnt lgkmcnt(0)
	s_sub_i32 s24, s21, s17
	s_ashr_i32 s25, s24, 31
	s_lshl_b64 s[22:23], s[24:25], 2
	s_add_u32 s26, s4, s22
	s_addc_u32 s27, s5, s23
	s_load_dword s25, s[26:27], 0x0
	s_waitcnt lgkmcnt(0)
	s_cmp_eq_u32 s25, -1
	s_cbranch_scc1 .LBB4_45
; %bb.19:                               ;   in Loop: Header=BB4_18 Depth=1
	v_mad_u64_u32 v[2:3], s[26:27], s20, 9, v[0:1]
	v_ashrrev_i32_e32 v3, 31, v2
	v_lshl_add_u64 v[2:3], v[2:3], 2, s[18:19]
	global_load_dword v4, v[2:3], off
	s_add_u32 s26, s12, s22
	s_addc_u32 s27, s13, s23
	s_load_dword s26, s[26:27], 0x0
	ds_read_b32 v5, v12 offset:256
	s_mov_b32 s27, 0
	s_waitcnt lgkmcnt(0)
	s_sub_i32 s26, s26, s17
	s_cmp_le_i32 s26, s25
	v_cmp_ge_i32_e32 vcc, s24, v5
	s_cselect_b64 s[28:29], -1, 0
	s_and_b64 s[28:29], s[28:29], vcc
	s_andn2_b64 vcc, exec, s[28:29]
	s_waitcnt vmcnt(0)
	ds_write_b32 v15, v4
	s_cbranch_vccnz .LBB4_31
; %bb.20:                               ;   in Loop: Header=BB4_18 Depth=1
	s_mov_b32 s34, 0
	s_mov_b32 s35, 0
.LBB4_21:                               ;   Parent Loop BB4_18 Depth=1
                                        ; =>  This Inner Loop Header: Depth=2
	s_ashr_i32 s27, s26, 31
	s_lshl_b64 s[28:29], s[26:27], 2
	s_add_u32 s28, s14, s28
	s_addc_u32 s29, s15, s29
	s_load_dword s27, s[28:29], 0x0
	s_lshl_b32 s28, s35, 2
	v_mov_b32_e32 v4, s28
	ds_read_b32 v4, v4 offset:256
	s_mov_b64 s[28:29], -1
	s_waitcnt lgkmcnt(0)
	s_sub_i32 s39, s27, s17
                                        ; implicit-def: $sgpr27
                                        ; implicit-def: $sgpr38
                                        ; implicit-def: $sgpr37
	v_cmp_ge_i32_e32 vcc, s39, v4
	v_readfirstlane_b32 s36, v4
	s_cbranch_vccz .LBB4_27
; %bb.22:                               ;   in Loop: Header=BB4_21 Depth=2
	s_cmp_le_i32 s39, s36
                                        ; implicit-def: $sgpr27
                                        ; implicit-def: $sgpr38
                                        ; implicit-def: $sgpr37
	s_cbranch_scc0 .LBB4_24
; %bb.23:                               ;   in Loop: Header=BB4_21 Depth=2
	s_add_i32 s27, s35, s31
	s_mul_i32 s27, s27, 9
	s_lshl_b32 s28, s34, 2
	v_mov_b32_e32 v5, s27
	s_mul_i32 s27, s26, 9
	v_mov_b32_e32 v4, s28
	v_mov_b32_e32 v24, s27
	ds_write2_b32 v4, v24, v5 offset1:32
	s_add_i32 s37, s35, 1
	s_add_i32 s38, s26, 1
	;; [unrolled: 1-line block ×3, first 2 shown]
	s_mov_b64 s[28:29], 0
.LBB4_24:                               ;   in Loop: Header=BB4_21 Depth=2
	s_andn2_b64 vcc, exec, s[28:29]
	s_cbranch_vccnz .LBB4_26
; %bb.25:                               ;   in Loop: Header=BB4_21 Depth=2
	s_add_i32 s37, s35, 1
	s_mov_b32 s27, s34
	s_mov_b32 s38, s26
.LBB4_26:                               ;   in Loop: Header=BB4_21 Depth=2
	s_mov_b64 s[28:29], 0
.LBB4_27:                               ;   in Loop: Header=BB4_21 Depth=2
	s_andn2_b64 vcc, exec, s[28:29]
	s_cbranch_vccnz .LBB4_29
; %bb.28:                               ;   in Loop: Header=BB4_21 Depth=2
	s_add_i32 s38, s26, 1
	s_mov_b32 s37, s35
	s_mov_b32 s27, s34
.LBB4_29:                               ;   in Loop: Header=BB4_21 Depth=2
	s_cmp_le_i32 s38, s25
	s_cselect_b64 s[28:29], -1, 0
	s_cmp_le_i32 s36, s24
	s_cselect_b64 s[34:35], -1, 0
	s_and_b64 s[28:29], s[28:29], s[34:35]
	s_and_b64 vcc, exec, s[28:29]
	s_cbranch_vccz .LBB4_31
; %bb.30:                               ;   in Loop: Header=BB4_21 Depth=2
	s_mov_b32 s34, s27
	s_mov_b32 s26, s38
	;; [unrolled: 1-line block ×3, first 2 shown]
	s_branch .LBB4_21
.LBB4_31:                               ;   in Loop: Header=BB4_18 Depth=1
	s_add_u32 s22, s6, s22
	s_addc_u32 s23, s7, s23
	s_waitcnt lgkmcnt(0)
.LBB4_32:                               ;   Parent Loop BB4_18 Depth=1
                                        ; =>  This Inner Loop Header: Depth=2
	global_load_dword v4, v12, s[22:23] sc1
	s_waitcnt vmcnt(0)
	v_cmp_eq_u32_e32 vcc, 0, v4
	s_cbranch_vccnz .LBB4_32
; %bb.33:                               ;   in Loop: Header=BB4_18 Depth=1
	v_mad_u64_u32 v[4:5], s[22:23], s25, 9, v[0:1]
	v_ashrrev_i32_e32 v5, 31, v4
	v_lshl_add_u64 v[4:5], v[4:5], 2, s[18:19]
	buffer_inv sc1
	global_load_dword v4, v[4:5], off
	s_cmp_lt_i32 s27, 2
	v_mov_b32_e32 v24, 0
	s_waitcnt vmcnt(0)
	ds_write_b32 v16, v4
	s_waitcnt lgkmcnt(0)
	s_cbranch_scc1 .LBB4_53
; %bb.34:                               ;   in Loop: Header=BB4_18 Depth=1
	s_add_i32 s24, s27, -1
	s_cmp_eq_u32 s27, 2
	s_cbranch_scc1 .LBB4_46
; %bb.35:                               ;   in Loop: Header=BB4_18 Depth=1
	s_and_b32 s25, s24, -2
	s_mov_b32 s26, 0
	v_mov_b32_e32 v24, 0
	s_mov_b32 s27, 0
	s_branch .LBB4_37
.LBB4_36:                               ;   in Loop: Header=BB4_37 Depth=2
	s_add_i32 s27, s27, 2
	s_add_i32 s26, s26, 8
	s_cmp_eq_u32 s25, s27
	s_cbranch_scc1 .LBB4_47
.LBB4_37:                               ;   Parent Loop BB4_18 Depth=1
                                        ; =>  This Inner Loop Header: Depth=2
	s_waitcnt lgkmcnt(0)
	v_mov_b32_e32 v4, s26
	ds_read2_b32 v[4:5], v4 offset1:32
	s_mov_b64 s[22:23], -1
	s_and_b64 vcc, exec, s[2:3]
                                        ; implicit-def: $vgpr25
	s_cbranch_vccz .LBB4_39
; %bb.38:                               ;   in Loop: Header=BB4_37 Depth=2
	s_waitcnt lgkmcnt(0)
	v_add_u32_e32 v26, v4, v6
	v_ashrrev_i32_e32 v27, 31, v26
	v_add_u32_e32 v28, v5, v7
	v_add_u32_e32 v30, v17, v4
	;; [unrolled: 1-line block ×5, first 2 shown]
	v_lshl_add_u64 v[26:27], v[26:27], 2, s[18:19]
	v_ashrrev_i32_e32 v29, 31, v28
	v_ashrrev_i32_e32 v31, 31, v30
	;; [unrolled: 1-line block ×5, first 2 shown]
	v_lshl_add_u64 v[28:29], v[28:29], 2, s[18:19]
	v_lshl_add_u64 v[30:31], v[30:31], 2, s[18:19]
	;; [unrolled: 1-line block ×5, first 2 shown]
	global_load_dword v25, v[26:27], off
	global_load_dword v38, v[28:29], off
	global_load_dword v39, v[30:31], off
	global_load_dword v40, v[32:33], off
	global_load_dword v41, v[34:35], off
	global_load_dword v42, v[36:37], off
	s_mov_b64 s[22:23], 0
	s_waitcnt vmcnt(4)
	v_fma_f32 v25, v25, v38, v24
	s_waitcnt vmcnt(2)
	v_fmac_f32_e32 v25, v39, v40
	s_waitcnt vmcnt(0)
	v_fmac_f32_e32 v25, v41, v42
.LBB4_39:                               ;   in Loop: Header=BB4_37 Depth=2
	s_andn2_b64 vcc, exec, s[22:23]
	s_cbranch_vccnz .LBB4_41
; %bb.40:                               ;   in Loop: Header=BB4_37 Depth=2
	s_waitcnt lgkmcnt(0)
	v_add_u32_e32 v26, v4, v13
	v_ashrrev_i32_e32 v27, 31, v26
	v_add_u32_e32 v4, v5, v9
	v_lshl_add_u64 v[34:35], v[26:27], 2, s[18:19]
	v_ashrrev_i32_e32 v5, 31, v4
	v_lshl_add_u64 v[4:5], v[4:5], 2, s[18:19]
	global_load_dwordx3 v[26:28], v[34:35], off
	global_load_dwordx3 v[30:32], v[4:5], off
	s_waitcnt vmcnt(0)
	v_fmac_f32_e32 v24, v26, v30
	v_fmac_f32_e32 v24, v27, v31
	;; [unrolled: 1-line block ×3, first 2 shown]
	v_mov_b32_e32 v25, v24
.LBB4_41:                               ;   in Loop: Header=BB4_37 Depth=2
	s_waitcnt lgkmcnt(0)
	v_mov_b32_e32 v4, s26
	ds_read2_b32 v[4:5], v4 offset0:1 offset1:33
	s_andn2_b64 vcc, exec, s[2:3]
	s_mov_b64 s[22:23], -1
                                        ; implicit-def: $vgpr24
	s_cbranch_vccnz .LBB4_43
; %bb.42:                               ;   in Loop: Header=BB4_37 Depth=2
	s_waitcnt lgkmcnt(0)
	v_add_u32_e32 v26, v4, v6
	v_ashrrev_i32_e32 v27, 31, v26
	v_add_u32_e32 v28, v5, v7
	v_add_u32_e32 v30, v17, v4
	;; [unrolled: 1-line block ×5, first 2 shown]
	v_lshl_add_u64 v[26:27], v[26:27], 2, s[18:19]
	v_ashrrev_i32_e32 v29, 31, v28
	v_ashrrev_i32_e32 v31, 31, v30
	;; [unrolled: 1-line block ×5, first 2 shown]
	v_lshl_add_u64 v[28:29], v[28:29], 2, s[18:19]
	v_lshl_add_u64 v[30:31], v[30:31], 2, s[18:19]
	;; [unrolled: 1-line block ×5, first 2 shown]
	global_load_dword v24, v[26:27], off
	global_load_dword v38, v[28:29], off
	;; [unrolled: 1-line block ×6, first 2 shown]
	s_mov_b64 s[22:23], 0
	s_waitcnt vmcnt(4)
	v_fma_f32 v24, v24, v38, v25
	s_waitcnt vmcnt(2)
	v_fmac_f32_e32 v24, v39, v40
	s_waitcnt vmcnt(0)
	v_fmac_f32_e32 v24, v41, v42
.LBB4_43:                               ;   in Loop: Header=BB4_37 Depth=2
	s_andn2_b64 vcc, exec, s[22:23]
	s_cbranch_vccnz .LBB4_36
; %bb.44:                               ;   in Loop: Header=BB4_37 Depth=2
	s_waitcnt lgkmcnt(0)
	v_add_u32_e32 v26, v4, v13
	v_ashrrev_i32_e32 v27, 31, v26
	v_add_u32_e32 v4, v5, v9
	v_lshl_add_u64 v[34:35], v[26:27], 2, s[18:19]
	v_ashrrev_i32_e32 v5, 31, v4
	v_lshl_add_u64 v[4:5], v[4:5], 2, s[18:19]
	global_load_dwordx3 v[26:28], v[34:35], off
	global_load_dwordx3 v[30:32], v[4:5], off
	s_waitcnt vmcnt(0)
	v_fmac_f32_e32 v25, v26, v30
	v_fmac_f32_e32 v25, v27, v31
	;; [unrolled: 1-line block ×3, first 2 shown]
	v_mov_b32_e32 v24, v25
	s_branch .LBB4_36
.LBB4_45:                               ;   in Loop: Header=BB4_18 Depth=1
                                        ; implicit-def: $sgpr20
	s_cbranch_execz .LBB4_18
	s_branch .LBB4_64
.LBB4_46:                               ;   in Loop: Header=BB4_18 Depth=1
	v_mov_b32_e32 v24, 0
	s_mov_b32 s25, 0
.LBB4_47:                               ;   in Loop: Header=BB4_18 Depth=1
	s_bitcmp0_b32 s24, 0
	s_cbranch_scc1 .LBB4_53
; %bb.48:                               ;   in Loop: Header=BB4_18 Depth=1
	s_lshl_b32 s22, s25, 2
	s_waitcnt lgkmcnt(0)
	v_mov_b32_e32 v4, s22
	ds_read2_b32 v[4:5], v4 offset1:32
	s_andn2_b64 vcc, exec, s[2:3]
	s_mov_b64 s[22:23], -1
                                        ; implicit-def: $vgpr25
	s_cbranch_vccnz .LBB4_50
; %bb.49:                               ;   in Loop: Header=BB4_18 Depth=1
	s_waitcnt lgkmcnt(0)
	v_add_u32_e32 v26, v4, v6
	v_ashrrev_i32_e32 v27, 31, v26
	v_add_u32_e32 v28, v5, v7
	v_add_u32_e32 v30, v17, v4
	;; [unrolled: 1-line block ×5, first 2 shown]
	v_lshl_add_u64 v[26:27], v[26:27], 2, s[18:19]
	v_ashrrev_i32_e32 v29, 31, v28
	v_ashrrev_i32_e32 v31, 31, v30
	;; [unrolled: 1-line block ×5, first 2 shown]
	v_lshl_add_u64 v[28:29], v[28:29], 2, s[18:19]
	v_lshl_add_u64 v[30:31], v[30:31], 2, s[18:19]
	;; [unrolled: 1-line block ×5, first 2 shown]
	global_load_dword v25, v[26:27], off
	global_load_dword v38, v[28:29], off
	;; [unrolled: 1-line block ×6, first 2 shown]
	s_mov_b64 s[22:23], 0
	s_waitcnt vmcnt(4)
	v_fma_f32 v25, v25, v38, v24
	s_waitcnt vmcnt(2)
	v_fmac_f32_e32 v25, v39, v40
	s_waitcnt vmcnt(0)
	v_fmac_f32_e32 v25, v41, v42
.LBB4_50:                               ;   in Loop: Header=BB4_18 Depth=1
	s_andn2_b64 vcc, exec, s[22:23]
	s_cbranch_vccnz .LBB4_52
; %bb.51:                               ;   in Loop: Header=BB4_18 Depth=1
	s_waitcnt lgkmcnt(0)
	v_add_u32_e32 v26, v4, v13
	v_ashrrev_i32_e32 v27, 31, v26
	v_add_u32_e32 v4, v5, v9
	v_lshl_add_u64 v[34:35], v[26:27], 2, s[18:19]
	v_ashrrev_i32_e32 v5, 31, v4
	v_lshl_add_u64 v[4:5], v[4:5], 2, s[18:19]
	global_load_dwordx3 v[26:28], v[34:35], off
	global_load_dwordx3 v[30:32], v[4:5], off
	s_waitcnt vmcnt(0)
	v_fmac_f32_e32 v24, v26, v30
	v_fmac_f32_e32 v24, v27, v31
	;; [unrolled: 1-line block ×3, first 2 shown]
	v_mov_b32_e32 v25, v24
.LBB4_52:                               ;   in Loop: Header=BB4_18 Depth=1
	v_mov_b32_e32 v24, v25
.LBB4_53:                               ;   in Loop: Header=BB4_18 Depth=1
	ds_write_b32 v22, v24
	s_waitcnt lgkmcnt(0)
	ds_read_b32 v5, v12 offset:384
	ds_read_b32 v4, v14
	s_waitcnt lgkmcnt(1)
	v_cmp_neq_f32_e32 vcc, 0, v5
	s_nop 1
	v_cndmask_b32_e32 v5, 1.0, v5, vcc
	s_nor_b64 s[24:25], vcc, s[0:1]
	s_and_saveexec_b64 s[22:23], s[24:25]
	s_cbranch_execz .LBB4_57
; %bb.54:                               ;   in Loop: Header=BB4_18 Depth=1
	v_mbcnt_lo_u32_b32 v5, exec_lo, 0
	v_mbcnt_hi_u32_b32 v5, exec_hi, v5
	v_cmp_eq_u32_e32 vcc, 0, v5
	s_and_saveexec_b64 s[24:25], vcc
	s_cbranch_execz .LBB4_56
; %bb.55:                               ;   in Loop: Header=BB4_18 Depth=1
	v_mov_b32_e32 v5, s21
	global_atomic_smin v12, v5, s[10:11]
.LBB4_56:                               ;   in Loop: Header=BB4_18 Depth=1
	s_or_b64 exec, exec, s[24:25]
	v_mov_b32_e32 v5, 1.0
.LBB4_57:                               ;   in Loop: Header=BB4_18 Depth=1
	s_or_b64 exec, exec, s[22:23]
	ds_read_b32 v24, v21
	s_waitcnt lgkmcnt(0)
	v_sub_f32_e32 v4, v4, v24
	v_div_scale_f32 v24, s[22:23], v5, v5, v4
	v_rcp_f32_e32 v25, v24
	v_div_scale_f32 v26, vcc, v4, v5, v4
	v_fma_f32 v27, -v24, v25, 1.0
	v_fmac_f32_e32 v25, v27, v25
	v_mul_f32_e32 v27, v26, v25
	v_fma_f32 v28, -v24, v27, v26
	v_fmac_f32_e32 v27, v28, v25
	v_fma_f32 v24, -v24, v27, v26
	v_div_fmas_f32 v24, v24, v25, v27
	v_div_fixup_f32 v4, v24, v5, v4
	ds_write_b32 v14, v4
	s_waitcnt lgkmcnt(0)
	ds_read_b32 v5, v23
	ds_read_b32 v24, v10
	s_waitcnt lgkmcnt(0)
	v_fmac_f32_e32 v24, v4, v5
	ds_write_b32 v10, v24
	s_waitcnt lgkmcnt(0)
	ds_read_b32 v5, v12 offset:404
	ds_read_b32 v4, v14 offset:4
	s_waitcnt lgkmcnt(1)
	v_cmp_neq_f32_e32 vcc, 0, v5
	s_nop 1
	v_cndmask_b32_e32 v5, 1.0, v5, vcc
	s_nor_b64 s[24:25], vcc, s[0:1]
	s_and_saveexec_b64 s[22:23], s[24:25]
	s_cbranch_execz .LBB4_61
; %bb.58:                               ;   in Loop: Header=BB4_18 Depth=1
	v_mbcnt_lo_u32_b32 v5, exec_lo, 0
	v_mbcnt_hi_u32_b32 v5, exec_hi, v5
	v_cmp_eq_u32_e32 vcc, 0, v5
	s_and_saveexec_b64 s[24:25], vcc
	s_cbranch_execz .LBB4_60
; %bb.59:                               ;   in Loop: Header=BB4_18 Depth=1
	v_mov_b32_e32 v5, s21
	global_atomic_smin v12, v5, s[10:11]
.LBB4_60:                               ;   in Loop: Header=BB4_18 Depth=1
	s_or_b64 exec, exec, s[24:25]
	v_mov_b32_e32 v5, 1.0
.LBB4_61:                               ;   in Loop: Header=BB4_18 Depth=1
	s_or_b64 exec, exec, s[22:23]
	ds_read_b32 v24, v12 offset:400
	ds_read_b32 v25, v14
	ds_read_b32 v26, v21 offset:4
	s_waitcnt lgkmcnt(0)
	v_fmac_f32_e32 v26, v24, v25
	v_sub_f32_e32 v4, v4, v26
	v_div_scale_f32 v24, s[22:23], v5, v5, v4
	v_rcp_f32_e32 v25, v24
	v_div_scale_f32 v26, vcc, v4, v5, v4
	v_fma_f32 v27, -v24, v25, 1.0
	v_fmac_f32_e32 v25, v27, v25
	v_mul_f32_e32 v27, v26, v25
	v_fma_f32 v28, -v24, v27, v26
	v_fmac_f32_e32 v27, v28, v25
	v_fma_f32 v24, -v24, v27, v26
	v_div_fmas_f32 v24, v24, v25, v27
	v_div_fixup_f32 v4, v24, v5, v4
	ds_write_b32 v14, v4 offset:4
	s_waitcnt lgkmcnt(0)
	ds_read_b32 v5, v23 offset:4
	ds_read_b32 v24, v10
	s_waitcnt lgkmcnt(0)
	v_fmac_f32_e32 v24, v4, v5
	ds_write_b32 v10, v24
	s_waitcnt lgkmcnt(0)
	ds_read_b32 v5, v12 offset:424
	ds_read_b32 v4, v14 offset:8
	s_waitcnt lgkmcnt(1)
	v_cmp_neq_f32_e32 vcc, 0, v5
	s_nop 1
	v_cndmask_b32_e32 v5, 1.0, v5, vcc
	s_nor_b64 s[24:25], vcc, s[0:1]
	s_and_saveexec_b64 s[22:23], s[24:25]
	s_cbranch_execz .LBB4_17
; %bb.62:                               ;   in Loop: Header=BB4_18 Depth=1
	v_mbcnt_lo_u32_b32 v5, exec_lo, 0
	v_mbcnt_hi_u32_b32 v5, exec_hi, v5
	v_cmp_eq_u32_e32 vcc, 0, v5
	s_and_saveexec_b64 s[24:25], vcc
	s_cbranch_execz .LBB4_16
; %bb.63:                               ;   in Loop: Header=BB4_18 Depth=1
	v_mov_b32_e32 v5, s21
	global_atomic_smin v12, v5, s[10:11]
	s_branch .LBB4_16
.LBB4_64:
	s_cmp_lg_u32 s33, 0
	s_cselect_b64 s[4:5], -1, 0
	s_cmp_eq_u32 s33, 0
	v_mov_b32_e32 v0, v8
	s_cbranch_scc1 .LBB4_66
; %bb.65:
	v_mad_u32_u24 v0, v6, 3, v7
.LBB4_66:
	s_mul_i32 s30, s30, 9
	v_add_u32_e32 v2, s30, v0
	v_ashrrev_i32_e32 v3, 31, v2
	v_lshl_add_u64 v[2:3], v[2:3], 2, s[18:19]
	global_load_dword v3, v[2:3], off
	v_mov_b32_e32 v0, 0x1e0
	v_lshl_add_u32 v2, v7, 4, v0
	v_cmp_ne_u32_e32 vcc, 0, v7
	v_lshl_add_u32 v0, v6, 2, v2
	v_cmp_eq_u32_e64 s[0:1], 0, v7
	s_waitcnt vmcnt(0)
	ds_write_b32 v0, v3
	s_waitcnt lgkmcnt(0)
	s_and_saveexec_b64 s[12:13], s[0:1]
	s_cbranch_execz .LBB4_68
; %bb.67:
	v_mov_b32_e32 v3, 0
	ds_read2_b32 v[4:5], v3 offset0:120 offset1:132
	s_mov_b32 s2, 0xf800000
	s_waitcnt lgkmcnt(0)
	v_sub_f32_e32 v4, v4, v5
	v_cmp_gt_f32_e64 s[0:1], 0, v4
	s_nop 1
	v_cndmask_b32_e64 v4, v4, -v4, s[0:1]
	v_mul_f32_e32 v5, 0x4f800000, v4
	v_cmp_gt_f32_e64 s[0:1], s2, v4
	s_nop 1
	v_cndmask_b32_e64 v4, v4, v5, s[0:1]
	v_sqrt_f32_e32 v5, v4
	s_nop 0
	v_add_u32_e32 v9, -1, v5
	v_add_u32_e32 v12, 1, v5
	v_fma_f32 v13, -v9, v5, v4
	v_fma_f32 v14, -v12, v5, v4
	v_cmp_ge_f32_e64 s[2:3], 0, v13
	s_nop 1
	v_cndmask_b32_e64 v5, v5, v9, s[2:3]
	v_cmp_lt_f32_e64 s[2:3], 0, v14
	s_nop 1
	v_cndmask_b32_e64 v5, v5, v12, s[2:3]
	v_mul_f32_e32 v9, 0x37800000, v5
	v_cndmask_b32_e64 v5, v5, v9, s[0:1]
	v_mov_b32_e32 v9, 0x260
	v_cmp_class_f32_e64 s[0:1], v4, v9
	s_nop 1
	v_cndmask_b32_e64 v4, v5, v4, s[0:1]
	ds_write_b32 v3, v4 offset:480
.LBB4_68:
	s_or_b64 exec, exec, s[12:13]
	v_mov_b32_e32 v3, 0
	s_waitcnt lgkmcnt(0)
	ds_read_b32 v4, v3 offset:480
	v_or_b32_e32 v3, v6, v7
	v_cmp_ne_u32_e64 s[0:1], 0, v3
	s_add_i32 s20, s16, s17
	s_waitcnt lgkmcnt(0)
	v_cmp_neq_f32_e64 s[2:3], 0, v4
	s_nop 1
	v_cndmask_b32_e64 v5, 1.0, v4, s[2:3]
	s_nor_b64 s[2:3], s[2:3], s[0:1]
	s_and_saveexec_b64 s[12:13], s[2:3]
	s_cbranch_execz .LBB4_72
; %bb.69:
	v_mbcnt_lo_u32_b32 v4, exec_lo, 0
	v_mbcnt_hi_u32_b32 v4, exec_hi, v4
	v_cmp_eq_u32_e64 s[2:3], 0, v4
	s_and_saveexec_b64 s[14:15], s[2:3]
	s_cbranch_execz .LBB4_71
; %bb.70:
	v_mov_b32_e32 v4, 0
	v_mov_b32_e32 v5, s20
	global_atomic_smin v4, v5, s[10:11]
.LBB4_71:
	s_or_b64 exec, exec, s[14:15]
	v_mov_b32_e32 v5, 1.0
.LBB4_72:
	s_or_b64 exec, exec, s[12:13]
	v_mov_b32_e32 v4, 0x1e0
	v_lshl_add_u32 v4, v6, 4, v4
	s_and_saveexec_b64 s[2:3], vcc
	s_cbranch_execz .LBB4_74
; %bb.73:
	ds_read_b32 v9, v2
	ds_read_b32 v12, v11
	s_waitcnt lgkmcnt(0)
	v_sub_f32_e32 v9, v9, v12
	v_div_scale_f32 v12, s[12:13], v5, v5, v9
	v_rcp_f32_e32 v13, v12
	v_div_scale_f32 v14, vcc, v9, v5, v9
	v_fma_f32 v15, -v12, v13, 1.0
	v_fmac_f32_e32 v13, v15, v13
	v_mul_f32_e32 v15, v14, v13
	v_fma_f32 v16, -v12, v15, v14
	v_fmac_f32_e32 v15, v16, v13
	v_fma_f32 v12, -v12, v15, v14
	v_div_fmas_f32 v12, v12, v13, v15
	v_div_fixup_f32 v5, v12, v5, v9
	ds_write_b32 v2, v5
	s_waitcnt lgkmcnt(0)
	ds_read_b32 v9, v4
	ds_read_b32 v12, v10
	s_waitcnt lgkmcnt(0)
	v_fmac_f32_e32 v12, v5, v9
	ds_write_b32 v10, v12
.LBB4_74:
	s_or_b64 exec, exec, s[2:3]
	v_cmp_eq_u32_e32 vcc, 1, v7
	s_waitcnt lgkmcnt(0)
	s_and_saveexec_b64 s[12:13], vcc
	s_cbranch_execz .LBB4_76
; %bb.75:
	v_mov_b32_e32 v5, 0
	ds_read2_b32 v[12:13], v5 offset0:125 offset1:137
	s_mov_b32 s2, 0xf800000
	s_waitcnt lgkmcnt(0)
	v_sub_f32_e32 v9, v12, v13
	v_cmp_gt_f32_e32 vcc, 0, v9
	s_nop 1
	v_cndmask_b32_e64 v9, v9, -v9, vcc
	v_mul_f32_e32 v12, 0x4f800000, v9
	v_cmp_gt_f32_e32 vcc, s2, v9
	s_nop 1
	v_cndmask_b32_e32 v9, v9, v12, vcc
	v_sqrt_f32_e32 v12, v9
	s_nop 0
	v_add_u32_e32 v13, -1, v12
	v_add_u32_e32 v14, 1, v12
	v_fma_f32 v15, -v13, v12, v9
	v_fma_f32 v16, -v14, v12, v9
	v_cmp_ge_f32_e64 s[2:3], 0, v15
	s_nop 1
	v_cndmask_b32_e64 v12, v12, v13, s[2:3]
	v_cmp_lt_f32_e64 s[2:3], 0, v16
	s_nop 1
	v_cndmask_b32_e64 v12, v12, v14, s[2:3]
	v_mul_f32_e32 v13, 0x37800000, v12
	v_cndmask_b32_e32 v12, v12, v13, vcc
	v_mov_b32_e32 v13, 0x260
	v_cmp_class_f32_e32 vcc, v9, v13
	s_nop 1
	v_cndmask_b32_e32 v9, v12, v9, vcc
	ds_write_b32 v5, v9 offset:500
.LBB4_76:
	s_or_b64 exec, exec, s[12:13]
	v_mov_b32_e32 v5, 0
	s_waitcnt lgkmcnt(0)
	ds_read_b32 v5, v5 offset:500
	s_waitcnt lgkmcnt(0)
	v_cmp_neq_f32_e32 vcc, 0, v5
	s_nop 1
	v_cndmask_b32_e32 v5, 1.0, v5, vcc
	s_nor_b64 s[12:13], vcc, s[0:1]
	s_and_saveexec_b64 s[2:3], s[12:13]
	s_cbranch_execz .LBB4_80
; %bb.77:
	v_mbcnt_lo_u32_b32 v5, exec_lo, 0
	v_mbcnt_hi_u32_b32 v5, exec_hi, v5
	v_cmp_eq_u32_e32 vcc, 0, v5
	s_and_saveexec_b64 s[12:13], vcc
	s_cbranch_execz .LBB4_79
; %bb.78:
	v_mov_b32_e32 v5, 0
	v_mov_b32_e32 v9, s20
	global_atomic_smin v5, v9, s[10:11]
.LBB4_79:
	s_or_b64 exec, exec, s[12:13]
	v_mov_b32_e32 v5, 1.0
.LBB4_80:
	s_or_b64 exec, exec, s[2:3]
	v_cmp_lt_u32_e32 vcc, 1, v7
	s_and_saveexec_b64 s[2:3], vcc
	s_cbranch_execz .LBB4_82
; %bb.81:
	ds_read_b32 v9, v2 offset:4
	ds_read_b32 v12, v11 offset:4
	s_waitcnt lgkmcnt(0)
	v_sub_f32_e32 v9, v9, v12
	v_div_scale_f32 v12, s[12:13], v5, v5, v9
	v_rcp_f32_e32 v13, v12
	v_div_scale_f32 v14, vcc, v9, v5, v9
	v_fma_f32 v15, -v12, v13, 1.0
	v_fmac_f32_e32 v13, v15, v13
	v_mul_f32_e32 v15, v14, v13
	v_fma_f32 v16, -v12, v15, v14
	v_fmac_f32_e32 v15, v16, v13
	v_fma_f32 v12, -v12, v15, v14
	v_div_fmas_f32 v12, v12, v13, v15
	v_div_fixup_f32 v5, v12, v5, v9
	ds_write_b32 v2, v5 offset:4
	s_waitcnt lgkmcnt(0)
	ds_read_b32 v9, v4 offset:4
	ds_read_b32 v12, v10
	s_waitcnt lgkmcnt(0)
	v_fmac_f32_e32 v12, v5, v9
	ds_write_b32 v10, v12
.LBB4_82:
	s_or_b64 exec, exec, s[2:3]
	v_cmp_eq_u32_e32 vcc, 2, v7
	s_waitcnt lgkmcnt(0)
	s_and_saveexec_b64 s[12:13], vcc
	s_cbranch_execz .LBB4_84
; %bb.83:
	v_mov_b32_e32 v5, 0
	ds_read2_b32 v[12:13], v5 offset0:130 offset1:142
	s_mov_b32 s2, 0xf800000
	s_waitcnt lgkmcnt(0)
	v_sub_f32_e32 v9, v12, v13
	v_cmp_gt_f32_e32 vcc, 0, v9
	s_nop 1
	v_cndmask_b32_e64 v9, v9, -v9, vcc
	v_mul_f32_e32 v12, 0x4f800000, v9
	v_cmp_gt_f32_e32 vcc, s2, v9
	s_nop 1
	v_cndmask_b32_e32 v9, v9, v12, vcc
	v_sqrt_f32_e32 v12, v9
	s_nop 0
	v_add_u32_e32 v13, -1, v12
	v_add_u32_e32 v14, 1, v12
	v_fma_f32 v15, -v13, v12, v9
	v_fma_f32 v16, -v14, v12, v9
	v_cmp_ge_f32_e64 s[2:3], 0, v15
	s_nop 1
	v_cndmask_b32_e64 v12, v12, v13, s[2:3]
	v_cmp_lt_f32_e64 s[2:3], 0, v16
	s_nop 1
	v_cndmask_b32_e64 v12, v12, v14, s[2:3]
	v_mul_f32_e32 v13, 0x37800000, v12
	v_cndmask_b32_e32 v12, v12, v13, vcc
	v_mov_b32_e32 v13, 0x260
	v_cmp_class_f32_e32 vcc, v9, v13
	s_nop 1
	v_cndmask_b32_e32 v9, v12, v9, vcc
	ds_write_b32 v5, v9 offset:520
.LBB4_84:
	s_or_b64 exec, exec, s[12:13]
	v_mov_b32_e32 v5, 0
	s_waitcnt lgkmcnt(0)
	ds_read_b32 v5, v5 offset:520
	s_waitcnt lgkmcnt(0)
	v_cmp_neq_f32_e32 vcc, 0, v5
	s_nop 1
	v_cndmask_b32_e32 v5, 1.0, v5, vcc
	s_nor_b64 s[2:3], vcc, s[0:1]
	s_and_saveexec_b64 s[0:1], s[2:3]
	s_cbranch_execz .LBB4_88
; %bb.85:
	v_mbcnt_lo_u32_b32 v5, exec_lo, 0
	v_mbcnt_hi_u32_b32 v5, exec_hi, v5
	v_cmp_eq_u32_e32 vcc, 0, v5
	s_and_saveexec_b64 s[2:3], vcc
	s_cbranch_execz .LBB4_87
; %bb.86:
	v_mov_b32_e32 v5, 0
	v_mov_b32_e32 v9, s20
	global_atomic_smin v5, v9, s[10:11]
.LBB4_87:
	s_or_b64 exec, exec, s[2:3]
	v_mov_b32_e32 v5, 1.0
.LBB4_88:
	s_or_b64 exec, exec, s[0:1]
	v_cmp_lt_u32_e32 vcc, 2, v7
	s_and_saveexec_b64 s[0:1], vcc
	s_cbranch_execz .LBB4_90
; %bb.89:
	ds_read_b32 v9, v2 offset:8
	ds_read_b32 v11, v11 offset:8
	s_waitcnt lgkmcnt(0)
	v_sub_f32_e32 v9, v9, v11
	v_div_scale_f32 v11, s[2:3], v5, v5, v9
	v_rcp_f32_e32 v12, v11
	v_div_scale_f32 v13, vcc, v9, v5, v9
	v_fma_f32 v14, -v11, v12, 1.0
	v_fmac_f32_e32 v12, v14, v12
	v_mul_f32_e32 v14, v13, v12
	v_fma_f32 v15, -v11, v14, v13
	v_fmac_f32_e32 v14, v15, v12
	v_fma_f32 v11, -v11, v14, v13
	v_div_fmas_f32 v11, v11, v12, v14
	v_div_fixup_f32 v5, v11, v5, v9
	ds_write_b32 v2, v5 offset:8
	s_waitcnt lgkmcnt(0)
	ds_read_b32 v2, v4 offset:8
	ds_read_b32 v4, v10
	s_waitcnt lgkmcnt(0)
	v_fmac_f32_e32 v4, v5, v2
	ds_write_b32 v10, v4
.LBB4_90:
	s_or_b64 exec, exec, s[0:1]
	s_waitcnt lgkmcnt(0)
	ds_read_b32 v0, v0
	s_andn2_b64 vcc, exec, s[4:5]
	s_cbranch_vccnz .LBB4_92
; %bb.91:
	v_mov_b32_e32 v8, v1
.LBB4_92:
	v_add_u32_e32 v4, s30, v8
	v_ashrrev_i32_e32 v5, 31, v4
	v_lshl_add_u64 v[4:5], v[4:5], 2, s[18:19]
	v_cmp_eq_u32_e32 vcc, 0, v3
	s_waitcnt lgkmcnt(0)
	global_store_dword v[4:5], v0, off
	s_and_saveexec_b64 s[0:1], vcc
	s_cbranch_execz .LBB4_94
; %bb.93:
	s_add_u32 s2, s6, s8
	s_addc_u32 s3, s7, s9
	v_mov_b32_e32 v0, 0
	v_mov_b32_e32 v1, 1
	buffer_wbl2 sc1
	s_waitcnt vmcnt(0)
	global_store_dword v0, v1, s[2:3] sc1
.LBB4_94:
	s_or_b64 exec, exec, s[0:1]
.LBB4_95:
	s_endpgm
.LBB4_96:
	s_cbranch_execz .LBB4_95
; %bb.97:
	v_or_b32_e32 v0, v6, v7
	v_cmp_eq_u32_e32 vcc, 0, v0
	s_and_saveexec_b64 s[0:1], vcc
	s_cbranch_execz .LBB4_95
; %bb.98:
	v_mbcnt_lo_u32_b32 v0, exec_lo, 0
	v_mbcnt_hi_u32_b32 v0, exec_hi, v0
	v_cmp_eq_u32_e32 vcc, 0, v0
	s_and_saveexec_b64 s[0:1], vcc
	s_cbranch_execz .LBB4_100
; %bb.99:
	s_add_i32 s2, s16, s17
	v_mov_b32_e32 v0, 0
	v_mov_b32_e32 v1, s2
	global_atomic_smin v0, v1, s[10:11]
.LBB4_100:
	s_or_b64 exec, exec, s[0:1]
	s_add_u32 s0, s6, s8
	s_addc_u32 s1, s7, s9
	v_mov_b32_e32 v0, 0
	v_mov_b32_e32 v1, 1
	buffer_wbl2 sc1
	s_waitcnt vmcnt(0)
	global_store_dword v0, v1, s[0:1] sc1
	s_endpgm
	.section	.rodata,"a",@progbits
	.p2align	6, 0x0
	.amdhsa_kernel _ZN9rocsparseL26bsric0_2_8_unrolled_kernelILi9ELi32ELi3EfEEv20rocsparse_direction_iiPKiS3_PT2_S3_PiS3_S6_21rocsparse_index_base_
		.amdhsa_group_segment_fixed_size 576
		.amdhsa_private_segment_fixed_size 0
		.amdhsa_kernarg_size 76
		.amdhsa_user_sgpr_count 2
		.amdhsa_user_sgpr_dispatch_ptr 0
		.amdhsa_user_sgpr_queue_ptr 0
		.amdhsa_user_sgpr_kernarg_segment_ptr 1
		.amdhsa_user_sgpr_dispatch_id 0
		.amdhsa_user_sgpr_kernarg_preload_length 0
		.amdhsa_user_sgpr_kernarg_preload_offset 0
		.amdhsa_user_sgpr_private_segment_size 0
		.amdhsa_uses_dynamic_stack 0
		.amdhsa_enable_private_segment 0
		.amdhsa_system_sgpr_workgroup_id_x 1
		.amdhsa_system_sgpr_workgroup_id_y 0
		.amdhsa_system_sgpr_workgroup_id_z 0
		.amdhsa_system_sgpr_workgroup_info 0
		.amdhsa_system_vgpr_workitem_id 1
		.amdhsa_next_free_vgpr 66
		.amdhsa_next_free_sgpr 40
		.amdhsa_accum_offset 68
		.amdhsa_reserve_vcc 1
		.amdhsa_float_round_mode_32 0
		.amdhsa_float_round_mode_16_64 0
		.amdhsa_float_denorm_mode_32 3
		.amdhsa_float_denorm_mode_16_64 3
		.amdhsa_dx10_clamp 1
		.amdhsa_ieee_mode 1
		.amdhsa_fp16_overflow 0
		.amdhsa_tg_split 0
		.amdhsa_exception_fp_ieee_invalid_op 0
		.amdhsa_exception_fp_denorm_src 0
		.amdhsa_exception_fp_ieee_div_zero 0
		.amdhsa_exception_fp_ieee_overflow 0
		.amdhsa_exception_fp_ieee_underflow 0
		.amdhsa_exception_fp_ieee_inexact 0
		.amdhsa_exception_int_div_zero 0
	.end_amdhsa_kernel
	.section	.text._ZN9rocsparseL26bsric0_2_8_unrolled_kernelILi9ELi32ELi3EfEEv20rocsparse_direction_iiPKiS3_PT2_S3_PiS3_S6_21rocsparse_index_base_,"axG",@progbits,_ZN9rocsparseL26bsric0_2_8_unrolled_kernelILi9ELi32ELi3EfEEv20rocsparse_direction_iiPKiS3_PT2_S3_PiS3_S6_21rocsparse_index_base_,comdat
.Lfunc_end4:
	.size	_ZN9rocsparseL26bsric0_2_8_unrolled_kernelILi9ELi32ELi3EfEEv20rocsparse_direction_iiPKiS3_PT2_S3_PiS3_S6_21rocsparse_index_base_, .Lfunc_end4-_ZN9rocsparseL26bsric0_2_8_unrolled_kernelILi9ELi32ELi3EfEEv20rocsparse_direction_iiPKiS3_PT2_S3_PiS3_S6_21rocsparse_index_base_
                                        ; -- End function
	.set _ZN9rocsparseL26bsric0_2_8_unrolled_kernelILi9ELi32ELi3EfEEv20rocsparse_direction_iiPKiS3_PT2_S3_PiS3_S6_21rocsparse_index_base_.num_vgpr, 66
	.set _ZN9rocsparseL26bsric0_2_8_unrolled_kernelILi9ELi32ELi3EfEEv20rocsparse_direction_iiPKiS3_PT2_S3_PiS3_S6_21rocsparse_index_base_.num_agpr, 0
	.set _ZN9rocsparseL26bsric0_2_8_unrolled_kernelILi9ELi32ELi3EfEEv20rocsparse_direction_iiPKiS3_PT2_S3_PiS3_S6_21rocsparse_index_base_.numbered_sgpr, 40
	.set _ZN9rocsparseL26bsric0_2_8_unrolled_kernelILi9ELi32ELi3EfEEv20rocsparse_direction_iiPKiS3_PT2_S3_PiS3_S6_21rocsparse_index_base_.num_named_barrier, 0
	.set _ZN9rocsparseL26bsric0_2_8_unrolled_kernelILi9ELi32ELi3EfEEv20rocsparse_direction_iiPKiS3_PT2_S3_PiS3_S6_21rocsparse_index_base_.private_seg_size, 0
	.set _ZN9rocsparseL26bsric0_2_8_unrolled_kernelILi9ELi32ELi3EfEEv20rocsparse_direction_iiPKiS3_PT2_S3_PiS3_S6_21rocsparse_index_base_.uses_vcc, 1
	.set _ZN9rocsparseL26bsric0_2_8_unrolled_kernelILi9ELi32ELi3EfEEv20rocsparse_direction_iiPKiS3_PT2_S3_PiS3_S6_21rocsparse_index_base_.uses_flat_scratch, 0
	.set _ZN9rocsparseL26bsric0_2_8_unrolled_kernelILi9ELi32ELi3EfEEv20rocsparse_direction_iiPKiS3_PT2_S3_PiS3_S6_21rocsparse_index_base_.has_dyn_sized_stack, 0
	.set _ZN9rocsparseL26bsric0_2_8_unrolled_kernelILi9ELi32ELi3EfEEv20rocsparse_direction_iiPKiS3_PT2_S3_PiS3_S6_21rocsparse_index_base_.has_recursion, 0
	.set _ZN9rocsparseL26bsric0_2_8_unrolled_kernelILi9ELi32ELi3EfEEv20rocsparse_direction_iiPKiS3_PT2_S3_PiS3_S6_21rocsparse_index_base_.has_indirect_call, 0
	.section	.AMDGPU.csdata,"",@progbits
; Kernel info:
; codeLenInByte = 5612
; TotalNumSgprs: 46
; NumVgprs: 66
; NumAgprs: 0
; TotalNumVgprs: 66
; ScratchSize: 0
; MemoryBound: 0
; FloatMode: 240
; IeeeMode: 1
; LDSByteSize: 576 bytes/workgroup (compile time only)
; SGPRBlocks: 5
; VGPRBlocks: 8
; NumSGPRsForWavesPerEU: 46
; NumVGPRsForWavesPerEU: 66
; AccumOffset: 68
; Occupancy: 7
; WaveLimiterHint : 1
; COMPUTE_PGM_RSRC2:SCRATCH_EN: 0
; COMPUTE_PGM_RSRC2:USER_SGPR: 2
; COMPUTE_PGM_RSRC2:TRAP_HANDLER: 0
; COMPUTE_PGM_RSRC2:TGID_X_EN: 1
; COMPUTE_PGM_RSRC2:TGID_Y_EN: 0
; COMPUTE_PGM_RSRC2:TGID_Z_EN: 0
; COMPUTE_PGM_RSRC2:TIDIG_COMP_CNT: 1
; COMPUTE_PGM_RSRC3_GFX90A:ACCUM_OFFSET: 16
; COMPUTE_PGM_RSRC3_GFX90A:TG_SPLIT: 0
	.section	.text._ZN9rocsparseL26bsric0_2_8_unrolled_kernelILi16ELi32ELi4EfEEv20rocsparse_direction_iiPKiS3_PT2_S3_PiS3_S6_21rocsparse_index_base_,"axG",@progbits,_ZN9rocsparseL26bsric0_2_8_unrolled_kernelILi16ELi32ELi4EfEEv20rocsparse_direction_iiPKiS3_PT2_S3_PiS3_S6_21rocsparse_index_base_,comdat
	.globl	_ZN9rocsparseL26bsric0_2_8_unrolled_kernelILi16ELi32ELi4EfEEv20rocsparse_direction_iiPKiS3_PT2_S3_PiS3_S6_21rocsparse_index_base_ ; -- Begin function _ZN9rocsparseL26bsric0_2_8_unrolled_kernelILi16ELi32ELi4EfEEv20rocsparse_direction_iiPKiS3_PT2_S3_PiS3_S6_21rocsparse_index_base_
	.p2align	8
	.type	_ZN9rocsparseL26bsric0_2_8_unrolled_kernelILi16ELi32ELi4EfEEv20rocsparse_direction_iiPKiS3_PT2_S3_PiS3_S6_21rocsparse_index_base_,@function
_ZN9rocsparseL26bsric0_2_8_unrolled_kernelILi16ELi32ELi4EfEEv20rocsparse_direction_iiPKiS3_PT2_S3_PiS3_S6_21rocsparse_index_base_: ; @_ZN9rocsparseL26bsric0_2_8_unrolled_kernelILi16ELi32ELi4EfEEv20rocsparse_direction_iiPKiS3_PT2_S3_PiS3_S6_21rocsparse_index_base_
; %bb.0:
	s_load_dwordx8 s[4:11], s[0:1], 0x28
	s_mov_b32 s3, 0
	s_lshl_b64 s[2:3], s[2:3], 2
	v_and_b32_e32 v4, 0x3ff, v0
	v_bfe_u32 v5, v0, 10, 10
	s_waitcnt lgkmcnt(0)
	s_add_u32 s2, s8, s2
	s_addc_u32 s3, s9, s3
	s_load_dword s16, s[2:3], 0x0
	s_waitcnt lgkmcnt(0)
	s_ashr_i32 s17, s16, 31
	s_lshl_b64 s[8:9], s[16:17], 2
	s_add_u32 s2, s4, s8
	s_addc_u32 s3, s5, s9
	s_load_dword s30, s[2:3], 0x0
	s_load_dword s17, s[0:1], 0x48
	s_waitcnt lgkmcnt(0)
	s_cmp_lg_u32 s30, -1
	s_cbranch_scc0 .LBB5_16
; %bb.1:
	s_load_dwordx4 s[12:15], s[0:1], 0x10
	v_lshlrev_b32_e32 v7, 2, v5
	v_add_u32_e32 v6, v7, v4
	s_waitcnt lgkmcnt(0)
	s_add_u32 s2, s12, s8
	s_addc_u32 s3, s13, s9
	s_load_dword s24, s[2:3], 0x0
	s_waitcnt lgkmcnt(0)
	s_sub_i32 s31, s24, s17
	v_add_u32_e32 v0, s31, v6
	v_cmp_ge_i32_e32 vcc, s30, v0
	s_and_saveexec_b64 s[2:3], vcc
	s_cbranch_execz .LBB5_14
; %bb.2:
	v_add_u32_e32 v1, s24, v6
	v_subrev_u32_e32 v1, s17, v1
	v_add_u32_e32 v1, 16, v1
	s_add_i32 s18, s30, 1
	v_max_i32_e32 v1, s18, v1
	v_not_b32_e32 v2, v4
	v_add3_u32 v1, s17, v1, v2
	v_add_u32_e32 v2, s24, v7
	v_sub_u32_e32 v1, v1, v2
	v_cmp_lt_u32_e32 vcc, 15, v1
	s_mov_b64 s[20:21], -1
	s_and_saveexec_b64 s[18:19], vcc
	s_cbranch_execz .LBB5_11
; %bb.3:
	v_lshrrev_b32_e32 v8, 4, v1
	v_add_u32_e32 v2, -1, v8
	v_add_u32_e32 v1, 16, v0
	v_lshrrev_b32_e32 v3, 1, v2
	v_add_u32_e32 v9, 1, v3
	v_cmp_lt_u32_e32 vcc, 13, v2
	v_mov_b64_e32 v[2:3], v[0:1]
	s_and_saveexec_b64 s[20:21], vcc
	s_cbranch_execz .LBB5_7
; %bb.4:
	v_and_b32_e32 v10, -8, v9
	s_mov_b64 s[22:23], 0
	v_mov_b64_e32 v[2:3], v[0:1]
.LBB5_5:                                ; =>This Inner Loop Header: Depth=1
	v_ashrrev_i32_e32 v15, 31, v2
	v_mov_b32_e32 v14, v2
	v_ashrrev_i32_e32 v13, 31, v3
	v_mov_b32_e32 v12, v3
	v_add_u32_e32 v16, 32, v2
	v_add_u32_e32 v18, 32, v3
	v_lshl_add_u64 v[14:15], v[14:15], 2, s[14:15]
	v_add_u32_e32 v20, 64, v2
	v_add_u32_e32 v22, 64, v3
	v_add_u32_e32 v24, 0x60, v2
	v_add_u32_e32 v26, 0x60, v3
	v_add_u32_e32 v28, 0x80, v2
	v_add_u32_e32 v30, 0x80, v3
	v_add_u32_e32 v32, 0xa0, v2
	v_add_u32_e32 v34, 0xa0, v3
	v_add_u32_e32 v36, 0xc0, v2
	v_add_u32_e32 v38, 0xc0, v3
	v_add_u32_e32 v40, 0xe0, v2
	v_add_u32_e32 v42, 0xe0, v3
	v_lshl_add_u64 v[12:13], v[12:13], 2, s[14:15]
	v_ashrrev_i32_e32 v19, 31, v18
	v_ashrrev_i32_e32 v17, 31, v16
	global_load_dword v1, v[14:15], off
	global_load_dword v11, v[12:13], off
	v_ashrrev_i32_e32 v23, 31, v22
	v_ashrrev_i32_e32 v21, 31, v20
	;; [unrolled: 1-line block ×12, first 2 shown]
	v_lshl_add_u64 v[12:13], v[16:17], 2, s[14:15]
	v_lshl_add_u64 v[14:15], v[18:19], 2, s[14:15]
	;; [unrolled: 1-line block ×13, first 2 shown]
	global_load_dword v17, v[14:15], off
	v_lshl_add_u64 v[14:15], v[42:43], 2, s[14:15]
	global_load_dword v19, v[12:13], off
	global_load_dword v21, v[46:47], off
	;; [unrolled: 1-line block ×13, first 2 shown]
	v_subrev_u32_e32 v13, s31, v2
	v_add_u32_e32 v10, -8, v10
	v_subrev_u32_e32 v12, s31, v3
	v_lshlrev_b32_e32 v13, 2, v13
	v_subrev_u32_e32 v15, s31, v16
	v_cmp_eq_u32_e32 vcc, 0, v10
	v_add_u32_e32 v3, 0x100, v3
	v_add_u32_e32 v2, 0x100, v2
	v_lshlrev_b32_e32 v12, 2, v12
	v_subrev_u32_e32 v14, s31, v18
	v_subrev_u32_e32 v16, s31, v22
	;; [unrolled: 1-line block ×13, first 2 shown]
	v_lshlrev_b32_e32 v15, 2, v15
	s_or_b64 s[22:23], vcc, s[22:23]
	v_lshlrev_b32_e32 v14, 2, v14
	v_lshlrev_b32_e32 v18, 2, v18
	;; [unrolled: 1-line block ×13, first 2 shown]
	s_waitcnt vmcnt(15)
	v_subrev_u32_e32 v1, s17, v1
	s_waitcnt vmcnt(14)
	v_subrev_u32_e32 v11, s17, v11
	ds_write_b32 v13, v1 offset:256
	ds_write_b32 v12, v11 offset:256
	s_waitcnt vmcnt(12)
	v_subrev_u32_e32 v11, s17, v19
	s_waitcnt vmcnt(11)
	v_subrev_u32_e32 v12, s17, v21
	;; [unrolled: 2-line block ×8, first 2 shown]
	v_subrev_u32_e32 v1, s17, v17
	v_subrev_u32_e32 v17, s17, v25
	;; [unrolled: 1-line block ×3, first 2 shown]
	s_waitcnt vmcnt(2)
	v_subrev_u32_e32 v31, s17, v39
	s_waitcnt vmcnt(1)
	v_subrev_u32_e32 v33, s17, v41
	;; [unrolled: 2-line block ×3, first 2 shown]
	ds_write_b32 v15, v11 offset:256
	ds_write_b32 v14, v1 offset:256
	;; [unrolled: 1-line block ×14, first 2 shown]
	s_andn2_b64 exec, exec, s[22:23]
	s_cbranch_execnz .LBB5_5
; %bb.6:
	s_or_b64 exec, exec, s[22:23]
.LBB5_7:
	s_or_b64 exec, exec, s[20:21]
	v_and_b32_e32 v1, 7, v9
	v_cmp_ne_u32_e32 vcc, 0, v1
	s_and_saveexec_b64 s[20:21], vcc
	s_cbranch_execz .LBB5_10
; %bb.8:
	s_mov_b64 s[22:23], 0
.LBB5_9:                                ; =>This Inner Loop Header: Depth=1
	v_ashrrev_i32_e32 v11, 31, v3
	v_mov_b32_e32 v10, v3
	v_ashrrev_i32_e32 v13, 31, v2
	v_mov_b32_e32 v12, v2
	v_lshl_add_u64 v[10:11], v[10:11], 2, s[14:15]
	v_lshl_add_u64 v[12:13], v[12:13], 2, s[14:15]
	global_load_dword v9, v[10:11], off
	global_load_dword v14, v[12:13], off
	v_add_u32_e32 v1, -1, v1
	v_subrev_u32_e32 v11, s31, v2
	v_cmp_eq_u32_e32 vcc, 0, v1
	v_subrev_u32_e32 v10, s31, v3
	v_add_u32_e32 v3, 32, v3
	v_add_u32_e32 v2, 32, v2
	v_lshlrev_b32_e32 v11, 2, v11
	s_or_b64 s[22:23], vcc, s[22:23]
	v_lshlrev_b32_e32 v10, 2, v10
	s_waitcnt vmcnt(1)
	v_subrev_u32_e32 v9, s17, v9
	s_waitcnt vmcnt(0)
	v_subrev_u32_e32 v12, s17, v14
	ds_write_b32 v11, v12 offset:256
	ds_write_b32 v10, v9 offset:256
	s_andn2_b64 exec, exec, s[22:23]
	s_cbranch_execnz .LBB5_9
.LBB5_10:
	s_or_b64 exec, exec, s[20:21]
	v_add_u32_e32 v1, 1, v8
	v_and_b32_e32 v2, 0x1ffffffe, v1
	v_cmp_ne_u32_e32 vcc, v1, v2
	v_lshl_add_u32 v0, v2, 4, v0
	s_orn2_b64 s[20:21], vcc, exec
.LBB5_11:
	s_or_b64 exec, exec, s[18:19]
	s_and_b64 exec, exec, s[20:21]
	s_cbranch_execz .LBB5_14
; %bb.12:
	v_add_u32_e32 v1, s17, v0
	v_subrev_u32_e32 v1, s24, v1
	v_mov_b32_e32 v2, 0x100
	v_lshl_add_u32 v8, v1, 2, v2
	v_ashrrev_i32_e32 v1, 31, v0
	v_lshl_add_u64 v[2:3], v[0:1], 2, s[14:15]
	s_mov_b64 s[18:19], 0
.LBB5_13:                               ; =>This Inner Loop Header: Depth=1
	global_load_dword v1, v[2:3], off
	v_add_u32_e32 v0, 16, v0
	v_cmp_lt_i32_e32 vcc, s30, v0
	v_lshl_add_u64 v[2:3], v[2:3], 0, 64
	s_or_b64 s[18:19], vcc, s[18:19]
	s_waitcnt vmcnt(0)
	v_subrev_u32_e32 v1, s17, v1
	ds_write_b32 v8, v1
	v_add_u32_e32 v8, 64, v8
	s_andn2_b64 exec, exec, s[18:19]
	s_cbranch_execnz .LBB5_13
.LBB5_14:
	s_or_b64 exec, exec, s[2:3]
	s_load_dwordx2 s[2:3], s[0:1], 0x20
	v_mov_b32_e32 v0, 0x270
	v_mad_u32_u24 v9, v5, 20, v0
	v_lshl_add_u32 v8, v4, 2, v9
	v_mov_b32_e32 v0, 0
	s_cmp_lt_i32 s31, s30
	ds_write_b32 v8, v0
	s_waitcnt lgkmcnt(0)
	s_cbranch_scc1 .LBB5_18
; %bb.15:
	v_lshl_add_u32 v11, v4, 2, v5
	v_or_b32_e32 v10, v4, v5
	s_load_dword s33, s[0:1], 0x0
	s_cbranch_execz .LBB5_19
	s_branch .LBB5_72
.LBB5_16:
	s_cbranch_execnz .LBB5_107
.LBB5_17:
	s_endpgm
.LBB5_18:
                                        ; implicit-def: $vgpr11
                                        ; implicit-def: $vgpr10
	s_load_dword s33, s[0:1], 0x0
.LBB5_19:
	s_waitcnt lgkmcnt(0)
	s_cmp_lg_u32 s33, 0
	v_lshlrev_b32_e32 v12, 2, v4
	v_mul_u32_u24_e32 v1, 20, v5
	s_movk_i32 s0, 0x180
	s_cselect_b64 s[18:19], -1, 0
	s_cmp_eq_u32 s33, 0
	v_mov_b32_e32 v0, 0x220
	v_add3_u32 v15, v1, v12, s0
	v_mov_b32_e32 v1, 0x1d0
	v_add_u32_e32 v11, v12, v5
	v_mad_u32_u24 v13, v5, 20, v0
	v_mad_u32_u24 v22, v5, 20, v1
	v_or_b32_e32 v10, v4, v5
	s_cselect_b64 vcc, -1, 0
	v_add_u32_e32 v14, v13, v12
	v_add_u32_e32 v16, 4, v4
	;; [unrolled: 1-line block ×8, first 2 shown]
	v_mad_u32_u24 v24, v4, 20, v0
	v_cmp_ne_u32_e64 s[0:1], 0, v10
	v_cndmask_b32_e32 v25, v11, v6, vcc
	v_mov_b32_e32 v26, 0
	s_mov_b32 s20, s31
	s_branch .LBB5_22
.LBB5_20:                               ;   in Loop: Header=BB5_22 Depth=1
	s_or_b64 exec, exec, s[24:25]
	v_mov_b32_e32 v3, 1.0
.LBB5_21:                               ;   in Loop: Header=BB5_22 Depth=1
	s_or_b64 exec, exec, s[22:23]
	ds_read2_b32 v[28:29], v26 offset0:111 offset1:112
	ds_read_b32 v27, v22 offset:12
	ds_read2_b32 v[30:31], v13 offset1:1
	ds_read_b32 v32, v13 offset:8
	ds_read_b32 v33, v26 offset:452
	s_add_i32 s20, s20, 1
	s_cmp_ge_i32 s20, s30
	s_waitcnt lgkmcnt(2)
	v_fmac_f32_e32 v27, v28, v30
	v_fmac_f32_e32 v27, v29, v31
	s_waitcnt lgkmcnt(0)
	v_fmac_f32_e32 v27, v33, v32
	v_sub_f32_e32 v2, v2, v27
	v_div_scale_f32 v27, s[22:23], v3, v3, v2
	v_rcp_f32_e32 v28, v27
	v_div_scale_f32 v29, vcc, v2, v3, v2
	s_cselect_b64 s[22:23], -1, 0
	v_fma_f32 v30, -v27, v28, 1.0
	v_fmac_f32_e32 v28, v30, v28
	v_mul_f32_e32 v30, v29, v28
	v_fma_f32 v31, -v27, v30, v29
	v_fmac_f32_e32 v30, v31, v28
	v_fma_f32 v27, -v27, v30, v29
	v_div_fmas_f32 v27, v27, v28, v30
	v_div_fixup_f32 v2, v27, v3, v2
	ds_write_b32 v13, v2 offset:12
	s_waitcnt lgkmcnt(0)
	ds_read_b32 v3, v24 offset:12
	ds_read_b32 v27, v8
	s_waitcnt lgkmcnt(0)
	v_fmac_f32_e32 v27, v2, v3
	ds_write_b32 v8, v27
	s_waitcnt lgkmcnt(0)
	ds_read_b32 v2, v14
	s_waitcnt lgkmcnt(0)
	global_store_dword v[0:1], v2, off
	buffer_wbl2 sc1
	s_waitcnt vmcnt(0)
	buffer_inv sc1
	s_and_b64 vcc, exec, s[22:23]
	s_cbranch_vccnz .LBB5_72
.LBB5_22:                               ; =>This Loop Header: Depth=1
                                        ;     Child Loop BB5_25 Depth 2
                                        ;     Child Loop BB5_36 Depth 2
	;; [unrolled: 1-line block ×3, first 2 shown]
	s_ashr_i32 s21, s20, 31
	s_lshl_b64 s[22:23], s[20:21], 2
	s_add_u32 s22, s14, s22
	s_addc_u32 s23, s15, s23
	s_load_dword s21, s[22:23], 0x0
	s_waitcnt lgkmcnt(0)
	s_sub_i32 s24, s21, s17
	s_ashr_i32 s25, s24, 31
	s_lshl_b64 s[22:23], s[24:25], 2
	s_add_u32 s26, s4, s22
	s_addc_u32 s27, s5, s23
	s_load_dword s25, s[26:27], 0x0
	s_waitcnt lgkmcnt(0)
	s_cmp_eq_u32 s25, -1
	s_cbranch_scc1 .LBB5_49
; %bb.23:                               ;   in Loop: Header=BB5_22 Depth=1
	v_lshl_add_u32 v0, s20, 4, v25
	v_ashrrev_i32_e32 v1, 31, v0
	v_lshl_add_u64 v[0:1], v[0:1], 2, s[2:3]
	global_load_dword v2, v[0:1], off
	s_add_u32 s26, s12, s22
	s_addc_u32 s27, s13, s23
	s_load_dword s26, s[26:27], 0x0
	ds_read_b32 v3, v26 offset:256
	s_mov_b32 s27, 0
	s_waitcnt lgkmcnt(0)
	s_sub_i32 s26, s26, s17
	s_cmp_le_i32 s26, s25
	v_cmp_ge_i32_e32 vcc, s24, v3
	s_cselect_b64 s[28:29], -1, 0
	s_and_b64 s[28:29], s[28:29], vcc
	s_andn2_b64 vcc, exec, s[28:29]
	s_waitcnt vmcnt(0)
	ds_write_b32 v14, v2
	s_cbranch_vccnz .LBB5_35
; %bb.24:                               ;   in Loop: Header=BB5_22 Depth=1
	s_mov_b32 s34, 0
	s_mov_b32 s35, 0
.LBB5_25:                               ;   Parent Loop BB5_22 Depth=1
                                        ; =>  This Inner Loop Header: Depth=2
	s_ashr_i32 s27, s26, 31
	s_lshl_b64 s[28:29], s[26:27], 2
	s_add_u32 s28, s14, s28
	s_addc_u32 s29, s15, s29
	s_load_dword s27, s[28:29], 0x0
	s_lshl_b32 s28, s35, 2
	v_mov_b32_e32 v2, s28
	ds_read_b32 v2, v2 offset:256
	s_mov_b64 s[28:29], -1
	s_waitcnt lgkmcnt(0)
	s_sub_i32 s39, s27, s17
                                        ; implicit-def: $sgpr27
                                        ; implicit-def: $sgpr38
                                        ; implicit-def: $sgpr37
	v_cmp_ge_i32_e32 vcc, s39, v2
	v_readfirstlane_b32 s36, v2
	s_cbranch_vccz .LBB5_31
; %bb.26:                               ;   in Loop: Header=BB5_25 Depth=2
	s_cmp_le_i32 s39, s36
                                        ; implicit-def: $sgpr27
                                        ; implicit-def: $sgpr38
                                        ; implicit-def: $sgpr37
	s_cbranch_scc0 .LBB5_28
; %bb.27:                               ;   in Loop: Header=BB5_25 Depth=2
	s_add_i32 s27, s35, s31
	s_lshl_b32 s27, s27, 4
	s_lshl_b32 s28, s34, 2
	v_mov_b32_e32 v3, s27
	s_lshl_b32 s27, s26, 4
	v_mov_b32_e32 v2, s28
	v_mov_b32_e32 v27, s27
	ds_write2_b32 v2, v27, v3 offset1:32
	s_add_i32 s37, s35, 1
	s_add_i32 s38, s26, 1
	;; [unrolled: 1-line block ×3, first 2 shown]
	s_mov_b64 s[28:29], 0
.LBB5_28:                               ;   in Loop: Header=BB5_25 Depth=2
	s_andn2_b64 vcc, exec, s[28:29]
	s_cbranch_vccnz .LBB5_30
; %bb.29:                               ;   in Loop: Header=BB5_25 Depth=2
	s_add_i32 s37, s35, 1
	s_mov_b32 s27, s34
	s_mov_b32 s38, s26
.LBB5_30:                               ;   in Loop: Header=BB5_25 Depth=2
	s_mov_b64 s[28:29], 0
.LBB5_31:                               ;   in Loop: Header=BB5_25 Depth=2
	s_andn2_b64 vcc, exec, s[28:29]
	s_cbranch_vccnz .LBB5_33
; %bb.32:                               ;   in Loop: Header=BB5_25 Depth=2
	s_add_i32 s38, s26, 1
	s_mov_b32 s37, s35
	s_mov_b32 s27, s34
.LBB5_33:                               ;   in Loop: Header=BB5_25 Depth=2
	s_cmp_le_i32 s38, s25
	s_cselect_b64 s[28:29], -1, 0
	s_cmp_le_i32 s36, s24
	s_cselect_b64 s[34:35], -1, 0
	s_and_b64 s[28:29], s[28:29], s[34:35]
	s_and_b64 vcc, exec, s[28:29]
	s_cbranch_vccz .LBB5_35
; %bb.34:                               ;   in Loop: Header=BB5_25 Depth=2
	s_mov_b32 s34, s27
	s_mov_b32 s26, s38
	;; [unrolled: 1-line block ×3, first 2 shown]
	s_branch .LBB5_25
.LBB5_35:                               ;   in Loop: Header=BB5_22 Depth=1
	s_add_u32 s22, s6, s22
	s_addc_u32 s23, s7, s23
	s_waitcnt lgkmcnt(0)
.LBB5_36:                               ;   Parent Loop BB5_22 Depth=1
                                        ; =>  This Inner Loop Header: Depth=2
	global_load_dword v2, v26, s[22:23] sc1
	s_waitcnt vmcnt(0)
	v_cmp_eq_u32_e32 vcc, 0, v2
	s_cbranch_vccnz .LBB5_36
; %bb.37:                               ;   in Loop: Header=BB5_22 Depth=1
	v_lshl_add_u32 v2, s25, 4, v25
	v_ashrrev_i32_e32 v3, 31, v2
	v_lshl_add_u64 v[2:3], v[2:3], 2, s[2:3]
	buffer_inv sc1
	global_load_dword v2, v[2:3], off
	s_cmp_lt_i32 s27, 2
	v_mov_b32_e32 v27, 0
	s_waitcnt vmcnt(0)
	ds_write_b32 v15, v2
	s_waitcnt lgkmcnt(0)
	s_cbranch_scc1 .LBB5_57
; %bb.38:                               ;   in Loop: Header=BB5_22 Depth=1
	s_add_i32 s24, s27, -1
	s_cmp_eq_u32 s27, 2
	s_cbranch_scc1 .LBB5_50
; %bb.39:                               ;   in Loop: Header=BB5_22 Depth=1
	s_and_b32 s25, s24, -2
	s_mov_b32 s26, 0
	v_mov_b32_e32 v27, 0
	s_mov_b32 s27, 0
	s_branch .LBB5_41
.LBB5_40:                               ;   in Loop: Header=BB5_41 Depth=2
	s_add_i32 s27, s27, 2
	s_add_i32 s26, s26, 8
	s_cmp_eq_u32 s25, s27
	s_cbranch_scc1 .LBB5_51
.LBB5_41:                               ;   Parent Loop BB5_22 Depth=1
                                        ; =>  This Inner Loop Header: Depth=2
	s_waitcnt lgkmcnt(0)
	v_mov_b32_e32 v2, s26
	ds_read2_b32 v[2:3], v2 offset1:32
	s_mov_b64 s[22:23], -1
	s_and_b64 vcc, exec, s[18:19]
                                        ; implicit-def: $vgpr28
	s_cbranch_vccz .LBB5_43
; %bb.42:                               ;   in Loop: Header=BB5_41 Depth=2
	s_waitcnt lgkmcnt(0)
	v_add_u32_e32 v28, v2, v4
	v_ashrrev_i32_e32 v29, 31, v28
	v_add_u32_e32 v30, v3, v5
	v_add_u32_e32 v32, v16, v2
	;; [unrolled: 1-line block ×7, first 2 shown]
	v_lshl_add_u64 v[28:29], v[28:29], 2, s[2:3]
	v_ashrrev_i32_e32 v31, 31, v30
	v_ashrrev_i32_e32 v33, 31, v32
	;; [unrolled: 1-line block ×7, first 2 shown]
	v_lshl_add_u64 v[30:31], v[30:31], 2, s[2:3]
	v_lshl_add_u64 v[32:33], v[32:33], 2, s[2:3]
	;; [unrolled: 1-line block ×7, first 2 shown]
	global_load_dword v44, v[28:29], off
	global_load_dword v45, v[30:31], off
	global_load_dword v46, v[32:33], off
	global_load_dword v47, v[34:35], off
	global_load_dword v48, v[36:37], off
	global_load_dword v49, v[38:39], off
	global_load_dword v50, v[40:41], off
	global_load_dword v51, v[42:43], off
	s_mov_b64 s[22:23], 0
	s_waitcnt vmcnt(6)
	v_fma_f32 v28, v44, v45, v27
	s_waitcnt vmcnt(4)
	v_fmac_f32_e32 v28, v46, v47
	s_waitcnt vmcnt(2)
	v_fmac_f32_e32 v28, v48, v49
	;; [unrolled: 2-line block ×3, first 2 shown]
.LBB5_43:                               ;   in Loop: Header=BB5_41 Depth=2
	s_andn2_b64 vcc, exec, s[22:23]
	s_cbranch_vccnz .LBB5_45
; %bb.44:                               ;   in Loop: Header=BB5_41 Depth=2
	s_waitcnt lgkmcnt(0)
	v_add_u32_e32 v28, v2, v12
	v_ashrrev_i32_e32 v29, 31, v28
	v_add_u32_e32 v2, v3, v7
	v_lshl_add_u64 v[36:37], v[28:29], 2, s[2:3]
	v_ashrrev_i32_e32 v3, 31, v2
	v_lshl_add_u64 v[2:3], v[2:3], 2, s[2:3]
	global_load_dwordx4 v[28:31], v[36:37], off
	global_load_dwordx4 v[32:35], v[2:3], off
	s_waitcnt vmcnt(0)
	v_fmac_f32_e32 v27, v28, v32
	v_fmac_f32_e32 v27, v29, v33
	;; [unrolled: 1-line block ×4, first 2 shown]
	v_mov_b32_e32 v28, v27
.LBB5_45:                               ;   in Loop: Header=BB5_41 Depth=2
	s_waitcnt lgkmcnt(0)
	v_mov_b32_e32 v2, s26
	ds_read2_b32 v[2:3], v2 offset0:1 offset1:33
	s_andn2_b64 vcc, exec, s[18:19]
	s_mov_b64 s[22:23], -1
                                        ; implicit-def: $vgpr27
	s_cbranch_vccnz .LBB5_47
; %bb.46:                               ;   in Loop: Header=BB5_41 Depth=2
	s_waitcnt lgkmcnt(0)
	v_add_u32_e32 v30, v2, v4
	v_ashrrev_i32_e32 v31, 31, v30
	v_add_u32_e32 v32, v3, v5
	v_add_u32_e32 v34, v16, v2
	;; [unrolled: 1-line block ×7, first 2 shown]
	v_lshl_add_u64 v[30:31], v[30:31], 2, s[2:3]
	v_ashrrev_i32_e32 v33, 31, v32
	v_ashrrev_i32_e32 v35, 31, v34
	;; [unrolled: 1-line block ×7, first 2 shown]
	v_lshl_add_u64 v[32:33], v[32:33], 2, s[2:3]
	v_lshl_add_u64 v[34:35], v[34:35], 2, s[2:3]
	;; [unrolled: 1-line block ×7, first 2 shown]
	global_load_dword v27, v[30:31], off
	global_load_dword v29, v[32:33], off
	;; [unrolled: 1-line block ×8, first 2 shown]
	s_mov_b64 s[22:23], 0
	s_waitcnt vmcnt(6)
	v_fma_f32 v27, v27, v29, v28
	s_waitcnt vmcnt(4)
	v_fmac_f32_e32 v27, v46, v47
	s_waitcnt vmcnt(2)
	v_fmac_f32_e32 v27, v48, v49
	s_waitcnt vmcnt(0)
	v_fmac_f32_e32 v27, v50, v51
.LBB5_47:                               ;   in Loop: Header=BB5_41 Depth=2
	s_andn2_b64 vcc, exec, s[22:23]
	s_cbranch_vccnz .LBB5_40
; %bb.48:                               ;   in Loop: Header=BB5_41 Depth=2
	s_waitcnt lgkmcnt(0)
	v_add_u32_e32 v30, v2, v12
	v_ashrrev_i32_e32 v31, 31, v30
	v_add_u32_e32 v2, v3, v7
	v_lshl_add_u64 v[38:39], v[30:31], 2, s[2:3]
	v_ashrrev_i32_e32 v3, 31, v2
	v_lshl_add_u64 v[2:3], v[2:3], 2, s[2:3]
	global_load_dwordx4 v[30:33], v[38:39], off
	global_load_dwordx4 v[34:37], v[2:3], off
	s_waitcnt vmcnt(0)
	v_fmac_f32_e32 v28, v30, v34
	v_fmac_f32_e32 v28, v31, v35
	v_fmac_f32_e32 v28, v32, v36
	v_fmac_f32_e32 v28, v33, v37
	v_mov_b32_e32 v27, v28
	s_branch .LBB5_40
.LBB5_49:                               ;   in Loop: Header=BB5_22 Depth=1
                                        ; implicit-def: $sgpr20
	s_cbranch_execz .LBB5_22
	s_branch .LBB5_72
.LBB5_50:                               ;   in Loop: Header=BB5_22 Depth=1
	v_mov_b32_e32 v27, 0
	s_mov_b32 s25, 0
.LBB5_51:                               ;   in Loop: Header=BB5_22 Depth=1
	s_bitcmp0_b32 s24, 0
	s_cbranch_scc1 .LBB5_57
; %bb.52:                               ;   in Loop: Header=BB5_22 Depth=1
	s_lshl_b32 s22, s25, 2
	s_waitcnt lgkmcnt(0)
	v_mov_b32_e32 v2, s22
	ds_read2_b32 v[2:3], v2 offset1:32
	s_andn2_b64 vcc, exec, s[18:19]
	s_mov_b64 s[22:23], -1
                                        ; implicit-def: $vgpr28
	s_cbranch_vccnz .LBB5_54
; %bb.53:                               ;   in Loop: Header=BB5_22 Depth=1
	s_waitcnt lgkmcnt(0)
	v_add_u32_e32 v28, v2, v4
	v_ashrrev_i32_e32 v29, 31, v28
	v_add_u32_e32 v30, v3, v5
	v_add_u32_e32 v32, v16, v2
	;; [unrolled: 1-line block ×7, first 2 shown]
	v_lshl_add_u64 v[28:29], v[28:29], 2, s[2:3]
	v_ashrrev_i32_e32 v31, 31, v30
	v_ashrrev_i32_e32 v33, 31, v32
	;; [unrolled: 1-line block ×7, first 2 shown]
	v_lshl_add_u64 v[30:31], v[30:31], 2, s[2:3]
	v_lshl_add_u64 v[32:33], v[32:33], 2, s[2:3]
	;; [unrolled: 1-line block ×7, first 2 shown]
	global_load_dword v44, v[28:29], off
	global_load_dword v45, v[30:31], off
	;; [unrolled: 1-line block ×8, first 2 shown]
	s_mov_b64 s[22:23], 0
	s_waitcnt vmcnt(6)
	v_fma_f32 v28, v44, v45, v27
	s_waitcnt vmcnt(4)
	v_fmac_f32_e32 v28, v46, v47
	s_waitcnt vmcnt(2)
	v_fmac_f32_e32 v28, v48, v49
	;; [unrolled: 2-line block ×3, first 2 shown]
.LBB5_54:                               ;   in Loop: Header=BB5_22 Depth=1
	s_andn2_b64 vcc, exec, s[22:23]
	s_cbranch_vccnz .LBB5_56
; %bb.55:                               ;   in Loop: Header=BB5_22 Depth=1
	s_waitcnt lgkmcnt(0)
	v_add_u32_e32 v28, v2, v12
	v_ashrrev_i32_e32 v29, 31, v28
	v_add_u32_e32 v2, v3, v7
	v_lshl_add_u64 v[36:37], v[28:29], 2, s[2:3]
	v_ashrrev_i32_e32 v3, 31, v2
	v_lshl_add_u64 v[2:3], v[2:3], 2, s[2:3]
	global_load_dwordx4 v[28:31], v[36:37], off
	global_load_dwordx4 v[32:35], v[2:3], off
	s_waitcnt vmcnt(0)
	v_fmac_f32_e32 v27, v28, v32
	v_fmac_f32_e32 v27, v29, v33
	v_fmac_f32_e32 v27, v30, v34
	v_fmac_f32_e32 v27, v31, v35
	v_mov_b32_e32 v28, v27
.LBB5_56:                               ;   in Loop: Header=BB5_22 Depth=1
	v_mov_b32_e32 v27, v28
.LBB5_57:                               ;   in Loop: Header=BB5_22 Depth=1
	ds_write_b32 v23, v27
	s_waitcnt lgkmcnt(0)
	ds_read_b32 v3, v26 offset:384
	ds_read_b32 v2, v13
	s_waitcnt lgkmcnt(1)
	v_cmp_neq_f32_e32 vcc, 0, v3
	s_nop 1
	v_cndmask_b32_e32 v3, 1.0, v3, vcc
	s_nor_b64 s[24:25], vcc, s[0:1]
	s_and_saveexec_b64 s[22:23], s[24:25]
	s_cbranch_execz .LBB5_61
; %bb.58:                               ;   in Loop: Header=BB5_22 Depth=1
	v_mbcnt_lo_u32_b32 v3, exec_lo, 0
	v_mbcnt_hi_u32_b32 v3, exec_hi, v3
	v_cmp_eq_u32_e32 vcc, 0, v3
	s_and_saveexec_b64 s[24:25], vcc
	s_cbranch_execz .LBB5_60
; %bb.59:                               ;   in Loop: Header=BB5_22 Depth=1
	v_mov_b32_e32 v3, s21
	global_atomic_smin v26, v3, s[10:11]
.LBB5_60:                               ;   in Loop: Header=BB5_22 Depth=1
	s_or_b64 exec, exec, s[24:25]
	v_mov_b32_e32 v3, 1.0
.LBB5_61:                               ;   in Loop: Header=BB5_22 Depth=1
	s_or_b64 exec, exec, s[22:23]
	ds_read_b32 v27, v22
	s_waitcnt lgkmcnt(0)
	v_sub_f32_e32 v2, v2, v27
	v_div_scale_f32 v27, s[22:23], v3, v3, v2
	v_rcp_f32_e32 v28, v27
	v_div_scale_f32 v29, vcc, v2, v3, v2
	v_fma_f32 v30, -v27, v28, 1.0
	v_fmac_f32_e32 v28, v30, v28
	v_mul_f32_e32 v30, v29, v28
	v_fma_f32 v31, -v27, v30, v29
	v_fmac_f32_e32 v30, v31, v28
	v_fma_f32 v27, -v27, v30, v29
	v_div_fmas_f32 v27, v27, v28, v30
	v_div_fixup_f32 v2, v27, v3, v2
	ds_write_b32 v13, v2
	s_waitcnt lgkmcnt(0)
	ds_read_b32 v3, v24
	ds_read_b32 v27, v8
	s_waitcnt lgkmcnt(0)
	v_fmac_f32_e32 v27, v2, v3
	ds_write_b32 v8, v27
	s_waitcnt lgkmcnt(0)
	ds_read_b32 v3, v26 offset:408
	ds_read_b32 v2, v13 offset:4
	s_waitcnt lgkmcnt(1)
	v_cmp_neq_f32_e32 vcc, 0, v3
	s_nop 1
	v_cndmask_b32_e32 v3, 1.0, v3, vcc
	s_nor_b64 s[24:25], vcc, s[0:1]
	s_and_saveexec_b64 s[22:23], s[24:25]
	s_cbranch_execz .LBB5_65
; %bb.62:                               ;   in Loop: Header=BB5_22 Depth=1
	v_mbcnt_lo_u32_b32 v3, exec_lo, 0
	v_mbcnt_hi_u32_b32 v3, exec_hi, v3
	v_cmp_eq_u32_e32 vcc, 0, v3
	s_and_saveexec_b64 s[24:25], vcc
	s_cbranch_execz .LBB5_64
; %bb.63:                               ;   in Loop: Header=BB5_22 Depth=1
	v_mov_b32_e32 v3, s21
	global_atomic_smin v26, v3, s[10:11]
.LBB5_64:                               ;   in Loop: Header=BB5_22 Depth=1
	s_or_b64 exec, exec, s[24:25]
	v_mov_b32_e32 v3, 1.0
.LBB5_65:                               ;   in Loop: Header=BB5_22 Depth=1
	s_or_b64 exec, exec, s[22:23]
	ds_read_b32 v27, v26 offset:404
	ds_read_b32 v28, v13
	ds_read_b32 v29, v22 offset:4
	s_waitcnt lgkmcnt(0)
	v_fmac_f32_e32 v29, v27, v28
	v_sub_f32_e32 v2, v2, v29
	v_div_scale_f32 v27, s[22:23], v3, v3, v2
	v_rcp_f32_e32 v28, v27
	v_div_scale_f32 v29, vcc, v2, v3, v2
	v_fma_f32 v30, -v27, v28, 1.0
	v_fmac_f32_e32 v28, v30, v28
	v_mul_f32_e32 v30, v29, v28
	v_fma_f32 v31, -v27, v30, v29
	v_fmac_f32_e32 v30, v31, v28
	v_fma_f32 v27, -v27, v30, v29
	v_div_fmas_f32 v27, v27, v28, v30
	v_div_fixup_f32 v2, v27, v3, v2
	ds_write_b32 v13, v2 offset:4
	s_waitcnt lgkmcnt(0)
	ds_read_b32 v3, v24 offset:4
	ds_read_b32 v27, v8
	s_waitcnt lgkmcnt(0)
	v_fmac_f32_e32 v27, v2, v3
	ds_write_b32 v8, v27
	s_waitcnt lgkmcnt(0)
	ds_read_b32 v3, v26 offset:432
	ds_read_b32 v2, v13 offset:8
	s_waitcnt lgkmcnt(1)
	v_cmp_neq_f32_e32 vcc, 0, v3
	s_nop 1
	v_cndmask_b32_e32 v3, 1.0, v3, vcc
	s_nor_b64 s[24:25], vcc, s[0:1]
	s_and_saveexec_b64 s[22:23], s[24:25]
	s_cbranch_execz .LBB5_69
; %bb.66:                               ;   in Loop: Header=BB5_22 Depth=1
	v_mbcnt_lo_u32_b32 v3, exec_lo, 0
	v_mbcnt_hi_u32_b32 v3, exec_hi, v3
	v_cmp_eq_u32_e32 vcc, 0, v3
	s_and_saveexec_b64 s[24:25], vcc
	s_cbranch_execz .LBB5_68
; %bb.67:                               ;   in Loop: Header=BB5_22 Depth=1
	v_mov_b32_e32 v3, s21
	global_atomic_smin v26, v3, s[10:11]
.LBB5_68:                               ;   in Loop: Header=BB5_22 Depth=1
	s_or_b64 exec, exec, s[24:25]
	v_mov_b32_e32 v3, 1.0
.LBB5_69:                               ;   in Loop: Header=BB5_22 Depth=1
	s_or_b64 exec, exec, s[22:23]
	ds_read_b64 v[28:29], v26 offset:424
	ds_read2_b32 v[30:31], v13 offset1:1
	ds_read_b32 v27, v22 offset:8
	s_waitcnt lgkmcnt(0)
	v_fmac_f32_e32 v27, v28, v30
	v_fmac_f32_e32 v27, v29, v31
	v_sub_f32_e32 v2, v2, v27
	v_div_scale_f32 v27, s[22:23], v3, v3, v2
	v_rcp_f32_e32 v28, v27
	v_div_scale_f32 v29, vcc, v2, v3, v2
	v_fma_f32 v30, -v27, v28, 1.0
	v_fmac_f32_e32 v28, v30, v28
	v_mul_f32_e32 v30, v29, v28
	v_fma_f32 v31, -v27, v30, v29
	v_fmac_f32_e32 v30, v31, v28
	v_fma_f32 v27, -v27, v30, v29
	v_div_fmas_f32 v27, v27, v28, v30
	v_div_fixup_f32 v2, v27, v3, v2
	ds_write_b32 v13, v2 offset:8
	s_waitcnt lgkmcnt(0)
	ds_read_b32 v3, v24 offset:8
	ds_read_b32 v27, v8
	s_waitcnt lgkmcnt(0)
	v_fmac_f32_e32 v27, v2, v3
	ds_write_b32 v8, v27
	s_waitcnt lgkmcnt(0)
	ds_read_b32 v3, v26 offset:456
	ds_read_b32 v2, v13 offset:12
	s_waitcnt lgkmcnt(1)
	v_cmp_neq_f32_e32 vcc, 0, v3
	s_nop 1
	v_cndmask_b32_e32 v3, 1.0, v3, vcc
	s_nor_b64 s[24:25], vcc, s[0:1]
	s_and_saveexec_b64 s[22:23], s[24:25]
	s_cbranch_execz .LBB5_21
; %bb.70:                               ;   in Loop: Header=BB5_22 Depth=1
	v_mbcnt_lo_u32_b32 v3, exec_lo, 0
	v_mbcnt_hi_u32_b32 v3, exec_hi, v3
	v_cmp_eq_u32_e32 vcc, 0, v3
	s_and_saveexec_b64 s[24:25], vcc
	s_cbranch_execz .LBB5_20
; %bb.71:                               ;   in Loop: Header=BB5_22 Depth=1
	v_mov_b32_e32 v3, s21
	global_atomic_smin v26, v3, s[10:11]
	s_branch .LBB5_20
.LBB5_72:
	s_waitcnt lgkmcnt(0)
	s_cmp_eq_u32 s33, 0
	s_cselect_b64 vcc, -1, 0
	v_cndmask_b32_e32 v0, v11, v6, vcc
	v_lshl_add_u32 v0, s30, 4, v0
	v_ashrrev_i32_e32 v1, 31, v0
	v_lshl_add_u64 v[0:1], v[0:1], 2, s[2:3]
	global_load_dword v6, v[0:1], off
	v_mov_b32_e32 v2, 0x220
	v_mad_u32_u24 v3, v5, 20, v2
	v_cmp_ne_u32_e32 vcc, 0, v5
	v_lshl_add_u32 v2, v4, 2, v3
	v_cmp_eq_u32_e64 s[0:1], 0, v5
	s_waitcnt vmcnt(0)
	ds_write_b32 v2, v6
	s_waitcnt lgkmcnt(0)
	s_and_saveexec_b64 s[4:5], s[0:1]
	s_cbranch_execz .LBB5_74
; %bb.73:
	v_mov_b32_e32 v11, 0
	ds_read2_b32 v[6:7], v11 offset0:136 offset1:156
	s_mov_b32 s2, 0xf800000
	s_waitcnt lgkmcnt(0)
	v_sub_f32_e32 v6, v6, v7
	v_cmp_gt_f32_e64 s[0:1], 0, v6
	s_nop 1
	v_cndmask_b32_e64 v6, v6, -v6, s[0:1]
	v_mul_f32_e32 v7, 0x4f800000, v6
	v_cmp_gt_f32_e64 s[0:1], s2, v6
	s_nop 1
	v_cndmask_b32_e64 v6, v6, v7, s[0:1]
	v_sqrt_f32_e32 v7, v6
	s_nop 0
	v_add_u32_e32 v12, -1, v7
	v_add_u32_e32 v13, 1, v7
	v_fma_f32 v14, -v12, v7, v6
	v_fma_f32 v15, -v13, v7, v6
	v_cmp_ge_f32_e64 s[2:3], 0, v14
	s_nop 1
	v_cndmask_b32_e64 v7, v7, v12, s[2:3]
	v_cmp_lt_f32_e64 s[2:3], 0, v15
	s_nop 1
	v_cndmask_b32_e64 v7, v7, v13, s[2:3]
	v_mul_f32_e32 v12, 0x37800000, v7
	v_cndmask_b32_e64 v7, v7, v12, s[0:1]
	v_mov_b32_e32 v12, 0x260
	v_cmp_class_f32_e64 s[0:1], v6, v12
	s_nop 1
	v_cndmask_b32_e64 v6, v7, v6, s[0:1]
	ds_write_b32 v11, v6 offset:544
.LBB5_74:
	s_or_b64 exec, exec, s[4:5]
	v_mov_b32_e32 v6, 0
	s_waitcnt lgkmcnt(0)
	ds_read_b32 v6, v6 offset:544
	v_cmp_ne_u32_e64 s[0:1], 0, v10
	s_add_i32 s14, s16, s17
	s_waitcnt lgkmcnt(0)
	v_cmp_neq_f32_e64 s[2:3], 0, v6
	s_nop 1
	v_cndmask_b32_e64 v7, 1.0, v6, s[2:3]
	s_nor_b64 s[2:3], s[2:3], s[0:1]
	s_and_saveexec_b64 s[4:5], s[2:3]
	s_cbranch_execz .LBB5_78
; %bb.75:
	v_mbcnt_lo_u32_b32 v6, exec_lo, 0
	v_mbcnt_hi_u32_b32 v6, exec_hi, v6
	v_cmp_eq_u32_e64 s[2:3], 0, v6
	s_and_saveexec_b64 s[12:13], s[2:3]
	s_cbranch_execz .LBB5_77
; %bb.76:
	v_mov_b32_e32 v6, 0
	v_mov_b32_e32 v7, s14
	global_atomic_smin v6, v7, s[10:11]
.LBB5_77:
	s_or_b64 exec, exec, s[12:13]
	v_mov_b32_e32 v7, 1.0
.LBB5_78:
	s_or_b64 exec, exec, s[4:5]
	v_mov_b32_e32 v6, 0x220
	v_mad_u32_u24 v6, v4, 20, v6
	s_and_saveexec_b64 s[2:3], vcc
	s_cbranch_execz .LBB5_80
; %bb.79:
	ds_read_b32 v11, v3
	ds_read_b32 v12, v9
	s_waitcnt lgkmcnt(0)
	v_sub_f32_e32 v11, v11, v12
	v_div_scale_f32 v12, s[4:5], v7, v7, v11
	v_rcp_f32_e32 v13, v12
	v_div_scale_f32 v14, vcc, v11, v7, v11
	v_fma_f32 v15, -v12, v13, 1.0
	v_fmac_f32_e32 v13, v15, v13
	v_mul_f32_e32 v15, v14, v13
	v_fma_f32 v16, -v12, v15, v14
	v_fmac_f32_e32 v15, v16, v13
	v_fma_f32 v12, -v12, v15, v14
	v_div_fmas_f32 v12, v12, v13, v15
	v_div_fixup_f32 v7, v12, v7, v11
	ds_write_b32 v3, v7
	s_waitcnt lgkmcnt(0)
	ds_read_b32 v11, v6
	ds_read_b32 v12, v8
	s_waitcnt lgkmcnt(0)
	v_fmac_f32_e32 v12, v7, v11
	ds_write_b32 v8, v12
.LBB5_80:
	s_or_b64 exec, exec, s[2:3]
	v_cmp_eq_u32_e32 vcc, 1, v5
	s_waitcnt lgkmcnt(0)
	s_and_saveexec_b64 s[4:5], vcc
	s_cbranch_execz .LBB5_82
; %bb.81:
	v_mov_b32_e32 v7, 0
	ds_read2_b32 v[12:13], v7 offset0:142 offset1:162
	s_mov_b32 s2, 0xf800000
	s_waitcnt lgkmcnt(0)
	v_sub_f32_e32 v11, v12, v13
	v_cmp_gt_f32_e32 vcc, 0, v11
	s_nop 1
	v_cndmask_b32_e64 v11, v11, -v11, vcc
	v_mul_f32_e32 v12, 0x4f800000, v11
	v_cmp_gt_f32_e32 vcc, s2, v11
	s_nop 1
	v_cndmask_b32_e32 v11, v11, v12, vcc
	v_sqrt_f32_e32 v12, v11
	s_nop 0
	v_add_u32_e32 v13, -1, v12
	v_add_u32_e32 v14, 1, v12
	v_fma_f32 v15, -v13, v12, v11
	v_fma_f32 v16, -v14, v12, v11
	v_cmp_ge_f32_e64 s[2:3], 0, v15
	s_nop 1
	v_cndmask_b32_e64 v12, v12, v13, s[2:3]
	v_cmp_lt_f32_e64 s[2:3], 0, v16
	s_nop 1
	v_cndmask_b32_e64 v12, v12, v14, s[2:3]
	v_mul_f32_e32 v13, 0x37800000, v12
	v_cndmask_b32_e32 v12, v12, v13, vcc
	v_mov_b32_e32 v13, 0x260
	v_cmp_class_f32_e32 vcc, v11, v13
	s_nop 1
	v_cndmask_b32_e32 v11, v12, v11, vcc
	ds_write_b32 v7, v11 offset:568
.LBB5_82:
	s_or_b64 exec, exec, s[4:5]
	v_mov_b32_e32 v7, 0
	s_waitcnt lgkmcnt(0)
	ds_read_b32 v7, v7 offset:568
	s_waitcnt lgkmcnt(0)
	v_cmp_neq_f32_e32 vcc, 0, v7
	s_nop 1
	v_cndmask_b32_e32 v7, 1.0, v7, vcc
	s_nor_b64 s[4:5], vcc, s[0:1]
	s_and_saveexec_b64 s[2:3], s[4:5]
	s_cbranch_execz .LBB5_86
; %bb.83:
	v_mbcnt_lo_u32_b32 v7, exec_lo, 0
	v_mbcnt_hi_u32_b32 v7, exec_hi, v7
	v_cmp_eq_u32_e32 vcc, 0, v7
	s_and_saveexec_b64 s[4:5], vcc
	s_cbranch_execz .LBB5_85
; %bb.84:
	v_mov_b32_e32 v7, 0
	v_mov_b32_e32 v11, s14
	global_atomic_smin v7, v11, s[10:11]
.LBB5_85:
	s_or_b64 exec, exec, s[4:5]
	v_mov_b32_e32 v7, 1.0
.LBB5_86:
	s_or_b64 exec, exec, s[2:3]
	v_cmp_lt_u32_e32 vcc, 1, v5
	s_and_saveexec_b64 s[2:3], vcc
	s_cbranch_execz .LBB5_88
; %bb.87:
	ds_read_b32 v11, v3 offset:4
	ds_read_b32 v12, v9 offset:4
	s_waitcnt lgkmcnt(0)
	v_sub_f32_e32 v11, v11, v12
	v_div_scale_f32 v12, s[4:5], v7, v7, v11
	v_rcp_f32_e32 v13, v12
	v_div_scale_f32 v14, vcc, v11, v7, v11
	v_fma_f32 v15, -v12, v13, 1.0
	v_fmac_f32_e32 v13, v15, v13
	v_mul_f32_e32 v15, v14, v13
	v_fma_f32 v16, -v12, v15, v14
	v_fmac_f32_e32 v15, v16, v13
	v_fma_f32 v12, -v12, v15, v14
	v_div_fmas_f32 v12, v12, v13, v15
	v_div_fixup_f32 v7, v12, v7, v11
	ds_write_b32 v3, v7 offset:4
	s_waitcnt lgkmcnt(0)
	ds_read_b32 v11, v6 offset:4
	ds_read_b32 v12, v8
	s_waitcnt lgkmcnt(0)
	v_fmac_f32_e32 v12, v7, v11
	ds_write_b32 v8, v12
.LBB5_88:
	s_or_b64 exec, exec, s[2:3]
	v_cmp_eq_u32_e32 vcc, 2, v5
	s_waitcnt lgkmcnt(0)
	s_and_saveexec_b64 s[4:5], vcc
	s_cbranch_execz .LBB5_90
; %bb.89:
	v_mov_b32_e32 v7, 0
	ds_read2_b32 v[12:13], v7 offset0:148 offset1:168
	s_mov_b32 s2, 0xf800000
	s_waitcnt lgkmcnt(0)
	v_sub_f32_e32 v11, v12, v13
	v_cmp_gt_f32_e32 vcc, 0, v11
	s_nop 1
	v_cndmask_b32_e64 v11, v11, -v11, vcc
	v_mul_f32_e32 v12, 0x4f800000, v11
	v_cmp_gt_f32_e32 vcc, s2, v11
	s_nop 1
	v_cndmask_b32_e32 v11, v11, v12, vcc
	v_sqrt_f32_e32 v12, v11
	s_nop 0
	v_add_u32_e32 v13, -1, v12
	v_add_u32_e32 v14, 1, v12
	v_fma_f32 v15, -v13, v12, v11
	v_fma_f32 v16, -v14, v12, v11
	v_cmp_ge_f32_e64 s[2:3], 0, v15
	s_nop 1
	v_cndmask_b32_e64 v12, v12, v13, s[2:3]
	v_cmp_lt_f32_e64 s[2:3], 0, v16
	s_nop 1
	v_cndmask_b32_e64 v12, v12, v14, s[2:3]
	v_mul_f32_e32 v13, 0x37800000, v12
	v_cndmask_b32_e32 v12, v12, v13, vcc
	v_mov_b32_e32 v13, 0x260
	v_cmp_class_f32_e32 vcc, v11, v13
	s_nop 1
	v_cndmask_b32_e32 v11, v12, v11, vcc
	ds_write_b32 v7, v11 offset:592
.LBB5_90:
	s_or_b64 exec, exec, s[4:5]
	v_mov_b32_e32 v7, 0
	s_waitcnt lgkmcnt(0)
	ds_read_b32 v7, v7 offset:592
	s_waitcnt lgkmcnt(0)
	v_cmp_neq_f32_e32 vcc, 0, v7
	s_nop 1
	v_cndmask_b32_e32 v7, 1.0, v7, vcc
	s_nor_b64 s[4:5], vcc, s[0:1]
	s_and_saveexec_b64 s[2:3], s[4:5]
	s_cbranch_execz .LBB5_94
; %bb.91:
	v_mbcnt_lo_u32_b32 v7, exec_lo, 0
	v_mbcnt_hi_u32_b32 v7, exec_hi, v7
	v_cmp_eq_u32_e32 vcc, 0, v7
	s_and_saveexec_b64 s[4:5], vcc
	s_cbranch_execz .LBB5_93
; %bb.92:
	v_mov_b32_e32 v7, 0
	v_mov_b32_e32 v11, s14
	global_atomic_smin v7, v11, s[10:11]
.LBB5_93:
	s_or_b64 exec, exec, s[4:5]
	v_mov_b32_e32 v7, 1.0
.LBB5_94:
	s_or_b64 exec, exec, s[2:3]
	v_cmp_lt_u32_e32 vcc, 2, v5
	s_and_saveexec_b64 s[2:3], vcc
	s_cbranch_execz .LBB5_96
; %bb.95:
	ds_read_b32 v11, v3 offset:8
	ds_read_b32 v12, v9 offset:8
	s_waitcnt lgkmcnt(0)
	v_sub_f32_e32 v11, v11, v12
	v_div_scale_f32 v12, s[4:5], v7, v7, v11
	v_rcp_f32_e32 v13, v12
	v_div_scale_f32 v14, vcc, v11, v7, v11
	v_fma_f32 v15, -v12, v13, 1.0
	v_fmac_f32_e32 v13, v15, v13
	v_mul_f32_e32 v15, v14, v13
	v_fma_f32 v16, -v12, v15, v14
	v_fmac_f32_e32 v15, v16, v13
	v_fma_f32 v12, -v12, v15, v14
	v_div_fmas_f32 v12, v12, v13, v15
	v_div_fixup_f32 v7, v12, v7, v11
	ds_write_b32 v3, v7 offset:8
	s_waitcnt lgkmcnt(0)
	ds_read_b32 v11, v6 offset:8
	ds_read_b32 v12, v8
	s_waitcnt lgkmcnt(0)
	v_fmac_f32_e32 v12, v7, v11
	ds_write_b32 v8, v12
.LBB5_96:
	s_or_b64 exec, exec, s[2:3]
	v_cmp_eq_u32_e32 vcc, 3, v5
	s_waitcnt lgkmcnt(0)
	s_and_saveexec_b64 s[4:5], vcc
	s_cbranch_execz .LBB5_98
; %bb.97:
	v_mov_b32_e32 v7, 0
	ds_read2_b32 v[12:13], v7 offset0:154 offset1:174
	s_mov_b32 s2, 0xf800000
	s_waitcnt lgkmcnt(0)
	v_sub_f32_e32 v11, v12, v13
	v_cmp_gt_f32_e32 vcc, 0, v11
	s_nop 1
	v_cndmask_b32_e64 v11, v11, -v11, vcc
	v_mul_f32_e32 v12, 0x4f800000, v11
	v_cmp_gt_f32_e32 vcc, s2, v11
	s_nop 1
	v_cndmask_b32_e32 v11, v11, v12, vcc
	v_sqrt_f32_e32 v12, v11
	s_nop 0
	v_add_u32_e32 v13, -1, v12
	v_add_u32_e32 v14, 1, v12
	v_fma_f32 v15, -v13, v12, v11
	v_fma_f32 v16, -v14, v12, v11
	v_cmp_ge_f32_e64 s[2:3], 0, v15
	s_nop 1
	v_cndmask_b32_e64 v12, v12, v13, s[2:3]
	v_cmp_lt_f32_e64 s[2:3], 0, v16
	s_nop 1
	v_cndmask_b32_e64 v12, v12, v14, s[2:3]
	v_mul_f32_e32 v13, 0x37800000, v12
	v_cndmask_b32_e32 v12, v12, v13, vcc
	v_mov_b32_e32 v13, 0x260
	v_cmp_class_f32_e32 vcc, v11, v13
	s_nop 1
	v_cndmask_b32_e32 v11, v12, v11, vcc
	ds_write_b32 v7, v11 offset:616
.LBB5_98:
	s_or_b64 exec, exec, s[4:5]
	v_mov_b32_e32 v7, 0
	s_waitcnt lgkmcnt(0)
	ds_read_b32 v7, v7 offset:616
	s_waitcnt lgkmcnt(0)
	v_cmp_neq_f32_e32 vcc, 0, v7
	s_nop 1
	v_cndmask_b32_e32 v7, 1.0, v7, vcc
	s_nor_b64 s[2:3], vcc, s[0:1]
	s_and_saveexec_b64 s[0:1], s[2:3]
	s_cbranch_execz .LBB5_102
; %bb.99:
	v_mbcnt_lo_u32_b32 v7, exec_lo, 0
	v_mbcnt_hi_u32_b32 v7, exec_hi, v7
	v_cmp_eq_u32_e32 vcc, 0, v7
	s_and_saveexec_b64 s[2:3], vcc
	s_cbranch_execz .LBB5_101
; %bb.100:
	v_mov_b32_e32 v7, 0
	v_mov_b32_e32 v11, s14
	global_atomic_smin v7, v11, s[10:11]
.LBB5_101:
	s_or_b64 exec, exec, s[2:3]
	v_mov_b32_e32 v7, 1.0
.LBB5_102:
	s_or_b64 exec, exec, s[0:1]
	v_cmp_lt_u32_e32 vcc, 3, v5
	s_and_saveexec_b64 s[0:1], vcc
	s_cbranch_execz .LBB5_104
; %bb.103:
	ds_read_b32 v11, v3 offset:12
	ds_read_b32 v9, v9 offset:12
	s_waitcnt lgkmcnt(0)
	v_sub_f32_e32 v9, v11, v9
	v_div_scale_f32 v11, s[2:3], v7, v7, v9
	v_rcp_f32_e32 v12, v11
	v_div_scale_f32 v13, vcc, v9, v7, v9
	v_fma_f32 v14, -v11, v12, 1.0
	v_fmac_f32_e32 v12, v14, v12
	v_mul_f32_e32 v14, v13, v12
	v_fma_f32 v15, -v11, v14, v13
	v_fmac_f32_e32 v14, v15, v12
	v_fma_f32 v11, -v11, v14, v13
	v_div_fmas_f32 v11, v11, v12, v14
	v_div_fixup_f32 v7, v11, v7, v9
	ds_write_b32 v3, v7 offset:12
	s_waitcnt lgkmcnt(0)
	ds_read_b32 v3, v6 offset:12
	ds_read_b32 v6, v8
	s_waitcnt lgkmcnt(0)
	v_fmac_f32_e32 v6, v7, v3
	ds_write_b32 v8, v6
.LBB5_104:
	s_or_b64 exec, exec, s[0:1]
	s_waitcnt lgkmcnt(0)
	ds_read_b32 v2, v2
	v_cmp_eq_u32_e32 vcc, 0, v10
	s_waitcnt lgkmcnt(0)
	global_store_dword v[0:1], v2, off
	s_and_saveexec_b64 s[0:1], vcc
	s_cbranch_execz .LBB5_106
; %bb.105:
	s_add_u32 s2, s6, s8
	s_addc_u32 s3, s7, s9
	v_mov_b32_e32 v0, 0
	v_mov_b32_e32 v1, 1
	buffer_wbl2 sc1
	s_waitcnt vmcnt(0)
	global_store_dword v0, v1, s[2:3] sc1
.LBB5_106:
	s_or_b64 exec, exec, s[0:1]
	s_branch .LBB5_17
.LBB5_107:
	v_or_b32_e32 v0, v4, v5
	v_cmp_eq_u32_e32 vcc, 0, v0
	s_and_saveexec_b64 s[0:1], vcc
	s_cbranch_execz .LBB5_17
; %bb.108:
	v_mbcnt_lo_u32_b32 v0, exec_lo, 0
	v_mbcnt_hi_u32_b32 v0, exec_hi, v0
	v_cmp_eq_u32_e32 vcc, 0, v0
	s_and_saveexec_b64 s[0:1], vcc
	s_cbranch_execz .LBB5_110
; %bb.109:
	s_add_i32 s2, s16, s17
	v_mov_b32_e32 v0, 0
	v_mov_b32_e32 v1, s2
	global_atomic_smin v0, v1, s[10:11]
.LBB5_110:
	s_or_b64 exec, exec, s[0:1]
	s_add_u32 s0, s6, s8
	s_addc_u32 s1, s7, s9
	v_mov_b32_e32 v0, 0
	v_mov_b32_e32 v1, 1
	buffer_wbl2 sc1
	s_waitcnt vmcnt(0)
	global_store_dword v0, v1, s[0:1] sc1
	s_endpgm
	.section	.rodata,"a",@progbits
	.p2align	6, 0x0
	.amdhsa_kernel _ZN9rocsparseL26bsric0_2_8_unrolled_kernelILi16ELi32ELi4EfEEv20rocsparse_direction_iiPKiS3_PT2_S3_PiS3_S6_21rocsparse_index_base_
		.amdhsa_group_segment_fixed_size 704
		.amdhsa_private_segment_fixed_size 0
		.amdhsa_kernarg_size 76
		.amdhsa_user_sgpr_count 2
		.amdhsa_user_sgpr_dispatch_ptr 0
		.amdhsa_user_sgpr_queue_ptr 0
		.amdhsa_user_sgpr_kernarg_segment_ptr 1
		.amdhsa_user_sgpr_dispatch_id 0
		.amdhsa_user_sgpr_kernarg_preload_length 0
		.amdhsa_user_sgpr_kernarg_preload_offset 0
		.amdhsa_user_sgpr_private_segment_size 0
		.amdhsa_uses_dynamic_stack 0
		.amdhsa_enable_private_segment 0
		.amdhsa_system_sgpr_workgroup_id_x 1
		.amdhsa_system_sgpr_workgroup_id_y 0
		.amdhsa_system_sgpr_workgroup_id_z 0
		.amdhsa_system_sgpr_workgroup_info 0
		.amdhsa_system_vgpr_workitem_id 1
		.amdhsa_next_free_vgpr 66
		.amdhsa_next_free_sgpr 40
		.amdhsa_accum_offset 68
		.amdhsa_reserve_vcc 1
		.amdhsa_float_round_mode_32 0
		.amdhsa_float_round_mode_16_64 0
		.amdhsa_float_denorm_mode_32 3
		.amdhsa_float_denorm_mode_16_64 3
		.amdhsa_dx10_clamp 1
		.amdhsa_ieee_mode 1
		.amdhsa_fp16_overflow 0
		.amdhsa_tg_split 0
		.amdhsa_exception_fp_ieee_invalid_op 0
		.amdhsa_exception_fp_denorm_src 0
		.amdhsa_exception_fp_ieee_div_zero 0
		.amdhsa_exception_fp_ieee_overflow 0
		.amdhsa_exception_fp_ieee_underflow 0
		.amdhsa_exception_fp_ieee_inexact 0
		.amdhsa_exception_int_div_zero 0
	.end_amdhsa_kernel
	.section	.text._ZN9rocsparseL26bsric0_2_8_unrolled_kernelILi16ELi32ELi4EfEEv20rocsparse_direction_iiPKiS3_PT2_S3_PiS3_S6_21rocsparse_index_base_,"axG",@progbits,_ZN9rocsparseL26bsric0_2_8_unrolled_kernelILi16ELi32ELi4EfEEv20rocsparse_direction_iiPKiS3_PT2_S3_PiS3_S6_21rocsparse_index_base_,comdat
.Lfunc_end5:
	.size	_ZN9rocsparseL26bsric0_2_8_unrolled_kernelILi16ELi32ELi4EfEEv20rocsparse_direction_iiPKiS3_PT2_S3_PiS3_S6_21rocsparse_index_base_, .Lfunc_end5-_ZN9rocsparseL26bsric0_2_8_unrolled_kernelILi16ELi32ELi4EfEEv20rocsparse_direction_iiPKiS3_PT2_S3_PiS3_S6_21rocsparse_index_base_
                                        ; -- End function
	.set _ZN9rocsparseL26bsric0_2_8_unrolled_kernelILi16ELi32ELi4EfEEv20rocsparse_direction_iiPKiS3_PT2_S3_PiS3_S6_21rocsparse_index_base_.num_vgpr, 66
	.set _ZN9rocsparseL26bsric0_2_8_unrolled_kernelILi16ELi32ELi4EfEEv20rocsparse_direction_iiPKiS3_PT2_S3_PiS3_S6_21rocsparse_index_base_.num_agpr, 0
	.set _ZN9rocsparseL26bsric0_2_8_unrolled_kernelILi16ELi32ELi4EfEEv20rocsparse_direction_iiPKiS3_PT2_S3_PiS3_S6_21rocsparse_index_base_.numbered_sgpr, 40
	.set _ZN9rocsparseL26bsric0_2_8_unrolled_kernelILi16ELi32ELi4EfEEv20rocsparse_direction_iiPKiS3_PT2_S3_PiS3_S6_21rocsparse_index_base_.num_named_barrier, 0
	.set _ZN9rocsparseL26bsric0_2_8_unrolled_kernelILi16ELi32ELi4EfEEv20rocsparse_direction_iiPKiS3_PT2_S3_PiS3_S6_21rocsparse_index_base_.private_seg_size, 0
	.set _ZN9rocsparseL26bsric0_2_8_unrolled_kernelILi16ELi32ELi4EfEEv20rocsparse_direction_iiPKiS3_PT2_S3_PiS3_S6_21rocsparse_index_base_.uses_vcc, 1
	.set _ZN9rocsparseL26bsric0_2_8_unrolled_kernelILi16ELi32ELi4EfEEv20rocsparse_direction_iiPKiS3_PT2_S3_PiS3_S6_21rocsparse_index_base_.uses_flat_scratch, 0
	.set _ZN9rocsparseL26bsric0_2_8_unrolled_kernelILi16ELi32ELi4EfEEv20rocsparse_direction_iiPKiS3_PT2_S3_PiS3_S6_21rocsparse_index_base_.has_dyn_sized_stack, 0
	.set _ZN9rocsparseL26bsric0_2_8_unrolled_kernelILi16ELi32ELi4EfEEv20rocsparse_direction_iiPKiS3_PT2_S3_PiS3_S6_21rocsparse_index_base_.has_recursion, 0
	.set _ZN9rocsparseL26bsric0_2_8_unrolled_kernelILi16ELi32ELi4EfEEv20rocsparse_direction_iiPKiS3_PT2_S3_PiS3_S6_21rocsparse_index_base_.has_indirect_call, 0
	.section	.AMDGPU.csdata,"",@progbits
; Kernel info:
; codeLenInByte = 6488
; TotalNumSgprs: 46
; NumVgprs: 66
; NumAgprs: 0
; TotalNumVgprs: 66
; ScratchSize: 0
; MemoryBound: 0
; FloatMode: 240
; IeeeMode: 1
; LDSByteSize: 704 bytes/workgroup (compile time only)
; SGPRBlocks: 5
; VGPRBlocks: 8
; NumSGPRsForWavesPerEU: 46
; NumVGPRsForWavesPerEU: 66
; AccumOffset: 68
; Occupancy: 7
; WaveLimiterHint : 1
; COMPUTE_PGM_RSRC2:SCRATCH_EN: 0
; COMPUTE_PGM_RSRC2:USER_SGPR: 2
; COMPUTE_PGM_RSRC2:TRAP_HANDLER: 0
; COMPUTE_PGM_RSRC2:TGID_X_EN: 1
; COMPUTE_PGM_RSRC2:TGID_Y_EN: 0
; COMPUTE_PGM_RSRC2:TGID_Z_EN: 0
; COMPUTE_PGM_RSRC2:TIDIG_COMP_CNT: 1
; COMPUTE_PGM_RSRC3_GFX90A:ACCUM_OFFSET: 16
; COMPUTE_PGM_RSRC3_GFX90A:TG_SPLIT: 0
	.section	.text._ZN9rocsparseL26bsric0_2_8_unrolled_kernelILi25ELi32ELi5EfEEv20rocsparse_direction_iiPKiS3_PT2_S3_PiS3_S6_21rocsparse_index_base_,"axG",@progbits,_ZN9rocsparseL26bsric0_2_8_unrolled_kernelILi25ELi32ELi5EfEEv20rocsparse_direction_iiPKiS3_PT2_S3_PiS3_S6_21rocsparse_index_base_,comdat
	.globl	_ZN9rocsparseL26bsric0_2_8_unrolled_kernelILi25ELi32ELi5EfEEv20rocsparse_direction_iiPKiS3_PT2_S3_PiS3_S6_21rocsparse_index_base_ ; -- Begin function _ZN9rocsparseL26bsric0_2_8_unrolled_kernelILi25ELi32ELi5EfEEv20rocsparse_direction_iiPKiS3_PT2_S3_PiS3_S6_21rocsparse_index_base_
	.p2align	8
	.type	_ZN9rocsparseL26bsric0_2_8_unrolled_kernelILi25ELi32ELi5EfEEv20rocsparse_direction_iiPKiS3_PT2_S3_PiS3_S6_21rocsparse_index_base_,@function
_ZN9rocsparseL26bsric0_2_8_unrolled_kernelILi25ELi32ELi5EfEEv20rocsparse_direction_iiPKiS3_PT2_S3_PiS3_S6_21rocsparse_index_base_: ; @_ZN9rocsparseL26bsric0_2_8_unrolled_kernelILi25ELi32ELi5EfEEv20rocsparse_direction_iiPKiS3_PT2_S3_PiS3_S6_21rocsparse_index_base_
; %bb.0:
	s_load_dwordx8 s[4:11], s[0:1], 0x28
	s_mov_b32 s3, 0
	s_lshl_b64 s[2:3], s[2:3], 2
	v_and_b32_e32 v6, 0x3ff, v0
	v_bfe_u32 v7, v0, 10, 10
	s_waitcnt lgkmcnt(0)
	s_add_u32 s2, s8, s2
	s_addc_u32 s3, s9, s3
	s_load_dword s16, s[2:3], 0x0
	s_waitcnt lgkmcnt(0)
	s_ashr_i32 s17, s16, 31
	s_lshl_b64 s[8:9], s[16:17], 2
	s_add_u32 s2, s4, s8
	s_addc_u32 s3, s5, s9
	s_load_dword s30, s[2:3], 0x0
	s_load_dword s17, s[0:1], 0x48
	s_waitcnt lgkmcnt(0)
	s_cmp_lg_u32 s30, -1
	s_cbranch_scc0 .LBB6_109
; %bb.1:
	s_load_dwordx4 s[12:15], s[0:1], 0x10
	s_load_dwordx2 s[18:19], s[0:1], 0x20
	v_mad_u32_u24 v8, v7, 5, v6
	v_mul_u32_u24_e32 v11, 5, v7
	s_waitcnt lgkmcnt(0)
	s_add_u32 s2, s12, s8
	s_addc_u32 s3, s13, s9
	s_load_dword s26, s[2:3], 0x0
	s_waitcnt lgkmcnt(0)
	s_sub_i32 s31, s26, s17
	v_add_u32_e32 v0, s31, v8
	v_cmp_ge_i32_e32 vcc, s30, v0
	s_and_saveexec_b64 s[20:21], vcc
	s_cbranch_execz .LBB6_14
; %bb.2:
	v_add_u32_e32 v1, s26, v6
	v_add_u32_e32 v2, v1, v11
	v_subrev_u32_e32 v2, s17, v2
	v_add_u32_e32 v2, 25, v2
	s_add_i32 s2, s30, 1
	v_max_i32_e32 v2, s2, v2
	v_add_u32_e32 v2, s17, v2
	v_sub_u32_e32 v1, v2, v1
	v_subrev_u32_e32 v1, 25, v1
	v_cmp_ne_u32_e32 vcc, v1, v11
	s_mov_b64 s[22:23], -1
	s_nop 0
	v_addc_co_u32_e64 v2, s[2:3], 0, v11, vcc
	v_sub_u32_e32 v1, v1, v2
	s_mov_b32 s2, 0x51eb851f
	v_mul_hi_u32 v1, v1, s2
	v_lshrrev_b32_e32 v1, 3, v1
	v_addc_co_u32_e32 v4, vcc, 0, v1, vcc
	v_cmp_ne_u32_e32 vcc, 0, v4
	s_and_saveexec_b64 s[2:3], vcc
	s_cbranch_execz .LBB6_11
; %bb.3:
	v_add_u32_e32 v2, -1, v4
	v_add_u32_e32 v1, 25, v0
	v_lshrrev_b32_e32 v2, 1, v2
	v_add_u32_e32 v5, 1, v2
	v_cmp_lt_u32_e32 vcc, 14, v4
	v_mov_b64_e32 v[2:3], v[0:1]
	s_and_saveexec_b64 s[22:23], vcc
	s_cbranch_execz .LBB6_7
; %bb.4:
	v_and_b32_e32 v9, -8, v5
	s_mov_b64 s[24:25], 0
	v_mov_b64_e32 v[2:3], v[0:1]
.LBB6_5:                                ; =>This Inner Loop Header: Depth=1
	v_ashrrev_i32_e32 v15, 31, v2
	v_mov_b32_e32 v14, v2
	v_ashrrev_i32_e32 v13, 31, v3
	v_mov_b32_e32 v12, v3
	v_add_u32_e32 v16, 50, v2
	v_add_u32_e32 v18, 50, v3
	v_lshl_add_u64 v[14:15], v[14:15], 2, s[14:15]
	v_add_u32_e32 v20, 0x64, v2
	v_add_u32_e32 v22, 0x64, v3
	;; [unrolled: 1-line block ×12, first 2 shown]
	v_lshl_add_u64 v[12:13], v[12:13], 2, s[14:15]
	v_ashrrev_i32_e32 v19, 31, v18
	v_ashrrev_i32_e32 v17, 31, v16
	global_load_dword v1, v[14:15], off
	global_load_dword v10, v[12:13], off
	v_ashrrev_i32_e32 v23, 31, v22
	v_ashrrev_i32_e32 v21, 31, v20
	;; [unrolled: 1-line block ×12, first 2 shown]
	v_lshl_add_u64 v[12:13], v[16:17], 2, s[14:15]
	v_lshl_add_u64 v[14:15], v[18:19], 2, s[14:15]
	;; [unrolled: 1-line block ×13, first 2 shown]
	global_load_dword v17, v[14:15], off
	v_lshl_add_u64 v[14:15], v[42:43], 2, s[14:15]
	global_load_dword v19, v[12:13], off
	global_load_dword v21, v[46:47], off
	;; [unrolled: 1-line block ×13, first 2 shown]
	v_subrev_u32_e32 v13, s31, v2
	v_add_u32_e32 v9, -8, v9
	v_subrev_u32_e32 v12, s31, v3
	v_lshlrev_b32_e32 v13, 2, v13
	v_subrev_u32_e32 v15, s31, v16
	v_cmp_eq_u32_e32 vcc, 0, v9
	v_add_u32_e32 v3, 0x190, v3
	v_add_u32_e32 v2, 0x190, v2
	v_lshlrev_b32_e32 v12, 2, v12
	v_subrev_u32_e32 v14, s31, v18
	v_subrev_u32_e32 v16, s31, v22
	;; [unrolled: 1-line block ×13, first 2 shown]
	v_lshlrev_b32_e32 v15, 2, v15
	s_or_b64 s[24:25], vcc, s[24:25]
	v_lshlrev_b32_e32 v14, 2, v14
	v_lshlrev_b32_e32 v18, 2, v18
	;; [unrolled: 1-line block ×13, first 2 shown]
	s_waitcnt vmcnt(15)
	v_subrev_u32_e32 v1, s17, v1
	s_waitcnt vmcnt(14)
	v_subrev_u32_e32 v10, s17, v10
	ds_write_b32 v13, v1 offset:256
	ds_write_b32 v12, v10 offset:256
	s_waitcnt vmcnt(12)
	v_subrev_u32_e32 v10, s17, v19
	s_waitcnt vmcnt(11)
	v_subrev_u32_e32 v12, s17, v21
	;; [unrolled: 2-line block ×8, first 2 shown]
	v_subrev_u32_e32 v1, s17, v17
	v_subrev_u32_e32 v17, s17, v25
	;; [unrolled: 1-line block ×3, first 2 shown]
	s_waitcnt vmcnt(2)
	v_subrev_u32_e32 v31, s17, v39
	s_waitcnt vmcnt(1)
	v_subrev_u32_e32 v33, s17, v41
	s_waitcnt vmcnt(0)
	v_subrev_u32_e32 v35, s17, v43
	ds_write_b32 v15, v10 offset:256
	ds_write_b32 v14, v1 offset:256
	;; [unrolled: 1-line block ×14, first 2 shown]
	s_andn2_b64 exec, exec, s[24:25]
	s_cbranch_execnz .LBB6_5
; %bb.6:
	s_or_b64 exec, exec, s[24:25]
.LBB6_7:
	s_or_b64 exec, exec, s[22:23]
	v_and_b32_e32 v1, 7, v5
	v_cmp_ne_u32_e32 vcc, 0, v1
	s_and_saveexec_b64 s[22:23], vcc
	s_cbranch_execz .LBB6_10
; %bb.8:
	v_sub_u32_e32 v1, 0, v1
	s_mov_b64 s[24:25], 0
.LBB6_9:                                ; =>This Inner Loop Header: Depth=1
	v_ashrrev_i32_e32 v13, 31, v3
	v_mov_b32_e32 v12, v3
	v_ashrrev_i32_e32 v15, 31, v2
	v_mov_b32_e32 v14, v2
	v_lshl_add_u64 v[12:13], v[12:13], 2, s[14:15]
	v_lshl_add_u64 v[14:15], v[14:15], 2, s[14:15]
	global_load_dword v5, v[12:13], off
	global_load_dword v9, v[14:15], off
	v_subrev_u32_e32 v12, s31, v2
	v_add_co_u32_e32 v1, vcc, 1, v1
	v_subrev_u32_e32 v10, s31, v3
	v_add_u32_e32 v3, 50, v3
	v_add_u32_e32 v2, 50, v2
	v_lshlrev_b32_e32 v12, 2, v12
	s_or_b64 s[24:25], vcc, s[24:25]
	v_lshlrev_b32_e32 v10, 2, v10
	s_waitcnt vmcnt(1)
	v_subrev_u32_e32 v5, s17, v5
	s_waitcnt vmcnt(0)
	v_subrev_u32_e32 v9, s17, v9
	ds_write_b32 v12, v9 offset:256
	ds_write_b32 v10, v5 offset:256
	s_andn2_b64 exec, exec, s[24:25]
	s_cbranch_execnz .LBB6_9
.LBB6_10:
	s_or_b64 exec, exec, s[22:23]
	v_add_u32_e32 v2, 1, v4
	v_and_b32_e32 v3, 0x3ffffffe, v2
	v_mad_u64_u32 v[0:1], s[22:23], v3, 25, v[0:1]
	v_cmp_ne_u32_e32 vcc, v2, v3
	s_orn2_b64 s[22:23], vcc, exec
.LBB6_11:
	s_or_b64 exec, exec, s[2:3]
	s_and_b64 exec, exec, s[22:23]
	s_cbranch_execz .LBB6_14
; %bb.12:
	v_add_u32_e32 v1, s17, v0
	v_subrev_u32_e32 v1, s26, v1
	v_mov_b32_e32 v2, 0x100
	v_lshl_add_u32 v4, v1, 2, v2
	v_ashrrev_i32_e32 v1, 31, v0
	v_lshl_add_u64 v[2:3], v[0:1], 2, s[14:15]
	s_mov_b64 s[2:3], 0
	s_mov_b64 s[22:23], 0x64
.LBB6_13:                               ; =>This Inner Loop Header: Depth=1
	global_load_dword v1, v[2:3], off
	v_add_u32_e32 v0, 25, v0
	v_cmp_lt_i32_e32 vcc, s30, v0
	v_lshl_add_u64 v[2:3], v[2:3], 0, s[22:23]
	s_or_b64 s[2:3], vcc, s[2:3]
	s_waitcnt vmcnt(0)
	v_subrev_u32_e32 v1, s17, v1
	ds_write_b32 v4, v1
	v_add_u32_e32 v4, 0x64, v4
	s_andn2_b64 exec, exec, s[2:3]
	s_cbranch_execnz .LBB6_13
.LBB6_14:
	s_or_b64 exec, exec, s[20:21]
	s_load_dword s33, s[0:1], 0x0
	v_mov_b32_e32 v0, 0x300
	v_mad_u32_u24 v10, v7, 24, v0
	v_lshl_add_u32 v9, v6, 2, v10
	v_mov_b32_e32 v12, 0
	s_cmp_ge_i32 s31, s30
	v_mad_u32_u24 v1, v6, 5, v7
	ds_write_b32 v9, v12
	s_waitcnt lgkmcnt(0)
	s_cbranch_scc1 .LBB6_61
; %bb.15:
	s_cmp_lg_u32 s33, 0
	v_mul_u32_u24_e32 v3, 24, v7
	v_lshlrev_b32_e32 v4, 2, v6
	s_movk_i32 s0, 0x180
	s_cselect_b64 s[2:3], -1, 0
	s_cmp_eq_u32 s33, 0
	v_mov_b32_e32 v2, 0x280
	v_add3_u32 v16, v3, v4, s0
	v_mov_b32_e32 v3, 0x200
	v_mad_u32_u24 v0, v6, 5, v7
	v_mad_u32_u24 v14, v7, 24, v2
	;; [unrolled: 1-line block ×4, first 2 shown]
	v_or_b32_e32 v2, v6, v7
	s_cselect_b64 vcc, -1, 0
	v_mul_u32_u24_e32 v13, 5, v6
	v_add_u32_e32 v15, v14, v4
	v_add_u32_e32 v18, v17, v4
	v_cmp_ne_u32_e64 s[0:1], 0, v2
	v_cndmask_b32_e32 v0, v0, v8, vcc
	s_mov_b32 s20, s31
	s_branch .LBB6_18
.LBB6_16:                               ;   in Loop: Header=BB6_18 Depth=1
	s_or_b64 exec, exec, s[24:25]
	v_mov_b32_e32 v5, 1.0
.LBB6_17:                               ;   in Loop: Header=BB6_18 Depth=1
	s_or_b64 exec, exec, s[22:23]
	ds_read_b128 v[20:23], v12 offset:480
	ds_read2_b64 v[24:27], v14 offset1:1
	ds_read_b32 v28, v17 offset:16
	s_add_i32 s20, s20, 1
	s_cmp_ge_i32 s20, s30
	s_waitcnt lgkmcnt(0)
	v_fmac_f32_e32 v28, v20, v24
	v_fmac_f32_e32 v28, v21, v25
	;; [unrolled: 1-line block ×4, first 2 shown]
	v_sub_f32_e32 v4, v4, v28
	v_div_scale_f32 v20, s[22:23], v5, v5, v4
	v_rcp_f32_e32 v21, v20
	v_div_scale_f32 v22, vcc, v4, v5, v4
	s_cselect_b64 s[22:23], -1, 0
	v_fma_f32 v23, -v20, v21, 1.0
	v_fmac_f32_e32 v21, v23, v21
	v_mul_f32_e32 v23, v22, v21
	v_fma_f32 v24, -v20, v23, v22
	v_fmac_f32_e32 v23, v24, v21
	v_fma_f32 v20, -v20, v23, v22
	v_div_fmas_f32 v20, v20, v21, v23
	v_div_fixup_f32 v4, v20, v5, v4
	ds_write_b32 v14, v4 offset:16
	s_waitcnt lgkmcnt(0)
	ds_read_b32 v5, v19 offset:16
	ds_read_b32 v20, v9
	s_waitcnt lgkmcnt(0)
	v_fmac_f32_e32 v20, v4, v5
	ds_write_b32 v9, v20
	s_waitcnt lgkmcnt(0)
	ds_read_b32 v4, v15
	s_waitcnt lgkmcnt(0)
	global_store_dword v[2:3], v4, off
	buffer_wbl2 sc1
	s_waitcnt vmcnt(0)
	buffer_inv sc1
	s_and_b64 vcc, exec, s[22:23]
	s_cbranch_vccnz .LBB6_61
.LBB6_18:                               ; =>This Loop Header: Depth=1
                                        ;     Child Loop BB6_21 Depth 2
                                        ;     Child Loop BB6_32 Depth 2
	;; [unrolled: 1-line block ×3, first 2 shown]
	s_ashr_i32 s21, s20, 31
	s_lshl_b64 s[22:23], s[20:21], 2
	s_add_u32 s22, s14, s22
	s_addc_u32 s23, s15, s23
	s_load_dword s21, s[22:23], 0x0
	s_waitcnt lgkmcnt(0)
	s_sub_i32 s24, s21, s17
	s_ashr_i32 s25, s24, 31
	s_lshl_b64 s[22:23], s[24:25], 2
	s_add_u32 s26, s4, s22
	s_addc_u32 s27, s5, s23
	s_load_dword s25, s[26:27], 0x0
	s_waitcnt lgkmcnt(0)
	s_cmp_eq_u32 s25, -1
	s_cbranch_scc1 .LBB6_60
; %bb.19:                               ;   in Loop: Header=BB6_18 Depth=1
	v_mad_u64_u32 v[2:3], s[26:27], s20, 25, v[0:1]
	v_ashrrev_i32_e32 v3, 31, v2
	v_lshl_add_u64 v[2:3], v[2:3], 2, s[18:19]
	global_load_dword v4, v[2:3], off
	s_add_u32 s26, s12, s22
	s_addc_u32 s27, s13, s23
	s_load_dword s26, s[26:27], 0x0
	ds_read_b32 v5, v12 offset:256
	s_mov_b32 s27, 0
	s_waitcnt lgkmcnt(0)
	s_sub_i32 s26, s26, s17
	s_cmp_le_i32 s26, s25
	v_cmp_ge_i32_e32 vcc, s24, v5
	s_cselect_b64 s[28:29], -1, 0
	s_and_b64 s[28:29], s[28:29], vcc
	s_andn2_b64 vcc, exec, s[28:29]
	s_waitcnt vmcnt(0)
	ds_write_b32 v15, v4
	s_cbranch_vccnz .LBB6_31
; %bb.20:                               ;   in Loop: Header=BB6_18 Depth=1
	s_mov_b32 s34, 0
	s_mov_b32 s35, 0
.LBB6_21:                               ;   Parent Loop BB6_18 Depth=1
                                        ; =>  This Inner Loop Header: Depth=2
	s_ashr_i32 s27, s26, 31
	s_lshl_b64 s[28:29], s[26:27], 2
	s_add_u32 s28, s14, s28
	s_addc_u32 s29, s15, s29
	s_load_dword s27, s[28:29], 0x0
	s_lshl_b32 s28, s35, 2
	v_mov_b32_e32 v4, s28
	ds_read_b32 v4, v4 offset:256
	s_mov_b64 s[28:29], -1
	s_waitcnt lgkmcnt(0)
	s_sub_i32 s39, s27, s17
                                        ; implicit-def: $sgpr27
                                        ; implicit-def: $sgpr38
                                        ; implicit-def: $sgpr37
	v_cmp_ge_i32_e32 vcc, s39, v4
	v_readfirstlane_b32 s36, v4
	s_cbranch_vccz .LBB6_27
; %bb.22:                               ;   in Loop: Header=BB6_21 Depth=2
	s_cmp_le_i32 s39, s36
                                        ; implicit-def: $sgpr27
                                        ; implicit-def: $sgpr38
                                        ; implicit-def: $sgpr37
	s_cbranch_scc0 .LBB6_24
; %bb.23:                               ;   in Loop: Header=BB6_21 Depth=2
	s_add_i32 s27, s35, s31
	s_mul_i32 s27, s27, 25
	s_lshl_b32 s28, s34, 2
	v_mov_b32_e32 v5, s27
	s_mul_i32 s27, s26, 25
	v_mov_b32_e32 v4, s28
	v_mov_b32_e32 v20, s27
	ds_write2_b32 v4, v20, v5 offset1:32
	s_add_i32 s37, s35, 1
	s_add_i32 s38, s26, 1
	;; [unrolled: 1-line block ×3, first 2 shown]
	s_mov_b64 s[28:29], 0
.LBB6_24:                               ;   in Loop: Header=BB6_21 Depth=2
	s_andn2_b64 vcc, exec, s[28:29]
	s_cbranch_vccnz .LBB6_26
; %bb.25:                               ;   in Loop: Header=BB6_21 Depth=2
	s_add_i32 s37, s35, 1
	s_mov_b32 s27, s34
	s_mov_b32 s38, s26
.LBB6_26:                               ;   in Loop: Header=BB6_21 Depth=2
	s_mov_b64 s[28:29], 0
.LBB6_27:                               ;   in Loop: Header=BB6_21 Depth=2
	s_andn2_b64 vcc, exec, s[28:29]
	s_cbranch_vccnz .LBB6_29
; %bb.28:                               ;   in Loop: Header=BB6_21 Depth=2
	s_add_i32 s38, s26, 1
	s_mov_b32 s37, s35
	s_mov_b32 s27, s34
.LBB6_29:                               ;   in Loop: Header=BB6_21 Depth=2
	s_cmp_le_i32 s38, s25
	s_cselect_b64 s[28:29], -1, 0
	s_cmp_le_i32 s36, s24
	s_cselect_b64 s[34:35], -1, 0
	s_and_b64 s[28:29], s[28:29], s[34:35]
	s_and_b64 vcc, exec, s[28:29]
	s_cbranch_vccz .LBB6_31
; %bb.30:                               ;   in Loop: Header=BB6_21 Depth=2
	s_mov_b32 s34, s27
	s_mov_b32 s26, s38
	;; [unrolled: 1-line block ×3, first 2 shown]
	s_branch .LBB6_21
.LBB6_31:                               ;   in Loop: Header=BB6_18 Depth=1
	s_add_u32 s22, s6, s22
	s_addc_u32 s23, s7, s23
	s_waitcnt lgkmcnt(0)
.LBB6_32:                               ;   Parent Loop BB6_18 Depth=1
                                        ; =>  This Inner Loop Header: Depth=2
	global_load_dword v4, v12, s[22:23] sc1
	s_waitcnt vmcnt(0)
	v_cmp_eq_u32_e32 vcc, 0, v4
	s_cbranch_vccnz .LBB6_32
; %bb.33:                               ;   in Loop: Header=BB6_18 Depth=1
	v_mad_u64_u32 v[4:5], s[22:23], s25, 25, v[0:1]
	v_ashrrev_i32_e32 v5, 31, v4
	v_lshl_add_u64 v[4:5], v[4:5], 2, s[18:19]
	buffer_inv sc1
	global_load_dword v4, v[4:5], off
	s_cmp_lt_i32 s27, 2
	v_mov_b32_e32 v21, 0
	s_waitcnt vmcnt(0)
	ds_write_b32 v16, v4
	s_waitcnt lgkmcnt(0)
	s_cbranch_scc1 .LBB6_41
; %bb.34:                               ;   in Loop: Header=BB6_18 Depth=1
	s_add_i32 s24, s27, -1
	v_mov_b32_e32 v20, 0
	s_mov_b32 s25, 0
.LBB6_35:                               ;   Parent Loop BB6_18 Depth=1
                                        ; =>  This Inner Loop Header: Depth=2
	s_waitcnt lgkmcnt(0)
	v_mov_b32_e32 v4, s25
	ds_read2_b32 v[4:5], v4 offset1:32
	s_mov_b64 s[22:23], -1
	s_and_b64 vcc, exec, s[2:3]
                                        ; implicit-def: $vgpr21
	s_cbranch_vccz .LBB6_38
; %bb.36:                               ;   in Loop: Header=BB6_35 Depth=2
	s_waitcnt lgkmcnt(0)
	v_add_u32_e32 v22, v4, v6
	v_add_u32_e32 v26, v5, v7
	v_ashrrev_i32_e32 v23, 31, v22
	v_add_u32_e32 v30, 5, v22
	v_add_u32_e32 v32, 5, v26
	;; [unrolled: 1-line block ×6, first 2 shown]
	v_lshl_add_u64 v[24:25], v[22:23], 2, s[18:19]
	v_ashrrev_i32_e32 v27, 31, v26
	v_ashrrev_i32_e32 v31, 31, v30
	;; [unrolled: 1-line block ×7, first 2 shown]
	v_add_u32_e32 v22, 20, v22
	v_lshl_add_u64 v[28:29], v[26:27], 2, s[18:19]
	v_lshl_add_u64 v[30:31], v[30:31], 2, s[18:19]
	;; [unrolled: 1-line block ×7, first 2 shown]
	global_load_dword v21, v[24:25], off
	global_load_dword v27, v[28:29], off
	global_load_dword v42, v[30:31], off
	global_load_dword v43, v[32:33], off
	global_load_dword v44, v[34:35], off
	global_load_dword v45, v[36:37], off
	global_load_dword v46, v[38:39], off
	global_load_dword v47, v[40:41], off
	v_ashrrev_i32_e32 v23, 31, v22
	v_add_u32_e32 v24, 20, v26
	v_lshl_add_u64 v[22:23], v[22:23], 2, s[18:19]
	v_ashrrev_i32_e32 v25, 31, v24
	v_lshl_add_u64 v[24:25], v[24:25], 2, s[18:19]
	global_load_dword v26, v[22:23], off
	global_load_dword v28, v[24:25], off
	s_waitcnt vmcnt(8)
	v_fma_f32 v21, v21, v27, v20
	s_waitcnt vmcnt(6)
	v_fmac_f32_e32 v21, v42, v43
	s_waitcnt vmcnt(4)
	v_fmac_f32_e32 v21, v44, v45
	;; [unrolled: 2-line block ×4, first 2 shown]
	s_cbranch_execz .LBB6_39
.LBB6_37:                               ;   in Loop: Header=BB6_35 Depth=2
	s_add_i32 s24, s24, -1
	s_add_i32 s25, s25, 4
	s_cmp_eq_u32 s24, 0
	s_cbranch_scc0 .LBB6_40
	s_branch .LBB6_41
.LBB6_38:                               ;   in Loop: Header=BB6_35 Depth=2
	s_andn2_b64 vcc, exec, s[22:23]
	s_cbranch_vccnz .LBB6_37
.LBB6_39:                               ;   in Loop: Header=BB6_35 Depth=2
	s_waitcnt lgkmcnt(0)
	v_add_u32_e32 v22, v4, v13
	v_add_u32_e32 v4, v5, v11
	v_ashrrev_i32_e32 v5, 31, v4
	v_ashrrev_i32_e32 v23, 31, v22
	v_lshl_add_u64 v[4:5], v[4:5], 2, s[18:19]
	v_lshl_add_u64 v[30:31], v[22:23], 2, s[18:19]
	global_load_dwordx4 v[22:25], v[4:5], off
	global_load_dwordx4 v[26:29], v[30:31], off
	global_load_dword v21, v[30:31], off offset:16
	global_load_dword v32, v[4:5], off offset:16
	s_waitcnt vmcnt(2)
	v_fmac_f32_e32 v20, v26, v22
	v_fmac_f32_e32 v20, v27, v23
	;; [unrolled: 1-line block ×4, first 2 shown]
	s_waitcnt vmcnt(0)
	v_fmac_f32_e32 v20, v21, v32
	v_mov_b32_e32 v21, v20
	s_add_i32 s24, s24, -1
	s_add_i32 s25, s25, 4
	s_cmp_eq_u32 s24, 0
	s_cbranch_scc1 .LBB6_41
.LBB6_40:                               ;   in Loop: Header=BB6_35 Depth=2
	v_mov_b32_e32 v20, v21
	s_branch .LBB6_35
.LBB6_41:                               ;   in Loop: Header=BB6_18 Depth=1
	ds_write_b32 v18, v21
	s_waitcnt lgkmcnt(0)
	ds_read_b32 v5, v12 offset:384
	ds_read_b32 v4, v14
	s_waitcnt lgkmcnt(1)
	v_cmp_neq_f32_e32 vcc, 0, v5
	s_nop 1
	v_cndmask_b32_e32 v5, 1.0, v5, vcc
	s_nor_b64 s[24:25], vcc, s[0:1]
	s_and_saveexec_b64 s[22:23], s[24:25]
	s_cbranch_execz .LBB6_45
; %bb.42:                               ;   in Loop: Header=BB6_18 Depth=1
	v_mbcnt_lo_u32_b32 v5, exec_lo, 0
	v_mbcnt_hi_u32_b32 v5, exec_hi, v5
	v_cmp_eq_u32_e32 vcc, 0, v5
	s_and_saveexec_b64 s[24:25], vcc
	s_cbranch_execz .LBB6_44
; %bb.43:                               ;   in Loop: Header=BB6_18 Depth=1
	v_mov_b32_e32 v5, s21
	global_atomic_smin v12, v5, s[10:11]
.LBB6_44:                               ;   in Loop: Header=BB6_18 Depth=1
	s_or_b64 exec, exec, s[24:25]
	v_mov_b32_e32 v5, 1.0
.LBB6_45:                               ;   in Loop: Header=BB6_18 Depth=1
	s_or_b64 exec, exec, s[22:23]
	ds_read_b32 v20, v17
	s_waitcnt lgkmcnt(0)
	v_sub_f32_e32 v4, v4, v20
	v_div_scale_f32 v20, s[22:23], v5, v5, v4
	v_rcp_f32_e32 v21, v20
	v_div_scale_f32 v22, vcc, v4, v5, v4
	v_fma_f32 v23, -v20, v21, 1.0
	v_fmac_f32_e32 v21, v23, v21
	v_mul_f32_e32 v23, v22, v21
	v_fma_f32 v24, -v20, v23, v22
	v_fmac_f32_e32 v23, v24, v21
	v_fma_f32 v20, -v20, v23, v22
	v_div_fmas_f32 v20, v20, v21, v23
	v_div_fixup_f32 v4, v20, v5, v4
	ds_write_b32 v14, v4
	s_waitcnt lgkmcnt(0)
	ds_read_b32 v5, v19
	ds_read_b32 v20, v9
	s_waitcnt lgkmcnt(0)
	v_fmac_f32_e32 v20, v4, v5
	ds_write_b32 v9, v20
	s_waitcnt lgkmcnt(0)
	ds_read_b32 v5, v12 offset:412
	ds_read_b32 v4, v14 offset:4
	s_waitcnt lgkmcnt(1)
	v_cmp_neq_f32_e32 vcc, 0, v5
	s_nop 1
	v_cndmask_b32_e32 v5, 1.0, v5, vcc
	s_nor_b64 s[24:25], vcc, s[0:1]
	s_and_saveexec_b64 s[22:23], s[24:25]
	s_cbranch_execz .LBB6_49
; %bb.46:                               ;   in Loop: Header=BB6_18 Depth=1
	v_mbcnt_lo_u32_b32 v5, exec_lo, 0
	v_mbcnt_hi_u32_b32 v5, exec_hi, v5
	v_cmp_eq_u32_e32 vcc, 0, v5
	s_and_saveexec_b64 s[24:25], vcc
	s_cbranch_execz .LBB6_48
; %bb.47:                               ;   in Loop: Header=BB6_18 Depth=1
	v_mov_b32_e32 v5, s21
	global_atomic_smin v12, v5, s[10:11]
.LBB6_48:                               ;   in Loop: Header=BB6_18 Depth=1
	s_or_b64 exec, exec, s[24:25]
	v_mov_b32_e32 v5, 1.0
.LBB6_49:                               ;   in Loop: Header=BB6_18 Depth=1
	s_or_b64 exec, exec, s[22:23]
	ds_read_b32 v20, v12 offset:408
	ds_read_b32 v21, v14
	ds_read_b32 v22, v17 offset:4
	s_waitcnt lgkmcnt(0)
	v_fmac_f32_e32 v22, v20, v21
	v_sub_f32_e32 v4, v4, v22
	v_div_scale_f32 v20, s[22:23], v5, v5, v4
	v_rcp_f32_e32 v21, v20
	v_div_scale_f32 v22, vcc, v4, v5, v4
	v_fma_f32 v23, -v20, v21, 1.0
	v_fmac_f32_e32 v21, v23, v21
	v_mul_f32_e32 v23, v22, v21
	v_fma_f32 v24, -v20, v23, v22
	v_fmac_f32_e32 v23, v24, v21
	v_fma_f32 v20, -v20, v23, v22
	v_div_fmas_f32 v20, v20, v21, v23
	v_div_fixup_f32 v4, v20, v5, v4
	ds_write_b32 v14, v4 offset:4
	s_waitcnt lgkmcnt(0)
	ds_read_b32 v5, v19 offset:4
	ds_read_b32 v20, v9
	s_waitcnt lgkmcnt(0)
	v_fmac_f32_e32 v20, v4, v5
	ds_write_b32 v9, v20
	s_waitcnt lgkmcnt(0)
	ds_read_b32 v5, v12 offset:440
	ds_read_b32 v4, v14 offset:8
	s_waitcnt lgkmcnt(1)
	v_cmp_neq_f32_e32 vcc, 0, v5
	s_nop 1
	v_cndmask_b32_e32 v5, 1.0, v5, vcc
	s_nor_b64 s[24:25], vcc, s[0:1]
	s_and_saveexec_b64 s[22:23], s[24:25]
	s_cbranch_execz .LBB6_53
; %bb.50:                               ;   in Loop: Header=BB6_18 Depth=1
	v_mbcnt_lo_u32_b32 v5, exec_lo, 0
	v_mbcnt_hi_u32_b32 v5, exec_hi, v5
	v_cmp_eq_u32_e32 vcc, 0, v5
	s_and_saveexec_b64 s[24:25], vcc
	s_cbranch_execz .LBB6_52
; %bb.51:                               ;   in Loop: Header=BB6_18 Depth=1
	v_mov_b32_e32 v5, s21
	global_atomic_smin v12, v5, s[10:11]
.LBB6_52:                               ;   in Loop: Header=BB6_18 Depth=1
	s_or_b64 exec, exec, s[24:25]
	v_mov_b32_e32 v5, 1.0
.LBB6_53:                               ;   in Loop: Header=BB6_18 Depth=1
	s_or_b64 exec, exec, s[22:23]
	ds_read_b64 v[20:21], v12 offset:432
	ds_read_b64 v[22:23], v14
	ds_read_b32 v24, v17 offset:8
	s_waitcnt lgkmcnt(0)
	v_fmac_f32_e32 v24, v20, v22
	v_fmac_f32_e32 v24, v21, v23
	v_sub_f32_e32 v4, v4, v24
	v_div_scale_f32 v20, s[22:23], v5, v5, v4
	v_rcp_f32_e32 v21, v20
	v_div_scale_f32 v22, vcc, v4, v5, v4
	v_fma_f32 v23, -v20, v21, 1.0
	v_fmac_f32_e32 v21, v23, v21
	v_mul_f32_e32 v23, v22, v21
	v_fma_f32 v24, -v20, v23, v22
	v_fmac_f32_e32 v23, v24, v21
	v_fma_f32 v20, -v20, v23, v22
	v_div_fmas_f32 v20, v20, v21, v23
	v_div_fixup_f32 v4, v20, v5, v4
	ds_write_b32 v14, v4 offset:8
	s_waitcnt lgkmcnt(0)
	ds_read_b32 v5, v19 offset:8
	ds_read_b32 v20, v9
	s_waitcnt lgkmcnt(0)
	v_fmac_f32_e32 v20, v4, v5
	ds_write_b32 v9, v20
	s_waitcnt lgkmcnt(0)
	ds_read_b32 v5, v12 offset:468
	ds_read_b32 v4, v14 offset:12
	s_waitcnt lgkmcnt(1)
	v_cmp_neq_f32_e32 vcc, 0, v5
	s_nop 1
	v_cndmask_b32_e32 v5, 1.0, v5, vcc
	s_nor_b64 s[24:25], vcc, s[0:1]
	s_and_saveexec_b64 s[22:23], s[24:25]
	s_cbranch_execz .LBB6_57
; %bb.54:                               ;   in Loop: Header=BB6_18 Depth=1
	v_mbcnt_lo_u32_b32 v5, exec_lo, 0
	v_mbcnt_hi_u32_b32 v5, exec_hi, v5
	v_cmp_eq_u32_e32 vcc, 0, v5
	s_and_saveexec_b64 s[24:25], vcc
	s_cbranch_execz .LBB6_56
; %bb.55:                               ;   in Loop: Header=BB6_18 Depth=1
	v_mov_b32_e32 v5, s21
	global_atomic_smin v12, v5, s[10:11]
.LBB6_56:                               ;   in Loop: Header=BB6_18 Depth=1
	s_or_b64 exec, exec, s[24:25]
	v_mov_b32_e32 v5, 1.0
.LBB6_57:                               ;   in Loop: Header=BB6_18 Depth=1
	s_or_b64 exec, exec, s[22:23]
	ds_read_b64 v[20:21], v12 offset:456
	ds_read_b64 v[22:23], v14
	ds_read_b32 v24, v17 offset:12
	ds_read_b32 v25, v14 offset:8
	;; [unrolled: 1-line block ×3, first 2 shown]
	s_waitcnt lgkmcnt(2)
	v_fmac_f32_e32 v24, v20, v22
	v_fmac_f32_e32 v24, v21, v23
	s_waitcnt lgkmcnt(0)
	v_fmac_f32_e32 v24, v26, v25
	v_sub_f32_e32 v4, v4, v24
	v_div_scale_f32 v20, s[22:23], v5, v5, v4
	v_rcp_f32_e32 v21, v20
	v_div_scale_f32 v22, vcc, v4, v5, v4
	v_fma_f32 v23, -v20, v21, 1.0
	v_fmac_f32_e32 v21, v23, v21
	v_mul_f32_e32 v23, v22, v21
	v_fma_f32 v24, -v20, v23, v22
	v_fmac_f32_e32 v23, v24, v21
	v_fma_f32 v20, -v20, v23, v22
	v_div_fmas_f32 v20, v20, v21, v23
	v_div_fixup_f32 v4, v20, v5, v4
	ds_write_b32 v14, v4 offset:12
	s_waitcnt lgkmcnt(0)
	ds_read_b32 v5, v19 offset:12
	ds_read_b32 v20, v9
	s_waitcnt lgkmcnt(0)
	v_fmac_f32_e32 v20, v4, v5
	ds_write_b32 v9, v20
	s_waitcnt lgkmcnt(0)
	ds_read_b32 v5, v12 offset:496
	ds_read_b32 v4, v14 offset:16
	s_waitcnt lgkmcnt(1)
	v_cmp_neq_f32_e32 vcc, 0, v5
	s_nop 1
	v_cndmask_b32_e32 v5, 1.0, v5, vcc
	s_nor_b64 s[24:25], vcc, s[0:1]
	s_and_saveexec_b64 s[22:23], s[24:25]
	s_cbranch_execz .LBB6_17
; %bb.58:                               ;   in Loop: Header=BB6_18 Depth=1
	v_mbcnt_lo_u32_b32 v5, exec_lo, 0
	v_mbcnt_hi_u32_b32 v5, exec_hi, v5
	v_cmp_eq_u32_e32 vcc, 0, v5
	s_and_saveexec_b64 s[24:25], vcc
	s_cbranch_execz .LBB6_16
; %bb.59:                               ;   in Loop: Header=BB6_18 Depth=1
	v_mov_b32_e32 v5, s21
	global_atomic_smin v12, v5, s[10:11]
	s_branch .LBB6_16
.LBB6_60:                               ;   in Loop: Header=BB6_18 Depth=1
                                        ; implicit-def: $sgpr20
	s_cbranch_execz .LBB6_18
.LBB6_61:
	s_cmp_lg_u32 s33, 0
	s_cselect_b64 s[4:5], -1, 0
	s_cmp_eq_u32 s33, 0
	v_mov_b32_e32 v0, v8
	s_cbranch_scc1 .LBB6_63
; %bb.62:
	v_mad_u32_u24 v0, v6, 5, v7
.LBB6_63:
	s_mul_i32 s30, s30, 25
	v_add_u32_e32 v2, s30, v0
	v_ashrrev_i32_e32 v3, 31, v2
	v_lshl_add_u64 v[2:3], v[2:3], 2, s[18:19]
	global_load_dword v3, v[2:3], off
	v_mov_b32_e32 v0, 0x280
	v_mad_u32_u24 v2, v7, 24, v0
	v_cmp_ne_u32_e32 vcc, 0, v7
	v_lshl_add_u32 v0, v6, 2, v2
	v_cmp_eq_u32_e64 s[0:1], 0, v7
	s_waitcnt vmcnt(0)
	ds_write_b32 v0, v3
	s_waitcnt lgkmcnt(0)
	s_and_saveexec_b64 s[12:13], s[0:1]
	s_cbranch_execz .LBB6_65
; %bb.64:
	v_mov_b32_e32 v3, 0
	ds_read2_b32 v[4:5], v3 offset0:160 offset1:192
	s_mov_b32 s2, 0xf800000
	s_waitcnt lgkmcnt(0)
	v_sub_f32_e32 v4, v4, v5
	v_cmp_gt_f32_e64 s[0:1], 0, v4
	s_nop 1
	v_cndmask_b32_e64 v4, v4, -v4, s[0:1]
	v_mul_f32_e32 v5, 0x4f800000, v4
	v_cmp_gt_f32_e64 s[0:1], s2, v4
	s_nop 1
	v_cndmask_b32_e64 v4, v4, v5, s[0:1]
	v_sqrt_f32_e32 v5, v4
	s_nop 0
	v_add_u32_e32 v11, -1, v5
	v_add_u32_e32 v12, 1, v5
	v_fma_f32 v13, -v11, v5, v4
	v_fma_f32 v14, -v12, v5, v4
	v_cmp_ge_f32_e64 s[2:3], 0, v13
	s_nop 1
	v_cndmask_b32_e64 v5, v5, v11, s[2:3]
	v_cmp_lt_f32_e64 s[2:3], 0, v14
	s_nop 1
	v_cndmask_b32_e64 v5, v5, v12, s[2:3]
	v_mul_f32_e32 v11, 0x37800000, v5
	v_cndmask_b32_e64 v5, v5, v11, s[0:1]
	v_mov_b32_e32 v11, 0x260
	v_cmp_class_f32_e64 s[0:1], v4, v11
	s_nop 1
	v_cndmask_b32_e64 v4, v5, v4, s[0:1]
	ds_write_b32 v3, v4 offset:640
.LBB6_65:
	s_or_b64 exec, exec, s[12:13]
	v_mov_b32_e32 v3, 0
	s_waitcnt lgkmcnt(0)
	ds_read_b32 v4, v3 offset:640
	v_or_b32_e32 v3, v6, v7
	v_cmp_ne_u32_e64 s[0:1], 0, v3
	s_add_i32 s20, s16, s17
	s_waitcnt lgkmcnt(0)
	v_cmp_neq_f32_e64 s[2:3], 0, v4
	s_nop 1
	v_cndmask_b32_e64 v5, 1.0, v4, s[2:3]
	s_nor_b64 s[2:3], s[2:3], s[0:1]
	s_and_saveexec_b64 s[12:13], s[2:3]
	s_cbranch_execz .LBB6_69
; %bb.66:
	v_mbcnt_lo_u32_b32 v4, exec_lo, 0
	v_mbcnt_hi_u32_b32 v4, exec_hi, v4
	v_cmp_eq_u32_e64 s[2:3], 0, v4
	s_and_saveexec_b64 s[14:15], s[2:3]
	s_cbranch_execz .LBB6_68
; %bb.67:
	v_mov_b32_e32 v4, 0
	v_mov_b32_e32 v5, s20
	global_atomic_smin v4, v5, s[10:11]
.LBB6_68:
	s_or_b64 exec, exec, s[14:15]
	v_mov_b32_e32 v5, 1.0
.LBB6_69:
	s_or_b64 exec, exec, s[12:13]
	v_mov_b32_e32 v4, 0x280
	v_mad_u32_u24 v4, v6, 24, v4
	s_and_saveexec_b64 s[2:3], vcc
	s_cbranch_execz .LBB6_71
; %bb.70:
	ds_read_b32 v11, v2
	ds_read_b32 v12, v10
	s_waitcnt lgkmcnt(0)
	v_sub_f32_e32 v11, v11, v12
	v_div_scale_f32 v12, s[12:13], v5, v5, v11
	v_rcp_f32_e32 v13, v12
	v_div_scale_f32 v14, vcc, v11, v5, v11
	v_fma_f32 v15, -v12, v13, 1.0
	v_fmac_f32_e32 v13, v15, v13
	v_mul_f32_e32 v15, v14, v13
	v_fma_f32 v16, -v12, v15, v14
	v_fmac_f32_e32 v15, v16, v13
	v_fma_f32 v12, -v12, v15, v14
	v_div_fmas_f32 v12, v12, v13, v15
	v_div_fixup_f32 v5, v12, v5, v11
	ds_write_b32 v2, v5
	s_waitcnt lgkmcnt(0)
	ds_read_b32 v11, v4
	ds_read_b32 v12, v9
	s_waitcnt lgkmcnt(0)
	v_fmac_f32_e32 v12, v5, v11
	ds_write_b32 v9, v12
.LBB6_71:
	s_or_b64 exec, exec, s[2:3]
	v_cmp_eq_u32_e32 vcc, 1, v7
	s_waitcnt lgkmcnt(0)
	s_and_saveexec_b64 s[12:13], vcc
	s_cbranch_execz .LBB6_73
; %bb.72:
	v_mov_b32_e32 v5, 0
	ds_read2_b32 v[12:13], v5 offset0:167 offset1:199
	s_mov_b32 s2, 0xf800000
	s_waitcnt lgkmcnt(0)
	v_sub_f32_e32 v11, v12, v13
	v_cmp_gt_f32_e32 vcc, 0, v11
	s_nop 1
	v_cndmask_b32_e64 v11, v11, -v11, vcc
	v_mul_f32_e32 v12, 0x4f800000, v11
	v_cmp_gt_f32_e32 vcc, s2, v11
	s_nop 1
	v_cndmask_b32_e32 v11, v11, v12, vcc
	v_sqrt_f32_e32 v12, v11
	s_nop 0
	v_add_u32_e32 v13, -1, v12
	v_add_u32_e32 v14, 1, v12
	v_fma_f32 v15, -v13, v12, v11
	v_fma_f32 v16, -v14, v12, v11
	v_cmp_ge_f32_e64 s[2:3], 0, v15
	s_nop 1
	v_cndmask_b32_e64 v12, v12, v13, s[2:3]
	v_cmp_lt_f32_e64 s[2:3], 0, v16
	s_nop 1
	v_cndmask_b32_e64 v12, v12, v14, s[2:3]
	v_mul_f32_e32 v13, 0x37800000, v12
	v_cndmask_b32_e32 v12, v12, v13, vcc
	v_mov_b32_e32 v13, 0x260
	v_cmp_class_f32_e32 vcc, v11, v13
	s_nop 1
	v_cndmask_b32_e32 v11, v12, v11, vcc
	ds_write_b32 v5, v11 offset:668
.LBB6_73:
	s_or_b64 exec, exec, s[12:13]
	v_mov_b32_e32 v5, 0
	s_waitcnt lgkmcnt(0)
	ds_read_b32 v5, v5 offset:668
	s_waitcnt lgkmcnt(0)
	v_cmp_neq_f32_e32 vcc, 0, v5
	s_nop 1
	v_cndmask_b32_e32 v5, 1.0, v5, vcc
	s_nor_b64 s[12:13], vcc, s[0:1]
	s_and_saveexec_b64 s[2:3], s[12:13]
	s_cbranch_execz .LBB6_77
; %bb.74:
	v_mbcnt_lo_u32_b32 v5, exec_lo, 0
	v_mbcnt_hi_u32_b32 v5, exec_hi, v5
	v_cmp_eq_u32_e32 vcc, 0, v5
	s_and_saveexec_b64 s[12:13], vcc
	s_cbranch_execz .LBB6_76
; %bb.75:
	v_mov_b32_e32 v5, 0
	v_mov_b32_e32 v11, s20
	global_atomic_smin v5, v11, s[10:11]
.LBB6_76:
	s_or_b64 exec, exec, s[12:13]
	v_mov_b32_e32 v5, 1.0
.LBB6_77:
	s_or_b64 exec, exec, s[2:3]
	v_cmp_lt_u32_e32 vcc, 1, v7
	s_and_saveexec_b64 s[2:3], vcc
	s_cbranch_execz .LBB6_79
; %bb.78:
	ds_read_b32 v11, v2 offset:4
	ds_read_b32 v12, v10 offset:4
	s_waitcnt lgkmcnt(0)
	v_sub_f32_e32 v11, v11, v12
	v_div_scale_f32 v12, s[12:13], v5, v5, v11
	v_rcp_f32_e32 v13, v12
	v_div_scale_f32 v14, vcc, v11, v5, v11
	v_fma_f32 v15, -v12, v13, 1.0
	v_fmac_f32_e32 v13, v15, v13
	v_mul_f32_e32 v15, v14, v13
	v_fma_f32 v16, -v12, v15, v14
	v_fmac_f32_e32 v15, v16, v13
	v_fma_f32 v12, -v12, v15, v14
	v_div_fmas_f32 v12, v12, v13, v15
	v_div_fixup_f32 v5, v12, v5, v11
	ds_write_b32 v2, v5 offset:4
	s_waitcnt lgkmcnt(0)
	ds_read_b32 v11, v4 offset:4
	ds_read_b32 v12, v9
	s_waitcnt lgkmcnt(0)
	v_fmac_f32_e32 v12, v5, v11
	ds_write_b32 v9, v12
.LBB6_79:
	s_or_b64 exec, exec, s[2:3]
	v_cmp_eq_u32_e32 vcc, 2, v7
	s_waitcnt lgkmcnt(0)
	s_and_saveexec_b64 s[12:13], vcc
	s_cbranch_execz .LBB6_81
; %bb.80:
	v_mov_b32_e32 v5, 0
	ds_read2_b32 v[12:13], v5 offset0:174 offset1:206
	s_mov_b32 s2, 0xf800000
	s_waitcnt lgkmcnt(0)
	v_sub_f32_e32 v11, v12, v13
	v_cmp_gt_f32_e32 vcc, 0, v11
	s_nop 1
	v_cndmask_b32_e64 v11, v11, -v11, vcc
	v_mul_f32_e32 v12, 0x4f800000, v11
	v_cmp_gt_f32_e32 vcc, s2, v11
	s_nop 1
	v_cndmask_b32_e32 v11, v11, v12, vcc
	v_sqrt_f32_e32 v12, v11
	s_nop 0
	v_add_u32_e32 v13, -1, v12
	v_add_u32_e32 v14, 1, v12
	v_fma_f32 v15, -v13, v12, v11
	v_fma_f32 v16, -v14, v12, v11
	v_cmp_ge_f32_e64 s[2:3], 0, v15
	s_nop 1
	v_cndmask_b32_e64 v12, v12, v13, s[2:3]
	v_cmp_lt_f32_e64 s[2:3], 0, v16
	s_nop 1
	v_cndmask_b32_e64 v12, v12, v14, s[2:3]
	v_mul_f32_e32 v13, 0x37800000, v12
	v_cndmask_b32_e32 v12, v12, v13, vcc
	v_mov_b32_e32 v13, 0x260
	v_cmp_class_f32_e32 vcc, v11, v13
	s_nop 1
	v_cndmask_b32_e32 v11, v12, v11, vcc
	ds_write_b32 v5, v11 offset:696
.LBB6_81:
	s_or_b64 exec, exec, s[12:13]
	v_mov_b32_e32 v5, 0
	s_waitcnt lgkmcnt(0)
	ds_read_b32 v5, v5 offset:696
	s_waitcnt lgkmcnt(0)
	v_cmp_neq_f32_e32 vcc, 0, v5
	s_nop 1
	v_cndmask_b32_e32 v5, 1.0, v5, vcc
	s_nor_b64 s[12:13], vcc, s[0:1]
	s_and_saveexec_b64 s[2:3], s[12:13]
	s_cbranch_execz .LBB6_85
; %bb.82:
	v_mbcnt_lo_u32_b32 v5, exec_lo, 0
	v_mbcnt_hi_u32_b32 v5, exec_hi, v5
	v_cmp_eq_u32_e32 vcc, 0, v5
	s_and_saveexec_b64 s[12:13], vcc
	s_cbranch_execz .LBB6_84
; %bb.83:
	v_mov_b32_e32 v5, 0
	v_mov_b32_e32 v11, s20
	global_atomic_smin v5, v11, s[10:11]
.LBB6_84:
	s_or_b64 exec, exec, s[12:13]
	v_mov_b32_e32 v5, 1.0
.LBB6_85:
	s_or_b64 exec, exec, s[2:3]
	v_cmp_lt_u32_e32 vcc, 2, v7
	s_and_saveexec_b64 s[2:3], vcc
	s_cbranch_execz .LBB6_87
; %bb.86:
	ds_read_b32 v11, v2 offset:8
	ds_read_b32 v12, v10 offset:8
	s_waitcnt lgkmcnt(0)
	v_sub_f32_e32 v11, v11, v12
	v_div_scale_f32 v12, s[12:13], v5, v5, v11
	v_rcp_f32_e32 v13, v12
	v_div_scale_f32 v14, vcc, v11, v5, v11
	v_fma_f32 v15, -v12, v13, 1.0
	v_fmac_f32_e32 v13, v15, v13
	v_mul_f32_e32 v15, v14, v13
	v_fma_f32 v16, -v12, v15, v14
	v_fmac_f32_e32 v15, v16, v13
	v_fma_f32 v12, -v12, v15, v14
	v_div_fmas_f32 v12, v12, v13, v15
	v_div_fixup_f32 v5, v12, v5, v11
	ds_write_b32 v2, v5 offset:8
	s_waitcnt lgkmcnt(0)
	ds_read_b32 v11, v4 offset:8
	ds_read_b32 v12, v9
	s_waitcnt lgkmcnt(0)
	v_fmac_f32_e32 v12, v5, v11
	ds_write_b32 v9, v12
.LBB6_87:
	s_or_b64 exec, exec, s[2:3]
	v_cmp_eq_u32_e32 vcc, 3, v7
	s_waitcnt lgkmcnt(0)
	s_and_saveexec_b64 s[12:13], vcc
	s_cbranch_execz .LBB6_89
; %bb.88:
	v_mov_b32_e32 v5, 0
	ds_read2_b32 v[12:13], v5 offset0:181 offset1:213
	s_mov_b32 s2, 0xf800000
	s_waitcnt lgkmcnt(0)
	v_sub_f32_e32 v11, v12, v13
	v_cmp_gt_f32_e32 vcc, 0, v11
	s_nop 1
	v_cndmask_b32_e64 v11, v11, -v11, vcc
	v_mul_f32_e32 v12, 0x4f800000, v11
	v_cmp_gt_f32_e32 vcc, s2, v11
	s_nop 1
	v_cndmask_b32_e32 v11, v11, v12, vcc
	v_sqrt_f32_e32 v12, v11
	s_nop 0
	v_add_u32_e32 v13, -1, v12
	v_add_u32_e32 v14, 1, v12
	v_fma_f32 v15, -v13, v12, v11
	v_fma_f32 v16, -v14, v12, v11
	v_cmp_ge_f32_e64 s[2:3], 0, v15
	s_nop 1
	v_cndmask_b32_e64 v12, v12, v13, s[2:3]
	v_cmp_lt_f32_e64 s[2:3], 0, v16
	s_nop 1
	v_cndmask_b32_e64 v12, v12, v14, s[2:3]
	v_mul_f32_e32 v13, 0x37800000, v12
	v_cndmask_b32_e32 v12, v12, v13, vcc
	v_mov_b32_e32 v13, 0x260
	v_cmp_class_f32_e32 vcc, v11, v13
	s_nop 1
	v_cndmask_b32_e32 v11, v12, v11, vcc
	ds_write_b32 v5, v11 offset:724
.LBB6_89:
	s_or_b64 exec, exec, s[12:13]
	v_mov_b32_e32 v5, 0
	s_waitcnt lgkmcnt(0)
	ds_read_b32 v5, v5 offset:724
	s_waitcnt lgkmcnt(0)
	v_cmp_neq_f32_e32 vcc, 0, v5
	s_nop 1
	v_cndmask_b32_e32 v5, 1.0, v5, vcc
	s_nor_b64 s[12:13], vcc, s[0:1]
	s_and_saveexec_b64 s[2:3], s[12:13]
	s_cbranch_execz .LBB6_93
; %bb.90:
	v_mbcnt_lo_u32_b32 v5, exec_lo, 0
	v_mbcnt_hi_u32_b32 v5, exec_hi, v5
	v_cmp_eq_u32_e32 vcc, 0, v5
	s_and_saveexec_b64 s[12:13], vcc
	s_cbranch_execz .LBB6_92
; %bb.91:
	v_mov_b32_e32 v5, 0
	v_mov_b32_e32 v11, s20
	global_atomic_smin v5, v11, s[10:11]
.LBB6_92:
	s_or_b64 exec, exec, s[12:13]
	v_mov_b32_e32 v5, 1.0
.LBB6_93:
	s_or_b64 exec, exec, s[2:3]
	v_cmp_lt_u32_e32 vcc, 3, v7
	s_and_saveexec_b64 s[2:3], vcc
	s_cbranch_execz .LBB6_95
; %bb.94:
	ds_read_b32 v11, v2 offset:12
	ds_read_b32 v12, v10 offset:12
	s_waitcnt lgkmcnt(0)
	v_sub_f32_e32 v11, v11, v12
	v_div_scale_f32 v12, s[12:13], v5, v5, v11
	v_rcp_f32_e32 v13, v12
	v_div_scale_f32 v14, vcc, v11, v5, v11
	v_fma_f32 v15, -v12, v13, 1.0
	v_fmac_f32_e32 v13, v15, v13
	v_mul_f32_e32 v15, v14, v13
	v_fma_f32 v16, -v12, v15, v14
	v_fmac_f32_e32 v15, v16, v13
	v_fma_f32 v12, -v12, v15, v14
	v_div_fmas_f32 v12, v12, v13, v15
	v_div_fixup_f32 v5, v12, v5, v11
	ds_write_b32 v2, v5 offset:12
	s_waitcnt lgkmcnt(0)
	ds_read_b32 v11, v4 offset:12
	ds_read_b32 v12, v9
	s_waitcnt lgkmcnt(0)
	v_fmac_f32_e32 v12, v5, v11
	ds_write_b32 v9, v12
.LBB6_95:
	s_or_b64 exec, exec, s[2:3]
	v_cmp_eq_u32_e32 vcc, 4, v7
	s_waitcnt lgkmcnt(0)
	s_and_saveexec_b64 s[12:13], vcc
	s_cbranch_execz .LBB6_97
; %bb.96:
	v_mov_b32_e32 v5, 0
	ds_read2_b32 v[12:13], v5 offset0:188 offset1:220
	s_mov_b32 s2, 0xf800000
	s_waitcnt lgkmcnt(0)
	v_sub_f32_e32 v11, v12, v13
	v_cmp_gt_f32_e32 vcc, 0, v11
	s_nop 1
	v_cndmask_b32_e64 v11, v11, -v11, vcc
	v_mul_f32_e32 v12, 0x4f800000, v11
	v_cmp_gt_f32_e32 vcc, s2, v11
	s_nop 1
	v_cndmask_b32_e32 v11, v11, v12, vcc
	v_sqrt_f32_e32 v12, v11
	s_nop 0
	v_add_u32_e32 v13, -1, v12
	v_add_u32_e32 v14, 1, v12
	v_fma_f32 v15, -v13, v12, v11
	v_fma_f32 v16, -v14, v12, v11
	v_cmp_ge_f32_e64 s[2:3], 0, v15
	s_nop 1
	v_cndmask_b32_e64 v12, v12, v13, s[2:3]
	v_cmp_lt_f32_e64 s[2:3], 0, v16
	s_nop 1
	v_cndmask_b32_e64 v12, v12, v14, s[2:3]
	v_mul_f32_e32 v13, 0x37800000, v12
	v_cndmask_b32_e32 v12, v12, v13, vcc
	v_mov_b32_e32 v13, 0x260
	v_cmp_class_f32_e32 vcc, v11, v13
	s_nop 1
	v_cndmask_b32_e32 v11, v12, v11, vcc
	ds_write_b32 v5, v11 offset:752
.LBB6_97:
	s_or_b64 exec, exec, s[12:13]
	v_mov_b32_e32 v5, 0
	s_waitcnt lgkmcnt(0)
	ds_read_b32 v5, v5 offset:752
	s_waitcnt lgkmcnt(0)
	v_cmp_neq_f32_e32 vcc, 0, v5
	s_nop 1
	v_cndmask_b32_e32 v5, 1.0, v5, vcc
	s_nor_b64 s[2:3], vcc, s[0:1]
	s_and_saveexec_b64 s[0:1], s[2:3]
	s_cbranch_execz .LBB6_101
; %bb.98:
	v_mbcnt_lo_u32_b32 v5, exec_lo, 0
	v_mbcnt_hi_u32_b32 v5, exec_hi, v5
	v_cmp_eq_u32_e32 vcc, 0, v5
	s_and_saveexec_b64 s[2:3], vcc
	s_cbranch_execz .LBB6_100
; %bb.99:
	v_mov_b32_e32 v5, 0
	v_mov_b32_e32 v11, s20
	global_atomic_smin v5, v11, s[10:11]
.LBB6_100:
	s_or_b64 exec, exec, s[2:3]
	v_mov_b32_e32 v5, 1.0
.LBB6_101:
	s_or_b64 exec, exec, s[0:1]
	v_cmp_lt_u32_e32 vcc, 4, v7
	s_and_saveexec_b64 s[0:1], vcc
	s_cbranch_execz .LBB6_103
; %bb.102:
	ds_read_b32 v11, v2 offset:16
	ds_read_b32 v10, v10 offset:16
	s_waitcnt lgkmcnt(0)
	v_sub_f32_e32 v10, v11, v10
	v_div_scale_f32 v11, s[2:3], v5, v5, v10
	v_rcp_f32_e32 v12, v11
	v_div_scale_f32 v13, vcc, v10, v5, v10
	v_fma_f32 v14, -v11, v12, 1.0
	v_fmac_f32_e32 v12, v14, v12
	v_mul_f32_e32 v14, v13, v12
	v_fma_f32 v15, -v11, v14, v13
	v_fmac_f32_e32 v14, v15, v12
	v_fma_f32 v11, -v11, v14, v13
	v_div_fmas_f32 v11, v11, v12, v14
	v_div_fixup_f32 v5, v11, v5, v10
	ds_write_b32 v2, v5 offset:16
	s_waitcnt lgkmcnt(0)
	ds_read_b32 v2, v4 offset:16
	ds_read_b32 v4, v9
	s_waitcnt lgkmcnt(0)
	v_fmac_f32_e32 v4, v5, v2
	ds_write_b32 v9, v4
.LBB6_103:
	s_or_b64 exec, exec, s[0:1]
	s_waitcnt lgkmcnt(0)
	ds_read_b32 v0, v0
	s_andn2_b64 vcc, exec, s[4:5]
	s_cbranch_vccnz .LBB6_105
; %bb.104:
	v_mov_b32_e32 v8, v1
.LBB6_105:
	v_add_u32_e32 v4, s30, v8
	v_ashrrev_i32_e32 v5, 31, v4
	v_lshl_add_u64 v[4:5], v[4:5], 2, s[18:19]
	v_cmp_eq_u32_e32 vcc, 0, v3
	s_waitcnt lgkmcnt(0)
	global_store_dword v[4:5], v0, off
	s_and_saveexec_b64 s[0:1], vcc
	s_cbranch_execz .LBB6_107
; %bb.106:
	s_add_u32 s2, s6, s8
	s_addc_u32 s3, s7, s9
	v_mov_b32_e32 v0, 0
	v_mov_b32_e32 v1, 1
	buffer_wbl2 sc1
	s_waitcnt vmcnt(0)
	global_store_dword v0, v1, s[2:3] sc1
.LBB6_107:
	s_or_b64 exec, exec, s[0:1]
.LBB6_108:
	s_endpgm
.LBB6_109:
	s_cbranch_execz .LBB6_108
; %bb.110:
	v_or_b32_e32 v0, v6, v7
	v_cmp_eq_u32_e32 vcc, 0, v0
	s_and_saveexec_b64 s[0:1], vcc
	s_cbranch_execz .LBB6_108
; %bb.111:
	v_mbcnt_lo_u32_b32 v0, exec_lo, 0
	v_mbcnt_hi_u32_b32 v0, exec_hi, v0
	v_cmp_eq_u32_e32 vcc, 0, v0
	s_and_saveexec_b64 s[0:1], vcc
	s_cbranch_execz .LBB6_113
; %bb.112:
	s_add_i32 s2, s16, s17
	v_mov_b32_e32 v0, 0
	v_mov_b32_e32 v1, s2
	global_atomic_smin v0, v1, s[10:11]
.LBB6_113:
	s_or_b64 exec, exec, s[0:1]
	s_add_u32 s0, s6, s8
	s_addc_u32 s1, s7, s9
	v_mov_b32_e32 v0, 0
	v_mov_b32_e32 v1, 1
	buffer_wbl2 sc1
	s_waitcnt vmcnt(0)
	global_store_dword v0, v1, s[0:1] sc1
	s_endpgm
	.section	.rodata,"a",@progbits
	.p2align	6, 0x0
	.amdhsa_kernel _ZN9rocsparseL26bsric0_2_8_unrolled_kernelILi25ELi32ELi5EfEEv20rocsparse_direction_iiPKiS3_PT2_S3_PiS3_S6_21rocsparse_index_base_
		.amdhsa_group_segment_fixed_size 888
		.amdhsa_private_segment_fixed_size 0
		.amdhsa_kernarg_size 76
		.amdhsa_user_sgpr_count 2
		.amdhsa_user_sgpr_dispatch_ptr 0
		.amdhsa_user_sgpr_queue_ptr 0
		.amdhsa_user_sgpr_kernarg_segment_ptr 1
		.amdhsa_user_sgpr_dispatch_id 0
		.amdhsa_user_sgpr_kernarg_preload_length 0
		.amdhsa_user_sgpr_kernarg_preload_offset 0
		.amdhsa_user_sgpr_private_segment_size 0
		.amdhsa_uses_dynamic_stack 0
		.amdhsa_enable_private_segment 0
		.amdhsa_system_sgpr_workgroup_id_x 1
		.amdhsa_system_sgpr_workgroup_id_y 0
		.amdhsa_system_sgpr_workgroup_id_z 0
		.amdhsa_system_sgpr_workgroup_info 0
		.amdhsa_system_vgpr_workitem_id 1
		.amdhsa_next_free_vgpr 66
		.amdhsa_next_free_sgpr 40
		.amdhsa_accum_offset 68
		.amdhsa_reserve_vcc 1
		.amdhsa_float_round_mode_32 0
		.amdhsa_float_round_mode_16_64 0
		.amdhsa_float_denorm_mode_32 3
		.amdhsa_float_denorm_mode_16_64 3
		.amdhsa_dx10_clamp 1
		.amdhsa_ieee_mode 1
		.amdhsa_fp16_overflow 0
		.amdhsa_tg_split 0
		.amdhsa_exception_fp_ieee_invalid_op 0
		.amdhsa_exception_fp_denorm_src 0
		.amdhsa_exception_fp_ieee_div_zero 0
		.amdhsa_exception_fp_ieee_overflow 0
		.amdhsa_exception_fp_ieee_underflow 0
		.amdhsa_exception_fp_ieee_inexact 0
		.amdhsa_exception_int_div_zero 0
	.end_amdhsa_kernel
	.section	.text._ZN9rocsparseL26bsric0_2_8_unrolled_kernelILi25ELi32ELi5EfEEv20rocsparse_direction_iiPKiS3_PT2_S3_PiS3_S6_21rocsparse_index_base_,"axG",@progbits,_ZN9rocsparseL26bsric0_2_8_unrolled_kernelILi25ELi32ELi5EfEEv20rocsparse_direction_iiPKiS3_PT2_S3_PiS3_S6_21rocsparse_index_base_,comdat
.Lfunc_end6:
	.size	_ZN9rocsparseL26bsric0_2_8_unrolled_kernelILi25ELi32ELi5EfEEv20rocsparse_direction_iiPKiS3_PT2_S3_PiS3_S6_21rocsparse_index_base_, .Lfunc_end6-_ZN9rocsparseL26bsric0_2_8_unrolled_kernelILi25ELi32ELi5EfEEv20rocsparse_direction_iiPKiS3_PT2_S3_PiS3_S6_21rocsparse_index_base_
                                        ; -- End function
	.set _ZN9rocsparseL26bsric0_2_8_unrolled_kernelILi25ELi32ELi5EfEEv20rocsparse_direction_iiPKiS3_PT2_S3_PiS3_S6_21rocsparse_index_base_.num_vgpr, 66
	.set _ZN9rocsparseL26bsric0_2_8_unrolled_kernelILi25ELi32ELi5EfEEv20rocsparse_direction_iiPKiS3_PT2_S3_PiS3_S6_21rocsparse_index_base_.num_agpr, 0
	.set _ZN9rocsparseL26bsric0_2_8_unrolled_kernelILi25ELi32ELi5EfEEv20rocsparse_direction_iiPKiS3_PT2_S3_PiS3_S6_21rocsparse_index_base_.numbered_sgpr, 40
	.set _ZN9rocsparseL26bsric0_2_8_unrolled_kernelILi25ELi32ELi5EfEEv20rocsparse_direction_iiPKiS3_PT2_S3_PiS3_S6_21rocsparse_index_base_.num_named_barrier, 0
	.set _ZN9rocsparseL26bsric0_2_8_unrolled_kernelILi25ELi32ELi5EfEEv20rocsparse_direction_iiPKiS3_PT2_S3_PiS3_S6_21rocsparse_index_base_.private_seg_size, 0
	.set _ZN9rocsparseL26bsric0_2_8_unrolled_kernelILi25ELi32ELi5EfEEv20rocsparse_direction_iiPKiS3_PT2_S3_PiS3_S6_21rocsparse_index_base_.uses_vcc, 1
	.set _ZN9rocsparseL26bsric0_2_8_unrolled_kernelILi25ELi32ELi5EfEEv20rocsparse_direction_iiPKiS3_PT2_S3_PiS3_S6_21rocsparse_index_base_.uses_flat_scratch, 0
	.set _ZN9rocsparseL26bsric0_2_8_unrolled_kernelILi25ELi32ELi5EfEEv20rocsparse_direction_iiPKiS3_PT2_S3_PiS3_S6_21rocsparse_index_base_.has_dyn_sized_stack, 0
	.set _ZN9rocsparseL26bsric0_2_8_unrolled_kernelILi25ELi32ELi5EfEEv20rocsparse_direction_iiPKiS3_PT2_S3_PiS3_S6_21rocsparse_index_base_.has_recursion, 0
	.set _ZN9rocsparseL26bsric0_2_8_unrolled_kernelILi25ELi32ELi5EfEEv20rocsparse_direction_iiPKiS3_PT2_S3_PiS3_S6_21rocsparse_index_base_.has_indirect_call, 0
	.section	.AMDGPU.csdata,"",@progbits
; Kernel info:
; codeLenInByte = 6620
; TotalNumSgprs: 46
; NumVgprs: 66
; NumAgprs: 0
; TotalNumVgprs: 66
; ScratchSize: 0
; MemoryBound: 0
; FloatMode: 240
; IeeeMode: 1
; LDSByteSize: 888 bytes/workgroup (compile time only)
; SGPRBlocks: 5
; VGPRBlocks: 8
; NumSGPRsForWavesPerEU: 46
; NumVGPRsForWavesPerEU: 66
; AccumOffset: 68
; Occupancy: 7
; WaveLimiterHint : 1
; COMPUTE_PGM_RSRC2:SCRATCH_EN: 0
; COMPUTE_PGM_RSRC2:USER_SGPR: 2
; COMPUTE_PGM_RSRC2:TRAP_HANDLER: 0
; COMPUTE_PGM_RSRC2:TGID_X_EN: 1
; COMPUTE_PGM_RSRC2:TGID_Y_EN: 0
; COMPUTE_PGM_RSRC2:TGID_Z_EN: 0
; COMPUTE_PGM_RSRC2:TIDIG_COMP_CNT: 1
; COMPUTE_PGM_RSRC3_GFX90A:ACCUM_OFFSET: 16
; COMPUTE_PGM_RSRC3_GFX90A:TG_SPLIT: 0
	.section	.text._ZN9rocsparseL26bsric0_2_8_unrolled_kernelILi36ELi32ELi6EfEEv20rocsparse_direction_iiPKiS3_PT2_S3_PiS3_S6_21rocsparse_index_base_,"axG",@progbits,_ZN9rocsparseL26bsric0_2_8_unrolled_kernelILi36ELi32ELi6EfEEv20rocsparse_direction_iiPKiS3_PT2_S3_PiS3_S6_21rocsparse_index_base_,comdat
	.globl	_ZN9rocsparseL26bsric0_2_8_unrolled_kernelILi36ELi32ELi6EfEEv20rocsparse_direction_iiPKiS3_PT2_S3_PiS3_S6_21rocsparse_index_base_ ; -- Begin function _ZN9rocsparseL26bsric0_2_8_unrolled_kernelILi36ELi32ELi6EfEEv20rocsparse_direction_iiPKiS3_PT2_S3_PiS3_S6_21rocsparse_index_base_
	.p2align	8
	.type	_ZN9rocsparseL26bsric0_2_8_unrolled_kernelILi36ELi32ELi6EfEEv20rocsparse_direction_iiPKiS3_PT2_S3_PiS3_S6_21rocsparse_index_base_,@function
_ZN9rocsparseL26bsric0_2_8_unrolled_kernelILi36ELi32ELi6EfEEv20rocsparse_direction_iiPKiS3_PT2_S3_PiS3_S6_21rocsparse_index_base_: ; @_ZN9rocsparseL26bsric0_2_8_unrolled_kernelILi36ELi32ELi6EfEEv20rocsparse_direction_iiPKiS3_PT2_S3_PiS3_S6_21rocsparse_index_base_
; %bb.0:
	s_load_dwordx8 s[4:11], s[0:1], 0x28
	s_mov_b32 s3, 0
	s_lshl_b64 s[2:3], s[2:3], 2
	v_and_b32_e32 v6, 0x3ff, v0
	v_bfe_u32 v7, v0, 10, 10
	s_waitcnt lgkmcnt(0)
	s_add_u32 s2, s8, s2
	s_addc_u32 s3, s9, s3
	s_load_dword s16, s[2:3], 0x0
	s_waitcnt lgkmcnt(0)
	s_ashr_i32 s17, s16, 31
	s_lshl_b64 s[8:9], s[16:17], 2
	s_add_u32 s2, s4, s8
	s_addc_u32 s3, s5, s9
	s_load_dword s30, s[2:3], 0x0
	s_load_dword s17, s[0:1], 0x48
	s_waitcnt lgkmcnt(0)
	s_cmp_lg_u32 s30, -1
	s_cbranch_scc0 .LBB7_121
; %bb.1:
	s_load_dwordx4 s[12:15], s[0:1], 0x10
	s_load_dwordx2 s[18:19], s[0:1], 0x20
	v_mad_u32_u24 v8, v7, 6, v6
	v_mul_u32_u24_e32 v11, 6, v7
	s_waitcnt lgkmcnt(0)
	s_add_u32 s2, s12, s8
	s_addc_u32 s3, s13, s9
	s_load_dword s26, s[2:3], 0x0
	s_waitcnt lgkmcnt(0)
	s_sub_i32 s31, s26, s17
	v_add_u32_e32 v0, s31, v8
	v_cmp_ge_i32_e32 vcc, s30, v0
	s_and_saveexec_b64 s[2:3], vcc
	s_cbranch_execz .LBB7_14
; %bb.2:
	v_add_u32_e32 v1, s26, v6
	v_add_u32_e32 v2, v1, v11
	v_subrev_u32_e32 v2, s17, v2
	v_add_u32_e32 v2, 36, v2
	s_add_i32 s20, s30, 1
	v_max_i32_e32 v2, s20, v2
	v_add_u32_e32 v2, s17, v2
	v_sub_u32_e32 v1, v2, v1
	v_subrev_u32_e32 v1, 36, v1
	v_cmp_ne_u32_e32 vcc, v1, v11
	s_mov_b32 s20, 0x38e38e39
	s_mov_b64 s[22:23], -1
	v_cndmask_b32_e64 v2, 0, 1, vcc
	v_or_b32_e32 v2, v11, v2
	v_sub_u32_e32 v1, v1, v2
	v_mul_hi_u32 v1, v1, s20
	v_lshrrev_b32_e32 v1, 3, v1
	v_addc_co_u32_e32 v4, vcc, 0, v1, vcc
	v_cmp_ne_u32_e32 vcc, 0, v4
	s_and_saveexec_b64 s[20:21], vcc
	s_cbranch_execz .LBB7_11
; %bb.3:
	v_add_u32_e32 v2, -1, v4
	v_add_u32_e32 v1, 36, v0
	v_lshrrev_b32_e32 v2, 1, v2
	v_add_u32_e32 v5, 1, v2
	v_cmp_lt_u32_e32 vcc, 14, v4
	v_mov_b64_e32 v[2:3], v[0:1]
	s_and_saveexec_b64 s[22:23], vcc
	s_cbranch_execz .LBB7_7
; %bb.4:
	v_and_b32_e32 v9, -8, v5
	s_mov_b64 s[24:25], 0
	v_mov_b64_e32 v[2:3], v[0:1]
.LBB7_5:                                ; =>This Inner Loop Header: Depth=1
	v_ashrrev_i32_e32 v15, 31, v2
	v_mov_b32_e32 v14, v2
	v_ashrrev_i32_e32 v13, 31, v3
	v_mov_b32_e32 v12, v3
	v_add_u32_e32 v16, 0x48, v2
	v_add_u32_e32 v18, 0x48, v3
	v_lshl_add_u64 v[14:15], v[14:15], 2, s[14:15]
	v_add_u32_e32 v20, 0x90, v2
	v_add_u32_e32 v22, 0x90, v3
	;; [unrolled: 1-line block ×12, first 2 shown]
	v_lshl_add_u64 v[12:13], v[12:13], 2, s[14:15]
	v_ashrrev_i32_e32 v19, 31, v18
	v_ashrrev_i32_e32 v17, 31, v16
	global_load_dword v1, v[14:15], off
	global_load_dword v10, v[12:13], off
	v_ashrrev_i32_e32 v23, 31, v22
	v_ashrrev_i32_e32 v21, 31, v20
	;; [unrolled: 1-line block ×12, first 2 shown]
	v_lshl_add_u64 v[12:13], v[16:17], 2, s[14:15]
	v_lshl_add_u64 v[14:15], v[18:19], 2, s[14:15]
	;; [unrolled: 1-line block ×13, first 2 shown]
	global_load_dword v17, v[14:15], off
	v_lshl_add_u64 v[14:15], v[42:43], 2, s[14:15]
	global_load_dword v19, v[12:13], off
	global_load_dword v21, v[46:47], off
	global_load_dword v23, v[44:45], off
	global_load_dword v25, v[50:51], off
	global_load_dword v27, v[48:49], off
	global_load_dword v29, v[54:55], off
	global_load_dword v31, v[52:53], off
	global_load_dword v33, v[58:59], off
	global_load_dword v35, v[56:57], off
	global_load_dword v37, v[62:63], off
	global_load_dword v39, v[60:61], off
	global_load_dword v41, v[14:15], off
	global_load_dword v43, v[64:65], off
	v_subrev_u32_e32 v13, s31, v2
	v_add_u32_e32 v9, -8, v9
	v_subrev_u32_e32 v12, s31, v3
	v_lshlrev_b32_e32 v13, 2, v13
	v_subrev_u32_e32 v15, s31, v16
	v_cmp_eq_u32_e32 vcc, 0, v9
	v_add_u32_e32 v3, 0x240, v3
	v_add_u32_e32 v2, 0x240, v2
	v_lshlrev_b32_e32 v12, 2, v12
	v_subrev_u32_e32 v14, s31, v18
	v_subrev_u32_e32 v16, s31, v22
	;; [unrolled: 1-line block ×13, first 2 shown]
	v_lshlrev_b32_e32 v15, 2, v15
	s_or_b64 s[24:25], vcc, s[24:25]
	v_lshlrev_b32_e32 v14, 2, v14
	v_lshlrev_b32_e32 v18, 2, v18
	;; [unrolled: 1-line block ×13, first 2 shown]
	s_waitcnt vmcnt(15)
	v_subrev_u32_e32 v1, s17, v1
	s_waitcnt vmcnt(14)
	v_subrev_u32_e32 v10, s17, v10
	ds_write_b32 v13, v1 offset:960
	ds_write_b32 v12, v10 offset:960
	s_waitcnt vmcnt(12)
	v_subrev_u32_e32 v10, s17, v19
	s_waitcnt vmcnt(11)
	v_subrev_u32_e32 v12, s17, v21
	;; [unrolled: 2-line block ×8, first 2 shown]
	v_subrev_u32_e32 v1, s17, v17
	v_subrev_u32_e32 v17, s17, v25
	;; [unrolled: 1-line block ×3, first 2 shown]
	s_waitcnt vmcnt(2)
	v_subrev_u32_e32 v31, s17, v39
	s_waitcnt vmcnt(1)
	v_subrev_u32_e32 v33, s17, v41
	;; [unrolled: 2-line block ×3, first 2 shown]
	ds_write_b32 v15, v10 offset:960
	ds_write_b32 v14, v1 offset:960
	;; [unrolled: 1-line block ×14, first 2 shown]
	s_andn2_b64 exec, exec, s[24:25]
	s_cbranch_execnz .LBB7_5
; %bb.6:
	s_or_b64 exec, exec, s[24:25]
.LBB7_7:
	s_or_b64 exec, exec, s[22:23]
	v_and_b32_e32 v1, 7, v5
	v_cmp_ne_u32_e32 vcc, 0, v1
	s_and_saveexec_b64 s[22:23], vcc
	s_cbranch_execz .LBB7_10
; %bb.8:
	v_sub_u32_e32 v1, 0, v1
	s_mov_b64 s[24:25], 0
.LBB7_9:                                ; =>This Inner Loop Header: Depth=1
	v_ashrrev_i32_e32 v13, 31, v3
	v_mov_b32_e32 v12, v3
	v_ashrrev_i32_e32 v15, 31, v2
	v_mov_b32_e32 v14, v2
	v_lshl_add_u64 v[12:13], v[12:13], 2, s[14:15]
	v_lshl_add_u64 v[14:15], v[14:15], 2, s[14:15]
	global_load_dword v5, v[12:13], off
	global_load_dword v9, v[14:15], off
	v_subrev_u32_e32 v12, s31, v2
	v_add_co_u32_e32 v1, vcc, 1, v1
	v_subrev_u32_e32 v10, s31, v3
	v_add_u32_e32 v3, 0x48, v3
	v_add_u32_e32 v2, 0x48, v2
	v_lshlrev_b32_e32 v12, 2, v12
	s_or_b64 s[24:25], vcc, s[24:25]
	v_lshlrev_b32_e32 v10, 2, v10
	s_waitcnt vmcnt(1)
	v_subrev_u32_e32 v5, s17, v5
	s_waitcnt vmcnt(0)
	v_subrev_u32_e32 v9, s17, v9
	ds_write_b32 v12, v9 offset:960
	ds_write_b32 v10, v5 offset:960
	s_andn2_b64 exec, exec, s[24:25]
	s_cbranch_execnz .LBB7_9
.LBB7_10:
	s_or_b64 exec, exec, s[22:23]
	v_add_u32_e32 v2, 1, v4
	v_and_b32_e32 v3, 0x1ffffffe, v2
	v_mad_u64_u32 v[0:1], s[22:23], v3, 36, v[0:1]
	v_cmp_ne_u32_e32 vcc, v2, v3
	s_orn2_b64 s[22:23], vcc, exec
.LBB7_11:
	s_or_b64 exec, exec, s[20:21]
	s_and_b64 exec, exec, s[22:23]
	s_cbranch_execz .LBB7_14
; %bb.12:
	v_add_u32_e32 v1, s17, v0
	v_subrev_u32_e32 v1, s26, v1
	v_mov_b32_e32 v2, 0x3c0
	v_lshl_add_u32 v4, v1, 2, v2
	v_ashrrev_i32_e32 v1, 31, v0
	v_lshl_add_u64 v[2:3], v[0:1], 2, s[14:15]
	s_mov_b64 s[20:21], 0
	s_mov_b64 s[22:23], 0x90
.LBB7_13:                               ; =>This Inner Loop Header: Depth=1
	global_load_dword v1, v[2:3], off
	v_add_u32_e32 v0, 36, v0
	v_cmp_lt_i32_e32 vcc, s30, v0
	v_lshl_add_u64 v[2:3], v[2:3], 0, s[22:23]
	s_or_b64 s[20:21], vcc, s[20:21]
	s_waitcnt vmcnt(0)
	v_subrev_u32_e32 v1, s17, v1
	ds_write_b32 v4, v1
	v_add_u32_e32 v4, 0x90, v4
	s_andn2_b64 exec, exec, s[20:21]
	s_cbranch_execnz .LBB7_13
.LBB7_14:
	s_or_b64 exec, exec, s[2:3]
	s_load_dword s33, s[0:1], 0x0
	v_mov_b32_e32 v0, 0x210
	v_mad_u32_u24 v10, v7, 28, v0
	v_lshl_add_u32 v9, v6, 2, v10
	v_mov_b32_e32 v12, 0
	s_cmp_ge_i32 s31, s30
	v_mad_u32_u24 v1, v6, 6, v7
	ds_write_b32 v9, v12
	s_waitcnt lgkmcnt(0)
	s_cbranch_scc1 .LBB7_65
; %bb.15:
	s_cmp_lg_u32 s33, 0
	s_cselect_b64 s[2:3], -1, 0
	s_cmp_eq_u32 s33, 0
	v_mov_b32_e32 v2, 0x160
	v_mov_b32_e32 v4, 0xb0
	v_mad_u32_u24 v0, v6, 6, v7
	v_mad_u32_u24 v14, v7, 28, v2
	v_lshlrev_b32_e32 v3, 2, v6
	v_mad_u32_u24 v17, v7, 28, v4
	v_mad_u32_u24 v19, v6, 28, v2
	v_or_b32_e32 v2, v6, v7
	s_cselect_b64 vcc, -1, 0
	v_mul_u32_u24_e32 v13, 6, v6
	v_add_u32_e32 v15, v14, v3
	v_mad_u32_u24 v16, v7, 28, v3
	v_add_u32_e32 v18, v17, v3
	v_cmp_ne_u32_e64 s[0:1], 0, v2
	v_cndmask_b32_e32 v0, v0, v8, vcc
	s_mov_b32 s20, s31
	s_branch .LBB7_18
.LBB7_16:                               ;   in Loop: Header=BB7_18 Depth=1
	s_or_b64 exec, exec, s[24:25]
	v_mov_b32_e32 v5, 1.0
.LBB7_17:                               ;   in Loop: Header=BB7_18 Depth=1
	s_or_b64 exec, exec, s[22:23]
	ds_read2_b32 v[20:21], v14 offset1:1
	ds_read_b32 v28, v17 offset:20
	ds_read2_b32 v[22:23], v12 offset0:35 offset1:36
	ds_read2_b32 v[24:25], v12 offset0:37 offset1:38
	;; [unrolled: 1-line block ×3, first 2 shown]
	ds_read_b32 v29, v14 offset:16
	ds_read_b32 v30, v12 offset:156
	s_waitcnt lgkmcnt(4)
	v_fmac_f32_e32 v28, v22, v20
	v_fmac_f32_e32 v28, v23, v21
	s_waitcnt lgkmcnt(2)
	v_fmac_f32_e32 v28, v24, v26
	v_fmac_f32_e32 v28, v25, v27
	s_waitcnt lgkmcnt(0)
	v_fmac_f32_e32 v28, v30, v29
	v_sub_f32_e32 v4, v4, v28
	v_div_scale_f32 v20, s[22:23], v5, v5, v4
	v_rcp_f32_e32 v21, v20
	s_add_i32 s20, s20, 1
	s_cmp_ge_i32 s20, s30
	s_cselect_b64 s[22:23], -1, 0
	v_fma_f32 v22, -v20, v21, 1.0
	v_fmac_f32_e32 v21, v22, v21
	v_div_scale_f32 v22, vcc, v4, v5, v4
	v_mul_f32_e32 v23, v22, v21
	v_fma_f32 v24, -v20, v23, v22
	v_fmac_f32_e32 v23, v24, v21
	v_fma_f32 v20, -v20, v23, v22
	v_div_fmas_f32 v20, v20, v21, v23
	v_div_fixup_f32 v4, v20, v5, v4
	ds_write_b32 v14, v4 offset:20
	s_waitcnt lgkmcnt(0)
	ds_read_b32 v5, v19 offset:20
	ds_read_b32 v20, v9
	s_waitcnt lgkmcnt(0)
	v_fmac_f32_e32 v20, v4, v5
	ds_write_b32 v9, v20
	s_waitcnt lgkmcnt(0)
	ds_read_b32 v4, v15
	s_waitcnt lgkmcnt(0)
	global_store_dword v[2:3], v4, off
	buffer_wbl2 sc1
	s_waitcnt vmcnt(0)
	buffer_inv sc1
	s_and_b64 vcc, exec, s[22:23]
	s_cbranch_vccnz .LBB7_65
.LBB7_18:                               ; =>This Loop Header: Depth=1
                                        ;     Child Loop BB7_21 Depth 2
                                        ;     Child Loop BB7_32 Depth 2
	;; [unrolled: 1-line block ×3, first 2 shown]
	s_ashr_i32 s21, s20, 31
	s_lshl_b64 s[22:23], s[20:21], 2
	s_add_u32 s22, s14, s22
	s_addc_u32 s23, s15, s23
	s_load_dword s21, s[22:23], 0x0
	s_waitcnt lgkmcnt(0)
	s_sub_i32 s24, s21, s17
	s_ashr_i32 s25, s24, 31
	s_lshl_b64 s[22:23], s[24:25], 2
	s_add_u32 s26, s4, s22
	s_addc_u32 s27, s5, s23
	s_load_dword s25, s[26:27], 0x0
	s_waitcnt lgkmcnt(0)
	s_cmp_eq_u32 s25, -1
	s_cbranch_scc1 .LBB7_64
; %bb.19:                               ;   in Loop: Header=BB7_18 Depth=1
	v_mad_u64_u32 v[2:3], s[26:27], s20, 36, v[0:1]
	v_ashrrev_i32_e32 v3, 31, v2
	v_lshl_add_u64 v[2:3], v[2:3], 2, s[18:19]
	global_load_dword v4, v[2:3], off
	s_add_u32 s26, s12, s22
	s_addc_u32 s27, s13, s23
	s_load_dword s26, s[26:27], 0x0
	ds_read_b32 v5, v12 offset:960
	s_mov_b32 s27, 0
	s_waitcnt lgkmcnt(0)
	s_sub_i32 s26, s26, s17
	s_cmp_le_i32 s26, s25
	v_cmp_ge_i32_e32 vcc, s24, v5
	s_cselect_b64 s[28:29], -1, 0
	s_and_b64 s[28:29], s[28:29], vcc
	s_andn2_b64 vcc, exec, s[28:29]
	s_waitcnt vmcnt(0)
	ds_write_b32 v15, v4
	s_cbranch_vccnz .LBB7_31
; %bb.20:                               ;   in Loop: Header=BB7_18 Depth=1
	s_mov_b32 s34, 0
	s_mov_b32 s35, 0
.LBB7_21:                               ;   Parent Loop BB7_18 Depth=1
                                        ; =>  This Inner Loop Header: Depth=2
	s_ashr_i32 s27, s26, 31
	s_lshl_b64 s[28:29], s[26:27], 2
	s_add_u32 s28, s14, s28
	s_addc_u32 s29, s15, s29
	s_load_dword s27, s[28:29], 0x0
	s_lshl_b32 s28, s35, 2
	v_mov_b32_e32 v4, s28
	ds_read_b32 v4, v4 offset:960
	s_mov_b64 s[28:29], -1
	s_waitcnt lgkmcnt(0)
	s_sub_i32 s39, s27, s17
                                        ; implicit-def: $sgpr27
                                        ; implicit-def: $sgpr38
                                        ; implicit-def: $sgpr37
	v_cmp_ge_i32_e32 vcc, s39, v4
	v_readfirstlane_b32 s36, v4
	s_cbranch_vccz .LBB7_27
; %bb.22:                               ;   in Loop: Header=BB7_21 Depth=2
	s_cmp_le_i32 s39, s36
                                        ; implicit-def: $sgpr27
                                        ; implicit-def: $sgpr38
                                        ; implicit-def: $sgpr37
	s_cbranch_scc0 .LBB7_24
; %bb.23:                               ;   in Loop: Header=BB7_21 Depth=2
	s_add_i32 s27, s35, s31
	s_mul_i32 s27, s27, 36
	s_lshl_b32 s28, s34, 2
	v_mov_b32_e32 v5, s27
	s_mul_i32 s27, s26, 36
	v_mov_b32_e32 v4, s28
	v_mov_b32_e32 v20, s27
	ds_write2_b32 v4, v20, v5 offset0:176 offset1:208
	s_add_i32 s37, s35, 1
	s_add_i32 s38, s26, 1
	s_add_i32 s27, s34, 1
	s_mov_b64 s[28:29], 0
.LBB7_24:                               ;   in Loop: Header=BB7_21 Depth=2
	s_andn2_b64 vcc, exec, s[28:29]
	s_cbranch_vccnz .LBB7_26
; %bb.25:                               ;   in Loop: Header=BB7_21 Depth=2
	s_add_i32 s37, s35, 1
	s_mov_b32 s27, s34
	s_mov_b32 s38, s26
.LBB7_26:                               ;   in Loop: Header=BB7_21 Depth=2
	s_mov_b64 s[28:29], 0
.LBB7_27:                               ;   in Loop: Header=BB7_21 Depth=2
	s_andn2_b64 vcc, exec, s[28:29]
	s_cbranch_vccnz .LBB7_29
; %bb.28:                               ;   in Loop: Header=BB7_21 Depth=2
	s_add_i32 s38, s26, 1
	s_mov_b32 s37, s35
	s_mov_b32 s27, s34
.LBB7_29:                               ;   in Loop: Header=BB7_21 Depth=2
	s_cmp_le_i32 s38, s25
	s_cselect_b64 s[28:29], -1, 0
	s_cmp_le_i32 s36, s24
	s_cselect_b64 s[34:35], -1, 0
	s_and_b64 s[28:29], s[28:29], s[34:35]
	s_and_b64 vcc, exec, s[28:29]
	s_cbranch_vccz .LBB7_31
; %bb.30:                               ;   in Loop: Header=BB7_21 Depth=2
	s_mov_b32 s34, s27
	s_mov_b32 s26, s38
	;; [unrolled: 1-line block ×3, first 2 shown]
	s_branch .LBB7_21
.LBB7_31:                               ;   in Loop: Header=BB7_18 Depth=1
	s_add_u32 s22, s6, s22
	s_addc_u32 s23, s7, s23
	s_waitcnt lgkmcnt(0)
.LBB7_32:                               ;   Parent Loop BB7_18 Depth=1
                                        ; =>  This Inner Loop Header: Depth=2
	global_load_dword v4, v12, s[22:23] sc1
	s_waitcnt vmcnt(0)
	v_cmp_eq_u32_e32 vcc, 0, v4
	s_cbranch_vccnz .LBB7_32
; %bb.33:                               ;   in Loop: Header=BB7_18 Depth=1
	v_mad_u64_u32 v[4:5], s[22:23], s25, 36, v[0:1]
	v_ashrrev_i32_e32 v5, 31, v4
	v_lshl_add_u64 v[4:5], v[4:5], 2, s[18:19]
	buffer_inv sc1
	global_load_dword v4, v[4:5], off
	s_cmp_lt_i32 s27, 2
	v_mov_b32_e32 v21, 0
	s_waitcnt vmcnt(0)
	ds_write_b32 v16, v4
	s_waitcnt lgkmcnt(0)
	s_cbranch_scc1 .LBB7_41
; %bb.34:                               ;   in Loop: Header=BB7_18 Depth=1
	s_add_i32 s24, s27, -1
	v_mov_b32_e32 v20, 0
	s_movk_i32 s25, 0x2c0
.LBB7_35:                               ;   Parent Loop BB7_18 Depth=1
                                        ; =>  This Inner Loop Header: Depth=2
	s_waitcnt lgkmcnt(0)
	v_mov_b32_e32 v4, s25
	ds_read2_b32 v[4:5], v4 offset1:32
	s_mov_b64 s[22:23], -1
	s_and_b64 vcc, exec, s[2:3]
                                        ; implicit-def: $vgpr21
	s_cbranch_vccz .LBB7_38
; %bb.36:                               ;   in Loop: Header=BB7_35 Depth=2
	s_waitcnt lgkmcnt(0)
	v_add_u32_e32 v22, v4, v6
	v_add_u32_e32 v26, v5, v7
	v_ashrrev_i32_e32 v23, 31, v22
	v_add_u32_e32 v30, 6, v22
	v_add_u32_e32 v32, 6, v26
	;; [unrolled: 1-line block ×6, first 2 shown]
	v_lshl_add_u64 v[24:25], v[22:23], 2, s[18:19]
	v_ashrrev_i32_e32 v27, 31, v26
	v_ashrrev_i32_e32 v31, 31, v30
	;; [unrolled: 1-line block ×7, first 2 shown]
	v_lshl_add_u64 v[28:29], v[26:27], 2, s[18:19]
	v_lshl_add_u64 v[30:31], v[30:31], 2, s[18:19]
	v_lshl_add_u64 v[32:33], v[32:33], 2, s[18:19]
	v_lshl_add_u64 v[34:35], v[34:35], 2, s[18:19]
	v_lshl_add_u64 v[36:37], v[36:37], 2, s[18:19]
	v_lshl_add_u64 v[38:39], v[38:39], 2, s[18:19]
	v_lshl_add_u64 v[40:41], v[40:41], 2, s[18:19]
	global_load_dword v21, v[24:25], off
	global_load_dword v42, v[28:29], off
	;; [unrolled: 1-line block ×8, first 2 shown]
	v_add_u32_e32 v24, 24, v22
	v_ashrrev_i32_e32 v25, 31, v24
	v_add_u32_e32 v28, 24, v26
	v_add_u32_e32 v22, 30, v22
	;; [unrolled: 1-line block ×3, first 2 shown]
	v_lshl_add_u64 v[24:25], v[24:25], 2, s[18:19]
	v_ashrrev_i32_e32 v29, 31, v28
	v_ashrrev_i32_e32 v23, 31, v22
	;; [unrolled: 1-line block ×3, first 2 shown]
	v_lshl_add_u64 v[28:29], v[28:29], 2, s[18:19]
	v_lshl_add_u64 v[22:23], v[22:23], 2, s[18:19]
	;; [unrolled: 1-line block ×3, first 2 shown]
	global_load_dword v30, v[24:25], off
	global_load_dword v31, v[28:29], off
	;; [unrolled: 1-line block ×4, first 2 shown]
	s_waitcnt vmcnt(10)
	v_fma_f32 v21, v21, v42, v20
	s_waitcnt vmcnt(8)
	v_fmac_f32_e32 v21, v43, v44
	s_waitcnt vmcnt(6)
	v_fmac_f32_e32 v21, v45, v46
	;; [unrolled: 2-line block ×5, first 2 shown]
	s_cbranch_execz .LBB7_39
.LBB7_37:                               ;   in Loop: Header=BB7_35 Depth=2
	s_add_i32 s24, s24, -1
	s_add_i32 s25, s25, 4
	s_cmp_eq_u32 s24, 0
	s_cbranch_scc0 .LBB7_40
	s_branch .LBB7_41
.LBB7_38:                               ;   in Loop: Header=BB7_35 Depth=2
	s_andn2_b64 vcc, exec, s[22:23]
	s_cbranch_vccnz .LBB7_37
.LBB7_39:                               ;   in Loop: Header=BB7_35 Depth=2
	s_waitcnt lgkmcnt(0)
	v_add_u32_e32 v22, v4, v13
	v_add_u32_e32 v4, v5, v11
	v_ashrrev_i32_e32 v5, 31, v4
	v_ashrrev_i32_e32 v23, 31, v22
	v_lshl_add_u64 v[4:5], v[4:5], 2, s[18:19]
	v_lshl_add_u64 v[30:31], v[22:23], 2, s[18:19]
	global_load_dwordx4 v[22:25], v[4:5], off
	global_load_dwordx4 v[26:29], v[30:31], off
	global_load_dwordx2 v[32:33], v[30:31], off offset:16
	global_load_dwordx2 v[34:35], v[4:5], off offset:16
	s_waitcnt vmcnt(2)
	v_fmac_f32_e32 v20, v26, v22
	v_fmac_f32_e32 v20, v27, v23
	;; [unrolled: 1-line block ×4, first 2 shown]
	s_waitcnt vmcnt(0)
	v_fmac_f32_e32 v20, v32, v34
	v_fmac_f32_e32 v20, v33, v35
	v_mov_b32_e32 v21, v20
	s_add_i32 s24, s24, -1
	s_add_i32 s25, s25, 4
	s_cmp_eq_u32 s24, 0
	s_cbranch_scc1 .LBB7_41
.LBB7_40:                               ;   in Loop: Header=BB7_35 Depth=2
	v_mov_b32_e32 v20, v21
	s_branch .LBB7_35
.LBB7_41:                               ;   in Loop: Header=BB7_18 Depth=1
	ds_write_b32 v18, v21
	s_waitcnt lgkmcnt(0)
	ds_read_b32 v5, v12
	ds_read_b32 v4, v14
	s_waitcnt lgkmcnt(1)
	v_cmp_neq_f32_e32 vcc, 0, v5
	s_nop 1
	v_cndmask_b32_e32 v5, 1.0, v5, vcc
	s_nor_b64 s[24:25], vcc, s[0:1]
	s_and_saveexec_b64 s[22:23], s[24:25]
	s_cbranch_execz .LBB7_45
; %bb.42:                               ;   in Loop: Header=BB7_18 Depth=1
	v_mbcnt_lo_u32_b32 v5, exec_lo, 0
	v_mbcnt_hi_u32_b32 v5, exec_hi, v5
	v_cmp_eq_u32_e32 vcc, 0, v5
	s_and_saveexec_b64 s[24:25], vcc
	s_cbranch_execz .LBB7_44
; %bb.43:                               ;   in Loop: Header=BB7_18 Depth=1
	v_mov_b32_e32 v5, s21
	global_atomic_smin v12, v5, s[10:11]
.LBB7_44:                               ;   in Loop: Header=BB7_18 Depth=1
	s_or_b64 exec, exec, s[24:25]
	v_mov_b32_e32 v5, 1.0
.LBB7_45:                               ;   in Loop: Header=BB7_18 Depth=1
	s_or_b64 exec, exec, s[22:23]
	ds_read_b32 v20, v17
	s_waitcnt lgkmcnt(0)
	v_sub_f32_e32 v4, v4, v20
	v_div_scale_f32 v20, s[22:23], v5, v5, v4
	v_rcp_f32_e32 v21, v20
	v_div_scale_f32 v22, vcc, v4, v5, v4
	v_fma_f32 v23, -v20, v21, 1.0
	v_fmac_f32_e32 v21, v23, v21
	v_mul_f32_e32 v23, v22, v21
	v_fma_f32 v24, -v20, v23, v22
	v_fmac_f32_e32 v23, v24, v21
	v_fma_f32 v20, -v20, v23, v22
	v_div_fmas_f32 v20, v20, v21, v23
	v_div_fixup_f32 v4, v20, v5, v4
	ds_write_b32 v14, v4
	s_waitcnt lgkmcnt(0)
	ds_read_b32 v5, v19
	ds_read_b32 v20, v9
	s_waitcnt lgkmcnt(0)
	v_fmac_f32_e32 v20, v4, v5
	ds_write_b32 v9, v20
	s_waitcnt lgkmcnt(0)
	ds_read_b32 v5, v12 offset:32
	ds_read_b32 v4, v14 offset:4
	s_waitcnt lgkmcnt(1)
	v_cmp_neq_f32_e32 vcc, 0, v5
	s_nop 1
	v_cndmask_b32_e32 v5, 1.0, v5, vcc
	s_nor_b64 s[24:25], vcc, s[0:1]
	s_and_saveexec_b64 s[22:23], s[24:25]
	s_cbranch_execz .LBB7_49
; %bb.46:                               ;   in Loop: Header=BB7_18 Depth=1
	v_mbcnt_lo_u32_b32 v5, exec_lo, 0
	v_mbcnt_hi_u32_b32 v5, exec_hi, v5
	v_cmp_eq_u32_e32 vcc, 0, v5
	s_and_saveexec_b64 s[24:25], vcc
	s_cbranch_execz .LBB7_48
; %bb.47:                               ;   in Loop: Header=BB7_18 Depth=1
	v_mov_b32_e32 v5, s21
	global_atomic_smin v12, v5, s[10:11]
.LBB7_48:                               ;   in Loop: Header=BB7_18 Depth=1
	s_or_b64 exec, exec, s[24:25]
	v_mov_b32_e32 v5, 1.0
.LBB7_49:                               ;   in Loop: Header=BB7_18 Depth=1
	s_or_b64 exec, exec, s[22:23]
	ds_read_b32 v20, v12 offset:28
	ds_read_b32 v21, v14
	ds_read_b32 v22, v17 offset:4
	s_waitcnt lgkmcnt(0)
	v_fmac_f32_e32 v22, v20, v21
	v_sub_f32_e32 v4, v4, v22
	v_div_scale_f32 v20, s[22:23], v5, v5, v4
	v_rcp_f32_e32 v21, v20
	v_div_scale_f32 v22, vcc, v4, v5, v4
	v_fma_f32 v23, -v20, v21, 1.0
	v_fmac_f32_e32 v21, v23, v21
	v_mul_f32_e32 v23, v22, v21
	v_fma_f32 v24, -v20, v23, v22
	v_fmac_f32_e32 v23, v24, v21
	v_fma_f32 v20, -v20, v23, v22
	v_div_fmas_f32 v20, v20, v21, v23
	v_div_fixup_f32 v4, v20, v5, v4
	ds_write_b32 v14, v4 offset:4
	s_waitcnt lgkmcnt(0)
	ds_read_b32 v5, v19 offset:4
	ds_read_b32 v20, v9
	s_waitcnt lgkmcnt(0)
	v_fmac_f32_e32 v20, v4, v5
	ds_write_b32 v9, v20
	s_waitcnt lgkmcnt(0)
	ds_read_b32 v5, v12 offset:64
	ds_read_b32 v4, v14 offset:8
	s_waitcnt lgkmcnt(1)
	v_cmp_neq_f32_e32 vcc, 0, v5
	s_nop 1
	v_cndmask_b32_e32 v5, 1.0, v5, vcc
	s_nor_b64 s[24:25], vcc, s[0:1]
	s_and_saveexec_b64 s[22:23], s[24:25]
	s_cbranch_execz .LBB7_53
; %bb.50:                               ;   in Loop: Header=BB7_18 Depth=1
	v_mbcnt_lo_u32_b32 v5, exec_lo, 0
	v_mbcnt_hi_u32_b32 v5, exec_hi, v5
	v_cmp_eq_u32_e32 vcc, 0, v5
	s_and_saveexec_b64 s[24:25], vcc
	s_cbranch_execz .LBB7_52
; %bb.51:                               ;   in Loop: Header=BB7_18 Depth=1
	v_mov_b32_e32 v5, s21
	global_atomic_smin v12, v5, s[10:11]
.LBB7_52:                               ;   in Loop: Header=BB7_18 Depth=1
	s_or_b64 exec, exec, s[24:25]
	v_mov_b32_e32 v5, 1.0
.LBB7_53:                               ;   in Loop: Header=BB7_18 Depth=1
	s_or_b64 exec, exec, s[22:23]
	ds_read_b64 v[20:21], v12 offset:56
	ds_read2_b32 v[22:23], v14 offset1:1
	ds_read_b32 v24, v17 offset:8
	s_waitcnt lgkmcnt(0)
	v_fmac_f32_e32 v24, v20, v22
	v_fmac_f32_e32 v24, v21, v23
	v_sub_f32_e32 v4, v4, v24
	v_div_scale_f32 v20, s[22:23], v5, v5, v4
	v_rcp_f32_e32 v21, v20
	v_div_scale_f32 v22, vcc, v4, v5, v4
	v_fma_f32 v23, -v20, v21, 1.0
	v_fmac_f32_e32 v21, v23, v21
	v_mul_f32_e32 v23, v22, v21
	v_fma_f32 v24, -v20, v23, v22
	v_fmac_f32_e32 v23, v24, v21
	v_fma_f32 v20, -v20, v23, v22
	v_div_fmas_f32 v20, v20, v21, v23
	v_div_fixup_f32 v4, v20, v5, v4
	ds_write_b32 v14, v4 offset:8
	s_waitcnt lgkmcnt(0)
	ds_read_b32 v5, v19 offset:8
	ds_read_b32 v20, v9
	s_waitcnt lgkmcnt(0)
	v_fmac_f32_e32 v20, v4, v5
	ds_write_b32 v9, v20
	s_waitcnt lgkmcnt(0)
	ds_read_b32 v5, v12 offset:96
	ds_read_b32 v4, v14 offset:12
	s_waitcnt lgkmcnt(1)
	v_cmp_neq_f32_e32 vcc, 0, v5
	s_nop 1
	v_cndmask_b32_e32 v5, 1.0, v5, vcc
	s_nor_b64 s[24:25], vcc, s[0:1]
	s_and_saveexec_b64 s[22:23], s[24:25]
	s_cbranch_execz .LBB7_57
; %bb.54:                               ;   in Loop: Header=BB7_18 Depth=1
	v_mbcnt_lo_u32_b32 v5, exec_lo, 0
	v_mbcnt_hi_u32_b32 v5, exec_hi, v5
	v_cmp_eq_u32_e32 vcc, 0, v5
	s_and_saveexec_b64 s[24:25], vcc
	s_cbranch_execz .LBB7_56
; %bb.55:                               ;   in Loop: Header=BB7_18 Depth=1
	v_mov_b32_e32 v5, s21
	global_atomic_smin v12, v5, s[10:11]
.LBB7_56:                               ;   in Loop: Header=BB7_18 Depth=1
	s_or_b64 exec, exec, s[24:25]
	v_mov_b32_e32 v5, 1.0
.LBB7_57:                               ;   in Loop: Header=BB7_18 Depth=1
	s_or_b64 exec, exec, s[22:23]
	ds_read2_b32 v[20:21], v12 offset0:21 offset1:22
	ds_read_b32 v24, v17 offset:12
	ds_read2_b32 v[22:23], v14 offset1:1
	ds_read_b32 v25, v14 offset:8
	ds_read_b32 v26, v12 offset:92
	s_waitcnt lgkmcnt(2)
	v_fmac_f32_e32 v24, v20, v22
	v_fmac_f32_e32 v24, v21, v23
	s_waitcnt lgkmcnt(0)
	v_fmac_f32_e32 v24, v26, v25
	v_sub_f32_e32 v4, v4, v24
	v_div_scale_f32 v20, s[22:23], v5, v5, v4
	v_rcp_f32_e32 v21, v20
	v_div_scale_f32 v22, vcc, v4, v5, v4
	v_fma_f32 v23, -v20, v21, 1.0
	v_fmac_f32_e32 v21, v23, v21
	v_mul_f32_e32 v23, v22, v21
	v_fma_f32 v24, -v20, v23, v22
	v_fmac_f32_e32 v23, v24, v21
	v_fma_f32 v20, -v20, v23, v22
	v_div_fmas_f32 v20, v20, v21, v23
	v_div_fixup_f32 v4, v20, v5, v4
	ds_write_b32 v14, v4 offset:12
	s_waitcnt lgkmcnt(0)
	ds_read_b32 v5, v19 offset:12
	ds_read_b32 v20, v9
	s_waitcnt lgkmcnt(0)
	v_fmac_f32_e32 v20, v4, v5
	ds_write_b32 v9, v20
	s_waitcnt lgkmcnt(0)
	ds_read_b32 v5, v12 offset:128
	ds_read_b32 v4, v14 offset:16
	s_waitcnt lgkmcnt(1)
	v_cmp_neq_f32_e32 vcc, 0, v5
	s_nop 1
	v_cndmask_b32_e32 v5, 1.0, v5, vcc
	s_nor_b64 s[24:25], vcc, s[0:1]
	s_and_saveexec_b64 s[22:23], s[24:25]
	s_cbranch_execz .LBB7_61
; %bb.58:                               ;   in Loop: Header=BB7_18 Depth=1
	v_mbcnt_lo_u32_b32 v5, exec_lo, 0
	v_mbcnt_hi_u32_b32 v5, exec_hi, v5
	v_cmp_eq_u32_e32 vcc, 0, v5
	s_and_saveexec_b64 s[24:25], vcc
	s_cbranch_execz .LBB7_60
; %bb.59:                               ;   in Loop: Header=BB7_18 Depth=1
	v_mov_b32_e32 v5, s21
	global_atomic_smin v12, v5, s[10:11]
.LBB7_60:                               ;   in Loop: Header=BB7_18 Depth=1
	s_or_b64 exec, exec, s[24:25]
	v_mov_b32_e32 v5, 1.0
.LBB7_61:                               ;   in Loop: Header=BB7_18 Depth=1
	s_or_b64 exec, exec, s[22:23]
	ds_read_b128 v[20:23], v12 offset:112
	ds_read_b32 v28, v17 offset:16
	ds_read2_b32 v[24:25], v14 offset1:1
	ds_read2_b32 v[26:27], v14 offset0:2 offset1:3
	s_waitcnt lgkmcnt(1)
	v_fmac_f32_e32 v28, v20, v24
	v_fmac_f32_e32 v28, v21, v25
	s_waitcnt lgkmcnt(0)
	v_fmac_f32_e32 v28, v22, v26
	v_fmac_f32_e32 v28, v23, v27
	v_sub_f32_e32 v4, v4, v28
	v_div_scale_f32 v20, s[22:23], v5, v5, v4
	v_rcp_f32_e32 v21, v20
	v_div_scale_f32 v22, vcc, v4, v5, v4
	v_fma_f32 v23, -v20, v21, 1.0
	v_fmac_f32_e32 v21, v23, v21
	v_mul_f32_e32 v23, v22, v21
	v_fma_f32 v24, -v20, v23, v22
	v_fmac_f32_e32 v23, v24, v21
	v_fma_f32 v20, -v20, v23, v22
	v_div_fmas_f32 v20, v20, v21, v23
	v_div_fixup_f32 v4, v20, v5, v4
	ds_write_b32 v14, v4 offset:16
	s_waitcnt lgkmcnt(0)
	ds_read_b32 v5, v19 offset:16
	ds_read_b32 v20, v9
	s_waitcnt lgkmcnt(0)
	v_fmac_f32_e32 v20, v4, v5
	ds_write_b32 v9, v20
	s_waitcnt lgkmcnt(0)
	ds_read_b32 v5, v12 offset:160
	ds_read_b32 v4, v14 offset:20
	s_waitcnt lgkmcnt(1)
	v_cmp_neq_f32_e32 vcc, 0, v5
	s_nop 1
	v_cndmask_b32_e32 v5, 1.0, v5, vcc
	s_nor_b64 s[24:25], vcc, s[0:1]
	s_and_saveexec_b64 s[22:23], s[24:25]
	s_cbranch_execz .LBB7_17
; %bb.62:                               ;   in Loop: Header=BB7_18 Depth=1
	v_mbcnt_lo_u32_b32 v5, exec_lo, 0
	v_mbcnt_hi_u32_b32 v5, exec_hi, v5
	v_cmp_eq_u32_e32 vcc, 0, v5
	s_and_saveexec_b64 s[24:25], vcc
	s_cbranch_execz .LBB7_16
; %bb.63:                               ;   in Loop: Header=BB7_18 Depth=1
	v_mov_b32_e32 v5, s21
	global_atomic_smin v12, v5, s[10:11]
	s_branch .LBB7_16
.LBB7_64:                               ;   in Loop: Header=BB7_18 Depth=1
                                        ; implicit-def: $sgpr20
	s_cbranch_execz .LBB7_18
.LBB7_65:
	s_cmp_lg_u32 s33, 0
	s_cselect_b64 s[4:5], -1, 0
	s_cmp_eq_u32 s33, 0
	v_mov_b32_e32 v0, v8
	s_cbranch_scc1 .LBB7_67
; %bb.66:
	v_mad_u32_u24 v0, v6, 6, v7
.LBB7_67:
	s_mul_i32 s30, s30, 36
	v_add_u32_e32 v2, s30, v0
	v_ashrrev_i32_e32 v3, 31, v2
	v_lshl_add_u64 v[2:3], v[2:3], 2, s[18:19]
	global_load_dword v3, v[2:3], off
	v_mov_b32_e32 v0, 0x160
	v_mad_u32_u24 v2, v7, 28, v0
	v_cmp_ne_u32_e32 vcc, 0, v7
	v_lshl_add_u32 v0, v6, 2, v2
	v_cmp_eq_u32_e64 s[0:1], 0, v7
	s_waitcnt vmcnt(0)
	ds_write_b32 v0, v3
	s_waitcnt lgkmcnt(0)
	s_and_saveexec_b64 s[12:13], s[0:1]
	s_cbranch_execz .LBB7_69
; %bb.68:
	v_mov_b32_e32 v3, 0
	ds_read2_b32 v[4:5], v3 offset0:88 offset1:132
	s_mov_b32 s2, 0xf800000
	s_waitcnt lgkmcnt(0)
	v_sub_f32_e32 v4, v4, v5
	v_cmp_gt_f32_e64 s[0:1], 0, v4
	s_nop 1
	v_cndmask_b32_e64 v4, v4, -v4, s[0:1]
	v_mul_f32_e32 v5, 0x4f800000, v4
	v_cmp_gt_f32_e64 s[0:1], s2, v4
	s_nop 1
	v_cndmask_b32_e64 v4, v4, v5, s[0:1]
	v_sqrt_f32_e32 v5, v4
	s_nop 0
	v_add_u32_e32 v11, -1, v5
	v_add_u32_e32 v12, 1, v5
	v_fma_f32 v13, -v11, v5, v4
	v_fma_f32 v14, -v12, v5, v4
	v_cmp_ge_f32_e64 s[2:3], 0, v13
	s_nop 1
	v_cndmask_b32_e64 v5, v5, v11, s[2:3]
	v_cmp_lt_f32_e64 s[2:3], 0, v14
	s_nop 1
	v_cndmask_b32_e64 v5, v5, v12, s[2:3]
	v_mul_f32_e32 v11, 0x37800000, v5
	v_cndmask_b32_e64 v5, v5, v11, s[0:1]
	v_mov_b32_e32 v11, 0x260
	v_cmp_class_f32_e64 s[0:1], v4, v11
	s_nop 1
	v_cndmask_b32_e64 v4, v5, v4, s[0:1]
	ds_write_b32 v3, v4 offset:352
.LBB7_69:
	s_or_b64 exec, exec, s[12:13]
	v_mov_b32_e32 v3, 0
	s_waitcnt lgkmcnt(0)
	ds_read_b32 v4, v3 offset:352
	v_or_b32_e32 v3, v6, v7
	v_cmp_ne_u32_e64 s[0:1], 0, v3
	s_add_i32 s20, s16, s17
	s_waitcnt lgkmcnt(0)
	v_cmp_neq_f32_e64 s[2:3], 0, v4
	s_nop 1
	v_cndmask_b32_e64 v5, 1.0, v4, s[2:3]
	s_nor_b64 s[2:3], s[2:3], s[0:1]
	s_and_saveexec_b64 s[12:13], s[2:3]
	s_cbranch_execz .LBB7_73
; %bb.70:
	v_mbcnt_lo_u32_b32 v4, exec_lo, 0
	v_mbcnt_hi_u32_b32 v4, exec_hi, v4
	v_cmp_eq_u32_e64 s[2:3], 0, v4
	s_and_saveexec_b64 s[14:15], s[2:3]
	s_cbranch_execz .LBB7_72
; %bb.71:
	v_mov_b32_e32 v4, 0
	v_mov_b32_e32 v5, s20
	global_atomic_smin v4, v5, s[10:11]
.LBB7_72:
	s_or_b64 exec, exec, s[14:15]
	v_mov_b32_e32 v5, 1.0
.LBB7_73:
	s_or_b64 exec, exec, s[12:13]
	v_mov_b32_e32 v4, 0x160
	v_mad_u32_u24 v4, v6, 28, v4
	s_and_saveexec_b64 s[2:3], vcc
	s_cbranch_execz .LBB7_75
; %bb.74:
	ds_read_b32 v11, v2
	ds_read_b32 v12, v10
	s_waitcnt lgkmcnt(0)
	v_sub_f32_e32 v11, v11, v12
	v_div_scale_f32 v12, s[12:13], v5, v5, v11
	v_rcp_f32_e32 v13, v12
	v_div_scale_f32 v14, vcc, v11, v5, v11
	v_fma_f32 v15, -v12, v13, 1.0
	v_fmac_f32_e32 v13, v15, v13
	v_mul_f32_e32 v15, v14, v13
	v_fma_f32 v16, -v12, v15, v14
	v_fmac_f32_e32 v15, v16, v13
	v_fma_f32 v12, -v12, v15, v14
	v_div_fmas_f32 v12, v12, v13, v15
	v_div_fixup_f32 v5, v12, v5, v11
	ds_write_b32 v2, v5
	s_waitcnt lgkmcnt(0)
	ds_read_b32 v11, v4
	ds_read_b32 v12, v9
	s_waitcnt lgkmcnt(0)
	v_fmac_f32_e32 v12, v5, v11
	ds_write_b32 v9, v12
.LBB7_75:
	s_or_b64 exec, exec, s[2:3]
	v_cmp_eq_u32_e32 vcc, 1, v7
	s_waitcnt lgkmcnt(0)
	s_and_saveexec_b64 s[12:13], vcc
	s_cbranch_execz .LBB7_77
; %bb.76:
	v_mov_b32_e32 v5, 0
	ds_read2_b32 v[12:13], v5 offset0:96 offset1:140
	s_mov_b32 s2, 0xf800000
	s_waitcnt lgkmcnt(0)
	v_sub_f32_e32 v11, v12, v13
	v_cmp_gt_f32_e32 vcc, 0, v11
	s_nop 1
	v_cndmask_b32_e64 v11, v11, -v11, vcc
	v_mul_f32_e32 v12, 0x4f800000, v11
	v_cmp_gt_f32_e32 vcc, s2, v11
	s_nop 1
	v_cndmask_b32_e32 v11, v11, v12, vcc
	v_sqrt_f32_e32 v12, v11
	s_nop 0
	v_add_u32_e32 v13, -1, v12
	v_add_u32_e32 v14, 1, v12
	v_fma_f32 v15, -v13, v12, v11
	v_fma_f32 v16, -v14, v12, v11
	v_cmp_ge_f32_e64 s[2:3], 0, v15
	s_nop 1
	v_cndmask_b32_e64 v12, v12, v13, s[2:3]
	v_cmp_lt_f32_e64 s[2:3], 0, v16
	s_nop 1
	v_cndmask_b32_e64 v12, v12, v14, s[2:3]
	v_mul_f32_e32 v13, 0x37800000, v12
	v_cndmask_b32_e32 v12, v12, v13, vcc
	v_mov_b32_e32 v13, 0x260
	v_cmp_class_f32_e32 vcc, v11, v13
	s_nop 1
	v_cndmask_b32_e32 v11, v12, v11, vcc
	ds_write_b32 v5, v11 offset:384
.LBB7_77:
	s_or_b64 exec, exec, s[12:13]
	v_mov_b32_e32 v5, 0
	s_waitcnt lgkmcnt(0)
	ds_read_b32 v5, v5 offset:384
	s_waitcnt lgkmcnt(0)
	v_cmp_neq_f32_e32 vcc, 0, v5
	s_nop 1
	v_cndmask_b32_e32 v5, 1.0, v5, vcc
	s_nor_b64 s[12:13], vcc, s[0:1]
	s_and_saveexec_b64 s[2:3], s[12:13]
	s_cbranch_execz .LBB7_81
; %bb.78:
	v_mbcnt_lo_u32_b32 v5, exec_lo, 0
	v_mbcnt_hi_u32_b32 v5, exec_hi, v5
	v_cmp_eq_u32_e32 vcc, 0, v5
	s_and_saveexec_b64 s[12:13], vcc
	s_cbranch_execz .LBB7_80
; %bb.79:
	v_mov_b32_e32 v5, 0
	v_mov_b32_e32 v11, s20
	global_atomic_smin v5, v11, s[10:11]
.LBB7_80:
	s_or_b64 exec, exec, s[12:13]
	v_mov_b32_e32 v5, 1.0
.LBB7_81:
	s_or_b64 exec, exec, s[2:3]
	v_cmp_lt_u32_e32 vcc, 1, v7
	s_and_saveexec_b64 s[2:3], vcc
	s_cbranch_execz .LBB7_83
; %bb.82:
	ds_read_b32 v11, v2 offset:4
	ds_read_b32 v12, v10 offset:4
	s_waitcnt lgkmcnt(0)
	v_sub_f32_e32 v11, v11, v12
	v_div_scale_f32 v12, s[12:13], v5, v5, v11
	v_rcp_f32_e32 v13, v12
	v_div_scale_f32 v14, vcc, v11, v5, v11
	v_fma_f32 v15, -v12, v13, 1.0
	v_fmac_f32_e32 v13, v15, v13
	v_mul_f32_e32 v15, v14, v13
	v_fma_f32 v16, -v12, v15, v14
	v_fmac_f32_e32 v15, v16, v13
	v_fma_f32 v12, -v12, v15, v14
	v_div_fmas_f32 v12, v12, v13, v15
	v_div_fixup_f32 v5, v12, v5, v11
	ds_write_b32 v2, v5 offset:4
	s_waitcnt lgkmcnt(0)
	ds_read_b32 v11, v4 offset:4
	ds_read_b32 v12, v9
	s_waitcnt lgkmcnt(0)
	v_fmac_f32_e32 v12, v5, v11
	ds_write_b32 v9, v12
.LBB7_83:
	s_or_b64 exec, exec, s[2:3]
	v_cmp_eq_u32_e32 vcc, 2, v7
	s_waitcnt lgkmcnt(0)
	s_and_saveexec_b64 s[12:13], vcc
	s_cbranch_execz .LBB7_85
; %bb.84:
	v_mov_b32_e32 v5, 0
	ds_read2_b32 v[12:13], v5 offset0:104 offset1:148
	s_mov_b32 s2, 0xf800000
	s_waitcnt lgkmcnt(0)
	v_sub_f32_e32 v11, v12, v13
	v_cmp_gt_f32_e32 vcc, 0, v11
	s_nop 1
	v_cndmask_b32_e64 v11, v11, -v11, vcc
	v_mul_f32_e32 v12, 0x4f800000, v11
	v_cmp_gt_f32_e32 vcc, s2, v11
	s_nop 1
	v_cndmask_b32_e32 v11, v11, v12, vcc
	v_sqrt_f32_e32 v12, v11
	s_nop 0
	v_add_u32_e32 v13, -1, v12
	v_add_u32_e32 v14, 1, v12
	v_fma_f32 v15, -v13, v12, v11
	v_fma_f32 v16, -v14, v12, v11
	v_cmp_ge_f32_e64 s[2:3], 0, v15
	s_nop 1
	v_cndmask_b32_e64 v12, v12, v13, s[2:3]
	v_cmp_lt_f32_e64 s[2:3], 0, v16
	s_nop 1
	v_cndmask_b32_e64 v12, v12, v14, s[2:3]
	v_mul_f32_e32 v13, 0x37800000, v12
	v_cndmask_b32_e32 v12, v12, v13, vcc
	v_mov_b32_e32 v13, 0x260
	v_cmp_class_f32_e32 vcc, v11, v13
	s_nop 1
	v_cndmask_b32_e32 v11, v12, v11, vcc
	ds_write_b32 v5, v11 offset:416
.LBB7_85:
	s_or_b64 exec, exec, s[12:13]
	v_mov_b32_e32 v5, 0
	s_waitcnt lgkmcnt(0)
	ds_read_b32 v5, v5 offset:416
	s_waitcnt lgkmcnt(0)
	v_cmp_neq_f32_e32 vcc, 0, v5
	s_nop 1
	v_cndmask_b32_e32 v5, 1.0, v5, vcc
	s_nor_b64 s[12:13], vcc, s[0:1]
	s_and_saveexec_b64 s[2:3], s[12:13]
	s_cbranch_execz .LBB7_89
; %bb.86:
	v_mbcnt_lo_u32_b32 v5, exec_lo, 0
	v_mbcnt_hi_u32_b32 v5, exec_hi, v5
	v_cmp_eq_u32_e32 vcc, 0, v5
	s_and_saveexec_b64 s[12:13], vcc
	s_cbranch_execz .LBB7_88
; %bb.87:
	v_mov_b32_e32 v5, 0
	v_mov_b32_e32 v11, s20
	global_atomic_smin v5, v11, s[10:11]
.LBB7_88:
	s_or_b64 exec, exec, s[12:13]
	v_mov_b32_e32 v5, 1.0
.LBB7_89:
	s_or_b64 exec, exec, s[2:3]
	v_cmp_lt_u32_e32 vcc, 2, v7
	s_and_saveexec_b64 s[2:3], vcc
	s_cbranch_execz .LBB7_91
; %bb.90:
	ds_read_b32 v11, v2 offset:8
	ds_read_b32 v12, v10 offset:8
	s_waitcnt lgkmcnt(0)
	v_sub_f32_e32 v11, v11, v12
	v_div_scale_f32 v12, s[12:13], v5, v5, v11
	v_rcp_f32_e32 v13, v12
	v_div_scale_f32 v14, vcc, v11, v5, v11
	v_fma_f32 v15, -v12, v13, 1.0
	v_fmac_f32_e32 v13, v15, v13
	v_mul_f32_e32 v15, v14, v13
	v_fma_f32 v16, -v12, v15, v14
	v_fmac_f32_e32 v15, v16, v13
	v_fma_f32 v12, -v12, v15, v14
	v_div_fmas_f32 v12, v12, v13, v15
	v_div_fixup_f32 v5, v12, v5, v11
	ds_write_b32 v2, v5 offset:8
	s_waitcnt lgkmcnt(0)
	ds_read_b32 v11, v4 offset:8
	ds_read_b32 v12, v9
	s_waitcnt lgkmcnt(0)
	v_fmac_f32_e32 v12, v5, v11
	ds_write_b32 v9, v12
.LBB7_91:
	s_or_b64 exec, exec, s[2:3]
	v_cmp_eq_u32_e32 vcc, 3, v7
	s_waitcnt lgkmcnt(0)
	s_and_saveexec_b64 s[12:13], vcc
	s_cbranch_execz .LBB7_93
; %bb.92:
	v_mov_b32_e32 v5, 0
	ds_read2_b32 v[12:13], v5 offset0:112 offset1:156
	s_mov_b32 s2, 0xf800000
	s_waitcnt lgkmcnt(0)
	v_sub_f32_e32 v11, v12, v13
	v_cmp_gt_f32_e32 vcc, 0, v11
	s_nop 1
	v_cndmask_b32_e64 v11, v11, -v11, vcc
	v_mul_f32_e32 v12, 0x4f800000, v11
	v_cmp_gt_f32_e32 vcc, s2, v11
	s_nop 1
	v_cndmask_b32_e32 v11, v11, v12, vcc
	v_sqrt_f32_e32 v12, v11
	s_nop 0
	v_add_u32_e32 v13, -1, v12
	v_add_u32_e32 v14, 1, v12
	v_fma_f32 v15, -v13, v12, v11
	v_fma_f32 v16, -v14, v12, v11
	v_cmp_ge_f32_e64 s[2:3], 0, v15
	s_nop 1
	v_cndmask_b32_e64 v12, v12, v13, s[2:3]
	v_cmp_lt_f32_e64 s[2:3], 0, v16
	s_nop 1
	v_cndmask_b32_e64 v12, v12, v14, s[2:3]
	v_mul_f32_e32 v13, 0x37800000, v12
	v_cndmask_b32_e32 v12, v12, v13, vcc
	v_mov_b32_e32 v13, 0x260
	v_cmp_class_f32_e32 vcc, v11, v13
	s_nop 1
	v_cndmask_b32_e32 v11, v12, v11, vcc
	ds_write_b32 v5, v11 offset:448
.LBB7_93:
	s_or_b64 exec, exec, s[12:13]
	v_mov_b32_e32 v5, 0
	s_waitcnt lgkmcnt(0)
	ds_read_b32 v5, v5 offset:448
	s_waitcnt lgkmcnt(0)
	v_cmp_neq_f32_e32 vcc, 0, v5
	s_nop 1
	v_cndmask_b32_e32 v5, 1.0, v5, vcc
	s_nor_b64 s[12:13], vcc, s[0:1]
	s_and_saveexec_b64 s[2:3], s[12:13]
	s_cbranch_execz .LBB7_97
; %bb.94:
	v_mbcnt_lo_u32_b32 v5, exec_lo, 0
	v_mbcnt_hi_u32_b32 v5, exec_hi, v5
	v_cmp_eq_u32_e32 vcc, 0, v5
	s_and_saveexec_b64 s[12:13], vcc
	s_cbranch_execz .LBB7_96
; %bb.95:
	v_mov_b32_e32 v5, 0
	v_mov_b32_e32 v11, s20
	global_atomic_smin v5, v11, s[10:11]
.LBB7_96:
	s_or_b64 exec, exec, s[12:13]
	v_mov_b32_e32 v5, 1.0
.LBB7_97:
	s_or_b64 exec, exec, s[2:3]
	v_cmp_lt_u32_e32 vcc, 3, v7
	s_and_saveexec_b64 s[2:3], vcc
	s_cbranch_execz .LBB7_99
; %bb.98:
	ds_read_b32 v11, v2 offset:12
	ds_read_b32 v12, v10 offset:12
	s_waitcnt lgkmcnt(0)
	v_sub_f32_e32 v11, v11, v12
	v_div_scale_f32 v12, s[12:13], v5, v5, v11
	v_rcp_f32_e32 v13, v12
	v_div_scale_f32 v14, vcc, v11, v5, v11
	v_fma_f32 v15, -v12, v13, 1.0
	v_fmac_f32_e32 v13, v15, v13
	v_mul_f32_e32 v15, v14, v13
	v_fma_f32 v16, -v12, v15, v14
	v_fmac_f32_e32 v15, v16, v13
	v_fma_f32 v12, -v12, v15, v14
	v_div_fmas_f32 v12, v12, v13, v15
	v_div_fixup_f32 v5, v12, v5, v11
	ds_write_b32 v2, v5 offset:12
	s_waitcnt lgkmcnt(0)
	ds_read_b32 v11, v4 offset:12
	ds_read_b32 v12, v9
	s_waitcnt lgkmcnt(0)
	v_fmac_f32_e32 v12, v5, v11
	ds_write_b32 v9, v12
.LBB7_99:
	s_or_b64 exec, exec, s[2:3]
	v_cmp_eq_u32_e32 vcc, 4, v7
	s_waitcnt lgkmcnt(0)
	s_and_saveexec_b64 s[12:13], vcc
	s_cbranch_execz .LBB7_101
; %bb.100:
	v_mov_b32_e32 v5, 0
	ds_read2_b32 v[12:13], v5 offset0:120 offset1:164
	s_mov_b32 s2, 0xf800000
	s_waitcnt lgkmcnt(0)
	v_sub_f32_e32 v11, v12, v13
	v_cmp_gt_f32_e32 vcc, 0, v11
	s_nop 1
	v_cndmask_b32_e64 v11, v11, -v11, vcc
	v_mul_f32_e32 v12, 0x4f800000, v11
	v_cmp_gt_f32_e32 vcc, s2, v11
	s_nop 1
	v_cndmask_b32_e32 v11, v11, v12, vcc
	v_sqrt_f32_e32 v12, v11
	s_nop 0
	v_add_u32_e32 v13, -1, v12
	v_add_u32_e32 v14, 1, v12
	v_fma_f32 v15, -v13, v12, v11
	v_fma_f32 v16, -v14, v12, v11
	v_cmp_ge_f32_e64 s[2:3], 0, v15
	s_nop 1
	v_cndmask_b32_e64 v12, v12, v13, s[2:3]
	v_cmp_lt_f32_e64 s[2:3], 0, v16
	s_nop 1
	v_cndmask_b32_e64 v12, v12, v14, s[2:3]
	v_mul_f32_e32 v13, 0x37800000, v12
	v_cndmask_b32_e32 v12, v12, v13, vcc
	v_mov_b32_e32 v13, 0x260
	v_cmp_class_f32_e32 vcc, v11, v13
	s_nop 1
	v_cndmask_b32_e32 v11, v12, v11, vcc
	ds_write_b32 v5, v11 offset:480
.LBB7_101:
	s_or_b64 exec, exec, s[12:13]
	v_mov_b32_e32 v5, 0
	s_waitcnt lgkmcnt(0)
	ds_read_b32 v5, v5 offset:480
	s_waitcnt lgkmcnt(0)
	v_cmp_neq_f32_e32 vcc, 0, v5
	s_nop 1
	v_cndmask_b32_e32 v5, 1.0, v5, vcc
	s_nor_b64 s[12:13], vcc, s[0:1]
	s_and_saveexec_b64 s[2:3], s[12:13]
	s_cbranch_execz .LBB7_105
; %bb.102:
	v_mbcnt_lo_u32_b32 v5, exec_lo, 0
	v_mbcnt_hi_u32_b32 v5, exec_hi, v5
	v_cmp_eq_u32_e32 vcc, 0, v5
	s_and_saveexec_b64 s[12:13], vcc
	s_cbranch_execz .LBB7_104
; %bb.103:
	v_mov_b32_e32 v5, 0
	v_mov_b32_e32 v11, s20
	global_atomic_smin v5, v11, s[10:11]
.LBB7_104:
	s_or_b64 exec, exec, s[12:13]
	v_mov_b32_e32 v5, 1.0
.LBB7_105:
	s_or_b64 exec, exec, s[2:3]
	v_cmp_lt_u32_e32 vcc, 4, v7
	s_and_saveexec_b64 s[2:3], vcc
	s_cbranch_execz .LBB7_107
; %bb.106:
	ds_read_b32 v11, v2 offset:16
	ds_read_b32 v12, v10 offset:16
	s_waitcnt lgkmcnt(0)
	v_sub_f32_e32 v11, v11, v12
	v_div_scale_f32 v12, s[12:13], v5, v5, v11
	v_rcp_f32_e32 v13, v12
	v_div_scale_f32 v14, vcc, v11, v5, v11
	v_fma_f32 v15, -v12, v13, 1.0
	v_fmac_f32_e32 v13, v15, v13
	v_mul_f32_e32 v15, v14, v13
	v_fma_f32 v16, -v12, v15, v14
	v_fmac_f32_e32 v15, v16, v13
	v_fma_f32 v12, -v12, v15, v14
	v_div_fmas_f32 v12, v12, v13, v15
	v_div_fixup_f32 v5, v12, v5, v11
	ds_write_b32 v2, v5 offset:16
	s_waitcnt lgkmcnt(0)
	ds_read_b32 v11, v4 offset:16
	ds_read_b32 v12, v9
	s_waitcnt lgkmcnt(0)
	v_fmac_f32_e32 v12, v5, v11
	ds_write_b32 v9, v12
.LBB7_107:
	s_or_b64 exec, exec, s[2:3]
	v_cmp_eq_u32_e32 vcc, 5, v7
	s_waitcnt lgkmcnt(0)
	s_and_saveexec_b64 s[12:13], vcc
	s_cbranch_execz .LBB7_109
; %bb.108:
	v_mov_b32_e32 v5, 0
	ds_read2_b32 v[12:13], v5 offset0:128 offset1:172
	s_mov_b32 s2, 0xf800000
	s_waitcnt lgkmcnt(0)
	v_sub_f32_e32 v11, v12, v13
	v_cmp_gt_f32_e32 vcc, 0, v11
	s_nop 1
	v_cndmask_b32_e64 v11, v11, -v11, vcc
	v_mul_f32_e32 v12, 0x4f800000, v11
	v_cmp_gt_f32_e32 vcc, s2, v11
	s_nop 1
	v_cndmask_b32_e32 v11, v11, v12, vcc
	v_sqrt_f32_e32 v12, v11
	s_nop 0
	v_add_u32_e32 v13, -1, v12
	v_add_u32_e32 v14, 1, v12
	v_fma_f32 v15, -v13, v12, v11
	v_fma_f32 v16, -v14, v12, v11
	v_cmp_ge_f32_e64 s[2:3], 0, v15
	s_nop 1
	v_cndmask_b32_e64 v12, v12, v13, s[2:3]
	v_cmp_lt_f32_e64 s[2:3], 0, v16
	s_nop 1
	v_cndmask_b32_e64 v12, v12, v14, s[2:3]
	v_mul_f32_e32 v13, 0x37800000, v12
	v_cndmask_b32_e32 v12, v12, v13, vcc
	v_mov_b32_e32 v13, 0x260
	v_cmp_class_f32_e32 vcc, v11, v13
	s_nop 1
	v_cndmask_b32_e32 v11, v12, v11, vcc
	ds_write_b32 v5, v11 offset:512
.LBB7_109:
	s_or_b64 exec, exec, s[12:13]
	v_mov_b32_e32 v5, 0
	s_waitcnt lgkmcnt(0)
	ds_read_b32 v5, v5 offset:512
	s_waitcnt lgkmcnt(0)
	v_cmp_neq_f32_e32 vcc, 0, v5
	s_nop 1
	v_cndmask_b32_e32 v5, 1.0, v5, vcc
	s_nor_b64 s[2:3], vcc, s[0:1]
	s_and_saveexec_b64 s[0:1], s[2:3]
	s_cbranch_execz .LBB7_113
; %bb.110:
	v_mbcnt_lo_u32_b32 v5, exec_lo, 0
	v_mbcnt_hi_u32_b32 v5, exec_hi, v5
	v_cmp_eq_u32_e32 vcc, 0, v5
	s_and_saveexec_b64 s[2:3], vcc
	s_cbranch_execz .LBB7_112
; %bb.111:
	v_mov_b32_e32 v5, 0
	v_mov_b32_e32 v11, s20
	global_atomic_smin v5, v11, s[10:11]
.LBB7_112:
	s_or_b64 exec, exec, s[2:3]
	v_mov_b32_e32 v5, 1.0
.LBB7_113:
	s_or_b64 exec, exec, s[0:1]
	v_cmp_lt_u32_e32 vcc, 5, v7
	s_and_saveexec_b64 s[0:1], vcc
	s_cbranch_execz .LBB7_115
; %bb.114:
	ds_read_b32 v11, v2 offset:20
	ds_read_b32 v10, v10 offset:20
	s_waitcnt lgkmcnt(0)
	v_sub_f32_e32 v10, v11, v10
	v_div_scale_f32 v11, s[2:3], v5, v5, v10
	v_rcp_f32_e32 v12, v11
	v_div_scale_f32 v13, vcc, v10, v5, v10
	v_fma_f32 v14, -v11, v12, 1.0
	v_fmac_f32_e32 v12, v14, v12
	v_mul_f32_e32 v14, v13, v12
	v_fma_f32 v15, -v11, v14, v13
	v_fmac_f32_e32 v14, v15, v12
	v_fma_f32 v11, -v11, v14, v13
	v_div_fmas_f32 v11, v11, v12, v14
	v_div_fixup_f32 v5, v11, v5, v10
	ds_write_b32 v2, v5 offset:20
	s_waitcnt lgkmcnt(0)
	ds_read_b32 v2, v4 offset:20
	ds_read_b32 v4, v9
	s_waitcnt lgkmcnt(0)
	v_fmac_f32_e32 v4, v5, v2
	ds_write_b32 v9, v4
.LBB7_115:
	s_or_b64 exec, exec, s[0:1]
	s_waitcnt lgkmcnt(0)
	ds_read_b32 v0, v0
	s_andn2_b64 vcc, exec, s[4:5]
	s_cbranch_vccnz .LBB7_117
; %bb.116:
	v_mov_b32_e32 v8, v1
.LBB7_117:
	v_add_u32_e32 v4, s30, v8
	v_ashrrev_i32_e32 v5, 31, v4
	v_lshl_add_u64 v[4:5], v[4:5], 2, s[18:19]
	v_cmp_eq_u32_e32 vcc, 0, v3
	s_waitcnt lgkmcnt(0)
	global_store_dword v[4:5], v0, off
	s_and_saveexec_b64 s[0:1], vcc
	s_cbranch_execz .LBB7_119
; %bb.118:
	s_add_u32 s2, s6, s8
	s_addc_u32 s3, s7, s9
	v_mov_b32_e32 v0, 0
	v_mov_b32_e32 v1, 1
	buffer_wbl2 sc1
	s_waitcnt vmcnt(0)
	global_store_dword v0, v1, s[2:3] sc1
.LBB7_119:
	s_or_b64 exec, exec, s[0:1]
.LBB7_120:
	s_endpgm
.LBB7_121:
	s_cbranch_execz .LBB7_120
; %bb.122:
	v_or_b32_e32 v0, v6, v7
	v_cmp_eq_u32_e32 vcc, 0, v0
	s_and_saveexec_b64 s[0:1], vcc
	s_cbranch_execz .LBB7_120
; %bb.123:
	v_mbcnt_lo_u32_b32 v0, exec_lo, 0
	v_mbcnt_hi_u32_b32 v0, exec_hi, v0
	v_cmp_eq_u32_e32 vcc, 0, v0
	s_and_saveexec_b64 s[0:1], vcc
	s_cbranch_execz .LBB7_125
; %bb.124:
	s_add_i32 s2, s16, s17
	v_mov_b32_e32 v0, 0
	v_mov_b32_e32 v1, s2
	global_atomic_smin v0, v1, s[10:11]
.LBB7_125:
	s_or_b64 exec, exec, s[0:1]
	s_add_u32 s0, s6, s8
	s_addc_u32 s1, s7, s9
	v_mov_b32_e32 v0, 0
	v_mov_b32_e32 v1, 1
	buffer_wbl2 sc1
	s_waitcnt vmcnt(0)
	global_store_dword v0, v1, s[0:1] sc1
	s_endpgm
	.section	.rodata,"a",@progbits
	.p2align	6, 0x0
	.amdhsa_kernel _ZN9rocsparseL26bsric0_2_8_unrolled_kernelILi36ELi32ELi6EfEEv20rocsparse_direction_iiPKiS3_PT2_S3_PiS3_S6_21rocsparse_index_base_
		.amdhsa_group_segment_fixed_size 1088
		.amdhsa_private_segment_fixed_size 0
		.amdhsa_kernarg_size 76
		.amdhsa_user_sgpr_count 2
		.amdhsa_user_sgpr_dispatch_ptr 0
		.amdhsa_user_sgpr_queue_ptr 0
		.amdhsa_user_sgpr_kernarg_segment_ptr 1
		.amdhsa_user_sgpr_dispatch_id 0
		.amdhsa_user_sgpr_kernarg_preload_length 0
		.amdhsa_user_sgpr_kernarg_preload_offset 0
		.amdhsa_user_sgpr_private_segment_size 0
		.amdhsa_uses_dynamic_stack 0
		.amdhsa_enable_private_segment 0
		.amdhsa_system_sgpr_workgroup_id_x 1
		.amdhsa_system_sgpr_workgroup_id_y 0
		.amdhsa_system_sgpr_workgroup_id_z 0
		.amdhsa_system_sgpr_workgroup_info 0
		.amdhsa_system_vgpr_workitem_id 1
		.amdhsa_next_free_vgpr 66
		.amdhsa_next_free_sgpr 40
		.amdhsa_accum_offset 68
		.amdhsa_reserve_vcc 1
		.amdhsa_float_round_mode_32 0
		.amdhsa_float_round_mode_16_64 0
		.amdhsa_float_denorm_mode_32 3
		.amdhsa_float_denorm_mode_16_64 3
		.amdhsa_dx10_clamp 1
		.amdhsa_ieee_mode 1
		.amdhsa_fp16_overflow 0
		.amdhsa_tg_split 0
		.amdhsa_exception_fp_ieee_invalid_op 0
		.amdhsa_exception_fp_denorm_src 0
		.amdhsa_exception_fp_ieee_div_zero 0
		.amdhsa_exception_fp_ieee_overflow 0
		.amdhsa_exception_fp_ieee_underflow 0
		.amdhsa_exception_fp_ieee_inexact 0
		.amdhsa_exception_int_div_zero 0
	.end_amdhsa_kernel
	.section	.text._ZN9rocsparseL26bsric0_2_8_unrolled_kernelILi36ELi32ELi6EfEEv20rocsparse_direction_iiPKiS3_PT2_S3_PiS3_S6_21rocsparse_index_base_,"axG",@progbits,_ZN9rocsparseL26bsric0_2_8_unrolled_kernelILi36ELi32ELi6EfEEv20rocsparse_direction_iiPKiS3_PT2_S3_PiS3_S6_21rocsparse_index_base_,comdat
.Lfunc_end7:
	.size	_ZN9rocsparseL26bsric0_2_8_unrolled_kernelILi36ELi32ELi6EfEEv20rocsparse_direction_iiPKiS3_PT2_S3_PiS3_S6_21rocsparse_index_base_, .Lfunc_end7-_ZN9rocsparseL26bsric0_2_8_unrolled_kernelILi36ELi32ELi6EfEEv20rocsparse_direction_iiPKiS3_PT2_S3_PiS3_S6_21rocsparse_index_base_
                                        ; -- End function
	.set _ZN9rocsparseL26bsric0_2_8_unrolled_kernelILi36ELi32ELi6EfEEv20rocsparse_direction_iiPKiS3_PT2_S3_PiS3_S6_21rocsparse_index_base_.num_vgpr, 66
	.set _ZN9rocsparseL26bsric0_2_8_unrolled_kernelILi36ELi32ELi6EfEEv20rocsparse_direction_iiPKiS3_PT2_S3_PiS3_S6_21rocsparse_index_base_.num_agpr, 0
	.set _ZN9rocsparseL26bsric0_2_8_unrolled_kernelILi36ELi32ELi6EfEEv20rocsparse_direction_iiPKiS3_PT2_S3_PiS3_S6_21rocsparse_index_base_.numbered_sgpr, 40
	.set _ZN9rocsparseL26bsric0_2_8_unrolled_kernelILi36ELi32ELi6EfEEv20rocsparse_direction_iiPKiS3_PT2_S3_PiS3_S6_21rocsparse_index_base_.num_named_barrier, 0
	.set _ZN9rocsparseL26bsric0_2_8_unrolled_kernelILi36ELi32ELi6EfEEv20rocsparse_direction_iiPKiS3_PT2_S3_PiS3_S6_21rocsparse_index_base_.private_seg_size, 0
	.set _ZN9rocsparseL26bsric0_2_8_unrolled_kernelILi36ELi32ELi6EfEEv20rocsparse_direction_iiPKiS3_PT2_S3_PiS3_S6_21rocsparse_index_base_.uses_vcc, 1
	.set _ZN9rocsparseL26bsric0_2_8_unrolled_kernelILi36ELi32ELi6EfEEv20rocsparse_direction_iiPKiS3_PT2_S3_PiS3_S6_21rocsparse_index_base_.uses_flat_scratch, 0
	.set _ZN9rocsparseL26bsric0_2_8_unrolled_kernelILi36ELi32ELi6EfEEv20rocsparse_direction_iiPKiS3_PT2_S3_PiS3_S6_21rocsparse_index_base_.has_dyn_sized_stack, 0
	.set _ZN9rocsparseL26bsric0_2_8_unrolled_kernelILi36ELi32ELi6EfEEv20rocsparse_direction_iiPKiS3_PT2_S3_PiS3_S6_21rocsparse_index_base_.has_recursion, 0
	.set _ZN9rocsparseL26bsric0_2_8_unrolled_kernelILi36ELi32ELi6EfEEv20rocsparse_direction_iiPKiS3_PT2_S3_PiS3_S6_21rocsparse_index_base_.has_indirect_call, 0
	.section	.AMDGPU.csdata,"",@progbits
; Kernel info:
; codeLenInByte = 7460
; TotalNumSgprs: 46
; NumVgprs: 66
; NumAgprs: 0
; TotalNumVgprs: 66
; ScratchSize: 0
; MemoryBound: 0
; FloatMode: 240
; IeeeMode: 1
; LDSByteSize: 1088 bytes/workgroup (compile time only)
; SGPRBlocks: 5
; VGPRBlocks: 8
; NumSGPRsForWavesPerEU: 46
; NumVGPRsForWavesPerEU: 66
; AccumOffset: 68
; Occupancy: 7
; WaveLimiterHint : 1
; COMPUTE_PGM_RSRC2:SCRATCH_EN: 0
; COMPUTE_PGM_RSRC2:USER_SGPR: 2
; COMPUTE_PGM_RSRC2:TRAP_HANDLER: 0
; COMPUTE_PGM_RSRC2:TGID_X_EN: 1
; COMPUTE_PGM_RSRC2:TGID_Y_EN: 0
; COMPUTE_PGM_RSRC2:TGID_Z_EN: 0
; COMPUTE_PGM_RSRC2:TIDIG_COMP_CNT: 1
; COMPUTE_PGM_RSRC3_GFX90A:ACCUM_OFFSET: 16
; COMPUTE_PGM_RSRC3_GFX90A:TG_SPLIT: 0
	.section	.text._ZN9rocsparseL26bsric0_2_8_unrolled_kernelILi49ELi32ELi7EfEEv20rocsparse_direction_iiPKiS3_PT2_S3_PiS3_S6_21rocsparse_index_base_,"axG",@progbits,_ZN9rocsparseL26bsric0_2_8_unrolled_kernelILi49ELi32ELi7EfEEv20rocsparse_direction_iiPKiS3_PT2_S3_PiS3_S6_21rocsparse_index_base_,comdat
	.globl	_ZN9rocsparseL26bsric0_2_8_unrolled_kernelILi49ELi32ELi7EfEEv20rocsparse_direction_iiPKiS3_PT2_S3_PiS3_S6_21rocsparse_index_base_ ; -- Begin function _ZN9rocsparseL26bsric0_2_8_unrolled_kernelILi49ELi32ELi7EfEEv20rocsparse_direction_iiPKiS3_PT2_S3_PiS3_S6_21rocsparse_index_base_
	.p2align	8
	.type	_ZN9rocsparseL26bsric0_2_8_unrolled_kernelILi49ELi32ELi7EfEEv20rocsparse_direction_iiPKiS3_PT2_S3_PiS3_S6_21rocsparse_index_base_,@function
_ZN9rocsparseL26bsric0_2_8_unrolled_kernelILi49ELi32ELi7EfEEv20rocsparse_direction_iiPKiS3_PT2_S3_PiS3_S6_21rocsparse_index_base_: ; @_ZN9rocsparseL26bsric0_2_8_unrolled_kernelILi49ELi32ELi7EfEEv20rocsparse_direction_iiPKiS3_PT2_S3_PiS3_S6_21rocsparse_index_base_
; %bb.0:
	s_load_dwordx8 s[4:11], s[0:1], 0x28
	s_mov_b32 s3, 0
	s_lshl_b64 s[2:3], s[2:3], 2
	v_and_b32_e32 v6, 0x3ff, v0
	v_bfe_u32 v7, v0, 10, 10
	s_waitcnt lgkmcnt(0)
	s_add_u32 s2, s8, s2
	s_addc_u32 s3, s9, s3
	s_load_dword s16, s[2:3], 0x0
	s_waitcnt lgkmcnt(0)
	s_ashr_i32 s17, s16, 31
	s_lshl_b64 s[8:9], s[16:17], 2
	s_add_u32 s2, s4, s8
	s_addc_u32 s3, s5, s9
	s_load_dword s30, s[2:3], 0x0
	s_load_dword s17, s[0:1], 0x48
	s_waitcnt lgkmcnt(0)
	s_cmp_lg_u32 s30, -1
	s_cbranch_scc0 .LBB8_133
; %bb.1:
	s_load_dwordx4 s[12:15], s[0:1], 0x10
	s_load_dwordx2 s[18:19], s[0:1], 0x20
	v_mad_u32_u24 v8, v7, 7, v6
	v_mul_u32_u24_e32 v11, 7, v7
	s_waitcnt lgkmcnt(0)
	s_add_u32 s2, s12, s8
	s_addc_u32 s3, s13, s9
	s_load_dword s26, s[2:3], 0x0
	s_waitcnt lgkmcnt(0)
	s_sub_i32 s31, s26, s17
	v_add_u32_e32 v0, s31, v8
	v_cmp_ge_i32_e32 vcc, s30, v0
	s_and_saveexec_b64 s[20:21], vcc
	s_cbranch_execz .LBB8_14
; %bb.2:
	v_add_u32_e32 v1, s26, v6
	v_add_u32_e32 v2, v1, v11
	v_subrev_u32_e32 v2, s17, v2
	v_add_u32_e32 v2, 49, v2
	s_add_i32 s2, s30, 1
	v_max_i32_e32 v2, s2, v2
	v_add_u32_e32 v2, s17, v2
	v_sub_u32_e32 v1, v2, v1
	v_subrev_u32_e32 v1, 49, v1
	v_cmp_ne_u32_e32 vcc, v1, v11
	s_mov_b64 s[22:23], -1
	s_nop 0
	v_addc_co_u32_e64 v2, s[2:3], 0, v11, vcc
	v_sub_u32_e32 v1, v1, v2
	s_mov_b32 s2, 0x5397829d
	v_mul_hi_u32 v1, v1, s2
	v_lshrrev_b32_e32 v1, 4, v1
	v_addc_co_u32_e32 v4, vcc, 0, v1, vcc
	v_cmp_ne_u32_e32 vcc, 0, v4
	s_and_saveexec_b64 s[2:3], vcc
	s_cbranch_execz .LBB8_11
; %bb.3:
	v_add_u32_e32 v2, -1, v4
	v_add_u32_e32 v1, 49, v0
	v_lshrrev_b32_e32 v2, 1, v2
	v_add_u32_e32 v5, 1, v2
	v_cmp_lt_u32_e32 vcc, 14, v4
	v_mov_b64_e32 v[2:3], v[0:1]
	s_and_saveexec_b64 s[22:23], vcc
	s_cbranch_execz .LBB8_7
; %bb.4:
	v_and_b32_e32 v9, -8, v5
	s_mov_b64 s[24:25], 0
	v_mov_b64_e32 v[2:3], v[0:1]
.LBB8_5:                                ; =>This Inner Loop Header: Depth=1
	v_ashrrev_i32_e32 v15, 31, v2
	v_mov_b32_e32 v14, v2
	v_ashrrev_i32_e32 v13, 31, v3
	v_mov_b32_e32 v12, v3
	v_add_u32_e32 v16, 0x62, v2
	v_add_u32_e32 v18, 0x62, v3
	v_lshl_add_u64 v[14:15], v[14:15], 2, s[14:15]
	v_add_u32_e32 v20, 0xc4, v2
	v_add_u32_e32 v22, 0xc4, v3
	;; [unrolled: 1-line block ×12, first 2 shown]
	v_lshl_add_u64 v[12:13], v[12:13], 2, s[14:15]
	v_ashrrev_i32_e32 v19, 31, v18
	v_ashrrev_i32_e32 v17, 31, v16
	global_load_dword v1, v[14:15], off
	global_load_dword v10, v[12:13], off
	v_ashrrev_i32_e32 v23, 31, v22
	v_ashrrev_i32_e32 v21, 31, v20
	;; [unrolled: 1-line block ×12, first 2 shown]
	v_lshl_add_u64 v[12:13], v[16:17], 2, s[14:15]
	v_lshl_add_u64 v[14:15], v[18:19], 2, s[14:15]
	;; [unrolled: 1-line block ×13, first 2 shown]
	global_load_dword v17, v[14:15], off
	v_lshl_add_u64 v[14:15], v[42:43], 2, s[14:15]
	global_load_dword v19, v[12:13], off
	global_load_dword v21, v[46:47], off
	;; [unrolled: 1-line block ×13, first 2 shown]
	v_subrev_u32_e32 v13, s31, v2
	v_add_u32_e32 v9, -8, v9
	v_subrev_u32_e32 v12, s31, v3
	v_lshlrev_b32_e32 v13, 2, v13
	v_subrev_u32_e32 v15, s31, v16
	v_cmp_eq_u32_e32 vcc, 0, v9
	v_add_u32_e32 v3, 0x310, v3
	v_add_u32_e32 v2, 0x310, v2
	v_lshlrev_b32_e32 v12, 2, v12
	v_subrev_u32_e32 v14, s31, v18
	v_subrev_u32_e32 v16, s31, v22
	;; [unrolled: 1-line block ×13, first 2 shown]
	v_lshlrev_b32_e32 v15, 2, v15
	s_or_b64 s[24:25], vcc, s[24:25]
	v_lshlrev_b32_e32 v14, 2, v14
	v_lshlrev_b32_e32 v18, 2, v18
	;; [unrolled: 1-line block ×13, first 2 shown]
	s_waitcnt vmcnt(15)
	v_subrev_u32_e32 v1, s17, v1
	s_waitcnt vmcnt(14)
	v_subrev_u32_e32 v10, s17, v10
	ds_write_b32 v13, v1 offset:1152
	ds_write_b32 v12, v10 offset:1152
	s_waitcnt vmcnt(12)
	v_subrev_u32_e32 v10, s17, v19
	s_waitcnt vmcnt(11)
	v_subrev_u32_e32 v12, s17, v21
	;; [unrolled: 2-line block ×8, first 2 shown]
	v_subrev_u32_e32 v1, s17, v17
	v_subrev_u32_e32 v17, s17, v25
	;; [unrolled: 1-line block ×3, first 2 shown]
	s_waitcnt vmcnt(2)
	v_subrev_u32_e32 v31, s17, v39
	s_waitcnt vmcnt(1)
	v_subrev_u32_e32 v33, s17, v41
	;; [unrolled: 2-line block ×3, first 2 shown]
	ds_write_b32 v15, v10 offset:1152
	ds_write_b32 v14, v1 offset:1152
	;; [unrolled: 1-line block ×14, first 2 shown]
	s_andn2_b64 exec, exec, s[24:25]
	s_cbranch_execnz .LBB8_5
; %bb.6:
	s_or_b64 exec, exec, s[24:25]
.LBB8_7:
	s_or_b64 exec, exec, s[22:23]
	v_and_b32_e32 v1, 7, v5
	v_cmp_ne_u32_e32 vcc, 0, v1
	s_and_saveexec_b64 s[22:23], vcc
	s_cbranch_execz .LBB8_10
; %bb.8:
	v_sub_u32_e32 v1, 0, v1
	s_mov_b64 s[24:25], 0
.LBB8_9:                                ; =>This Inner Loop Header: Depth=1
	v_ashrrev_i32_e32 v13, 31, v3
	v_mov_b32_e32 v12, v3
	v_ashrrev_i32_e32 v15, 31, v2
	v_mov_b32_e32 v14, v2
	v_lshl_add_u64 v[12:13], v[12:13], 2, s[14:15]
	v_lshl_add_u64 v[14:15], v[14:15], 2, s[14:15]
	global_load_dword v5, v[12:13], off
	global_load_dword v9, v[14:15], off
	v_subrev_u32_e32 v12, s31, v2
	v_add_co_u32_e32 v1, vcc, 1, v1
	v_subrev_u32_e32 v10, s31, v3
	v_add_u32_e32 v3, 0x62, v3
	v_add_u32_e32 v2, 0x62, v2
	v_lshlrev_b32_e32 v12, 2, v12
	s_or_b64 s[24:25], vcc, s[24:25]
	v_lshlrev_b32_e32 v10, 2, v10
	s_waitcnt vmcnt(1)
	v_subrev_u32_e32 v5, s17, v5
	s_waitcnt vmcnt(0)
	v_subrev_u32_e32 v9, s17, v9
	ds_write_b32 v12, v9 offset:1152
	ds_write_b32 v10, v5 offset:1152
	s_andn2_b64 exec, exec, s[24:25]
	s_cbranch_execnz .LBB8_9
.LBB8_10:
	s_or_b64 exec, exec, s[22:23]
	v_add_u32_e32 v2, 1, v4
	v_and_b32_e32 v3, 0x1ffffffe, v2
	v_mad_u64_u32 v[0:1], s[22:23], v3, 49, v[0:1]
	v_cmp_ne_u32_e32 vcc, v2, v3
	s_orn2_b64 s[22:23], vcc, exec
.LBB8_11:
	s_or_b64 exec, exec, s[2:3]
	s_and_b64 exec, exec, s[22:23]
	s_cbranch_execz .LBB8_14
; %bb.12:
	v_add_u32_e32 v1, s17, v0
	v_subrev_u32_e32 v1, s26, v1
	v_mov_b32_e32 v2, 0x480
	v_lshl_add_u32 v4, v1, 2, v2
	v_ashrrev_i32_e32 v1, 31, v0
	v_lshl_add_u64 v[2:3], v[0:1], 2, s[14:15]
	s_mov_b64 s[2:3], 0
	s_mov_b64 s[22:23], 0xc4
.LBB8_13:                               ; =>This Inner Loop Header: Depth=1
	global_load_dword v1, v[2:3], off
	v_add_u32_e32 v0, 49, v0
	v_cmp_lt_i32_e32 vcc, s30, v0
	v_lshl_add_u64 v[2:3], v[2:3], 0, s[22:23]
	s_or_b64 s[2:3], vcc, s[2:3]
	s_waitcnt vmcnt(0)
	v_subrev_u32_e32 v1, s17, v1
	ds_write_b32 v4, v1
	v_add_u32_e32 v4, 0xc4, v4
	s_andn2_b64 exec, exec, s[2:3]
	s_cbranch_execnz .LBB8_13
.LBB8_14:
	s_or_b64 exec, exec, s[20:21]
	s_load_dword s33, s[0:1], 0x0
	v_mov_b32_e32 v0, 0x2a0
	v_lshl_add_u32 v10, v7, 5, v0
	v_lshl_add_u32 v9, v6, 2, v10
	v_mov_b32_e32 v12, 0
	s_cmp_ge_i32 s31, s30
	v_mad_u32_u24 v1, v6, 7, v7
	ds_write_b32 v9, v12
	s_waitcnt lgkmcnt(0)
	s_cbranch_scc1 .LBB8_69
; %bb.15:
	s_cmp_lg_u32 s33, 0
	v_lshlrev_b32_e32 v2, 5, v7
	v_lshlrev_b32_e32 v3, 2, v6
	s_cselect_b64 s[2:3], -1, 0
	s_cmp_eq_u32 s33, 0
	v_add_u32_e32 v14, 0x1c0, v2
	v_add_u32_e32 v16, v2, v3
	;; [unrolled: 1-line block ×3, first 2 shown]
	v_mov_b32_e32 v2, 0x1c0
	v_mad_u32_u24 v0, v6, 7, v7
	v_lshl_add_u32 v19, v6, 5, v2
	v_or_b32_e32 v2, v6, v7
	s_cselect_b64 vcc, -1, 0
	v_mul_u32_u24_e32 v13, 7, v6
	v_add_u32_e32 v15, v14, v3
	v_add_u32_e32 v18, v17, v3
	v_cmp_ne_u32_e64 s[0:1], 0, v2
	v_cndmask_b32_e32 v0, v0, v8, vcc
	s_mov_b32 s20, s31
	s_branch .LBB8_18
.LBB8_16:                               ;   in Loop: Header=BB8_18 Depth=1
	s_or_b64 exec, exec, s[24:25]
	v_mov_b32_e32 v5, 1.0
.LBB8_17:                               ;   in Loop: Header=BB8_18 Depth=1
	s_or_b64 exec, exec, s[22:23]
	ds_read_b128 v[20:23], v14
	ds_read_b128 v[24:27], v12 offset:192
	ds_read_b32 v32, v17 offset:24
	ds_read_b64 v[28:29], v12 offset:208
	ds_read_b64 v[30:31], v14 offset:16
	s_add_i32 s20, s20, 1
	s_cmp_ge_i32 s20, s30
	s_waitcnt lgkmcnt(2)
	v_fmac_f32_e32 v32, v24, v20
	v_fmac_f32_e32 v32, v25, v21
	;; [unrolled: 1-line block ×4, first 2 shown]
	s_waitcnt lgkmcnt(0)
	v_fmac_f32_e32 v32, v28, v30
	v_fmac_f32_e32 v32, v29, v31
	v_sub_f32_e32 v4, v4, v32
	v_div_scale_f32 v20, s[22:23], v5, v5, v4
	v_rcp_f32_e32 v21, v20
	v_div_scale_f32 v22, vcc, v4, v5, v4
	s_cselect_b64 s[22:23], -1, 0
	v_fma_f32 v23, -v20, v21, 1.0
	v_fmac_f32_e32 v21, v23, v21
	v_mul_f32_e32 v23, v22, v21
	v_fma_f32 v24, -v20, v23, v22
	v_fmac_f32_e32 v23, v24, v21
	v_fma_f32 v20, -v20, v23, v22
	v_div_fmas_f32 v20, v20, v21, v23
	v_div_fixup_f32 v4, v20, v5, v4
	ds_write_b32 v14, v4 offset:24
	s_waitcnt lgkmcnt(0)
	ds_read_b32 v5, v19 offset:24
	ds_read_b32 v20, v9
	s_waitcnt lgkmcnt(0)
	v_fmac_f32_e32 v20, v4, v5
	ds_write_b32 v9, v20
	s_waitcnt lgkmcnt(0)
	ds_read_b32 v4, v15
	s_waitcnt lgkmcnt(0)
	global_store_dword v[2:3], v4, off
	buffer_wbl2 sc1
	s_waitcnt vmcnt(0)
	buffer_inv sc1
	s_and_b64 vcc, exec, s[22:23]
	s_cbranch_vccnz .LBB8_69
.LBB8_18:                               ; =>This Loop Header: Depth=1
                                        ;     Child Loop BB8_21 Depth 2
                                        ;     Child Loop BB8_32 Depth 2
	;; [unrolled: 1-line block ×3, first 2 shown]
	s_ashr_i32 s21, s20, 31
	s_lshl_b64 s[22:23], s[20:21], 2
	s_add_u32 s22, s14, s22
	s_addc_u32 s23, s15, s23
	s_load_dword s21, s[22:23], 0x0
	s_waitcnt lgkmcnt(0)
	s_sub_i32 s24, s21, s17
	s_ashr_i32 s25, s24, 31
	s_lshl_b64 s[22:23], s[24:25], 2
	s_add_u32 s26, s4, s22
	s_addc_u32 s27, s5, s23
	s_load_dword s25, s[26:27], 0x0
	s_waitcnt lgkmcnt(0)
	s_cmp_eq_u32 s25, -1
	s_cbranch_scc1 .LBB8_68
; %bb.19:                               ;   in Loop: Header=BB8_18 Depth=1
	v_mad_u64_u32 v[2:3], s[26:27], s20, 49, v[0:1]
	v_ashrrev_i32_e32 v3, 31, v2
	v_lshl_add_u64 v[2:3], v[2:3], 2, s[18:19]
	global_load_dword v4, v[2:3], off
	s_add_u32 s26, s12, s22
	s_addc_u32 s27, s13, s23
	s_load_dword s26, s[26:27], 0x0
	ds_read_b32 v5, v12 offset:1152
	s_mov_b32 s27, 0
	s_waitcnt lgkmcnt(0)
	s_sub_i32 s26, s26, s17
	s_cmp_le_i32 s26, s25
	v_cmp_ge_i32_e32 vcc, s24, v5
	s_cselect_b64 s[28:29], -1, 0
	s_and_b64 s[28:29], s[28:29], vcc
	s_andn2_b64 vcc, exec, s[28:29]
	s_waitcnt vmcnt(0)
	ds_write_b32 v15, v4
	s_cbranch_vccnz .LBB8_31
; %bb.20:                               ;   in Loop: Header=BB8_18 Depth=1
	s_mov_b32 s34, 0
	s_mov_b32 s35, 0
.LBB8_21:                               ;   Parent Loop BB8_18 Depth=1
                                        ; =>  This Inner Loop Header: Depth=2
	s_ashr_i32 s27, s26, 31
	s_lshl_b64 s[28:29], s[26:27], 2
	s_add_u32 s28, s14, s28
	s_addc_u32 s29, s15, s29
	s_load_dword s27, s[28:29], 0x0
	s_lshl_b32 s28, s35, 2
	v_mov_b32_e32 v4, s28
	ds_read_b32 v4, v4 offset:1152
	s_mov_b64 s[28:29], -1
	s_waitcnt lgkmcnt(0)
	s_sub_i32 s39, s27, s17
                                        ; implicit-def: $sgpr27
                                        ; implicit-def: $sgpr38
                                        ; implicit-def: $sgpr37
	v_cmp_ge_i32_e32 vcc, s39, v4
	v_readfirstlane_b32 s36, v4
	s_cbranch_vccz .LBB8_27
; %bb.22:                               ;   in Loop: Header=BB8_21 Depth=2
	s_cmp_le_i32 s39, s36
                                        ; implicit-def: $sgpr27
                                        ; implicit-def: $sgpr38
                                        ; implicit-def: $sgpr37
	s_cbranch_scc0 .LBB8_24
; %bb.23:                               ;   in Loop: Header=BB8_21 Depth=2
	s_add_i32 s27, s35, s31
	s_mul_i32 s27, s27, 49
	s_lshl_b32 s28, s34, 2
	v_mov_b32_e32 v4, s28
	v_mov_b32_e32 v5, s27
	s_mul_i32 s27, s26, 49
	v_mov_b32_e32 v20, s27
	v_add_u32_e32 v4, 0x200, v4
	ds_write2_b32 v4, v20, v5 offset0:96 offset1:128
	s_add_i32 s37, s35, 1
	s_add_i32 s38, s26, 1
	s_add_i32 s27, s34, 1
	s_mov_b64 s[28:29], 0
.LBB8_24:                               ;   in Loop: Header=BB8_21 Depth=2
	s_andn2_b64 vcc, exec, s[28:29]
	s_cbranch_vccnz .LBB8_26
; %bb.25:                               ;   in Loop: Header=BB8_21 Depth=2
	s_add_i32 s37, s35, 1
	s_mov_b32 s27, s34
	s_mov_b32 s38, s26
.LBB8_26:                               ;   in Loop: Header=BB8_21 Depth=2
	s_mov_b64 s[28:29], 0
.LBB8_27:                               ;   in Loop: Header=BB8_21 Depth=2
	s_andn2_b64 vcc, exec, s[28:29]
	s_cbranch_vccnz .LBB8_29
; %bb.28:                               ;   in Loop: Header=BB8_21 Depth=2
	s_add_i32 s38, s26, 1
	s_mov_b32 s37, s35
	s_mov_b32 s27, s34
.LBB8_29:                               ;   in Loop: Header=BB8_21 Depth=2
	s_cmp_le_i32 s38, s25
	s_cselect_b64 s[28:29], -1, 0
	s_cmp_le_i32 s36, s24
	s_cselect_b64 s[34:35], -1, 0
	s_and_b64 s[28:29], s[28:29], s[34:35]
	s_and_b64 vcc, exec, s[28:29]
	s_cbranch_vccz .LBB8_31
; %bb.30:                               ;   in Loop: Header=BB8_21 Depth=2
	s_mov_b32 s34, s27
	s_mov_b32 s26, s38
	;; [unrolled: 1-line block ×3, first 2 shown]
	s_branch .LBB8_21
.LBB8_31:                               ;   in Loop: Header=BB8_18 Depth=1
	s_add_u32 s22, s6, s22
	s_addc_u32 s23, s7, s23
	s_waitcnt lgkmcnt(0)
.LBB8_32:                               ;   Parent Loop BB8_18 Depth=1
                                        ; =>  This Inner Loop Header: Depth=2
	global_load_dword v4, v12, s[22:23] sc1
	s_waitcnt vmcnt(0)
	v_cmp_eq_u32_e32 vcc, 0, v4
	s_cbranch_vccnz .LBB8_32
; %bb.33:                               ;   in Loop: Header=BB8_18 Depth=1
	v_mad_u64_u32 v[4:5], s[22:23], s25, 49, v[0:1]
	v_ashrrev_i32_e32 v5, 31, v4
	v_lshl_add_u64 v[4:5], v[4:5], 2, s[18:19]
	buffer_inv sc1
	global_load_dword v4, v[4:5], off
	s_cmp_lt_i32 s27, 2
	v_mov_b32_e32 v21, 0
	s_waitcnt vmcnt(0)
	ds_write_b32 v16, v4
	s_waitcnt lgkmcnt(0)
	s_cbranch_scc1 .LBB8_41
; %bb.34:                               ;   in Loop: Header=BB8_18 Depth=1
	s_add_i32 s24, s27, -1
	v_mov_b32_e32 v20, 0
	s_movk_i32 s25, 0x380
.LBB8_35:                               ;   Parent Loop BB8_18 Depth=1
                                        ; =>  This Inner Loop Header: Depth=2
	s_waitcnt lgkmcnt(0)
	v_mov_b32_e32 v4, s25
	ds_read2_b32 v[4:5], v4 offset1:32
	s_mov_b64 s[22:23], -1
	s_and_b64 vcc, exec, s[2:3]
                                        ; implicit-def: $vgpr21
	s_cbranch_vccz .LBB8_38
; %bb.36:                               ;   in Loop: Header=BB8_35 Depth=2
	s_waitcnt lgkmcnt(0)
	v_add_u32_e32 v22, v4, v6
	v_add_u32_e32 v26, v5, v7
	v_ashrrev_i32_e32 v23, 31, v22
	v_add_u32_e32 v30, 7, v22
	v_add_u32_e32 v32, 7, v26
	;; [unrolled: 1-line block ×6, first 2 shown]
	v_lshl_add_u64 v[24:25], v[22:23], 2, s[18:19]
	v_ashrrev_i32_e32 v27, 31, v26
	v_ashrrev_i32_e32 v31, 31, v30
	;; [unrolled: 1-line block ×7, first 2 shown]
	v_lshl_add_u64 v[28:29], v[26:27], 2, s[18:19]
	v_lshl_add_u64 v[30:31], v[30:31], 2, s[18:19]
	;; [unrolled: 1-line block ×7, first 2 shown]
	global_load_dword v21, v[24:25], off
	global_load_dword v42, v[28:29], off
	;; [unrolled: 1-line block ×8, first 2 shown]
	v_add_u32_e32 v24, 28, v22
	v_ashrrev_i32_e32 v25, 31, v24
	v_add_u32_e32 v28, 28, v26
	v_add_u32_e32 v30, 35, v22
	;; [unrolled: 1-line block ×5, first 2 shown]
	v_lshl_add_u64 v[24:25], v[24:25], 2, s[18:19]
	v_ashrrev_i32_e32 v29, 31, v28
	v_ashrrev_i32_e32 v31, 31, v30
	;; [unrolled: 1-line block ×5, first 2 shown]
	v_lshl_add_u64 v[28:29], v[28:29], 2, s[18:19]
	v_lshl_add_u64 v[30:31], v[30:31], 2, s[18:19]
	;; [unrolled: 1-line block ×5, first 2 shown]
	global_load_dword v34, v[24:25], off
	global_load_dword v35, v[28:29], off
	;; [unrolled: 1-line block ×6, first 2 shown]
	s_waitcnt vmcnt(12)
	v_fma_f32 v21, v21, v42, v20
	s_waitcnt vmcnt(10)
	v_fmac_f32_e32 v21, v43, v44
	s_waitcnt vmcnt(8)
	v_fmac_f32_e32 v21, v45, v46
	;; [unrolled: 2-line block ×6, first 2 shown]
	s_cbranch_execz .LBB8_39
.LBB8_37:                               ;   in Loop: Header=BB8_35 Depth=2
	s_add_i32 s24, s24, -1
	s_add_i32 s25, s25, 4
	s_cmp_eq_u32 s24, 0
	s_cbranch_scc0 .LBB8_40
	s_branch .LBB8_41
.LBB8_38:                               ;   in Loop: Header=BB8_35 Depth=2
	s_andn2_b64 vcc, exec, s[22:23]
	s_cbranch_vccnz .LBB8_37
.LBB8_39:                               ;   in Loop: Header=BB8_35 Depth=2
	s_waitcnt lgkmcnt(0)
	v_add_u32_e32 v22, v4, v13
	v_add_u32_e32 v4, v5, v11
	v_ashrrev_i32_e32 v5, 31, v4
	v_ashrrev_i32_e32 v23, 31, v22
	v_lshl_add_u64 v[4:5], v[4:5], 2, s[18:19]
	v_lshl_add_u64 v[38:39], v[22:23], 2, s[18:19]
	global_load_dwordx4 v[22:25], v[4:5], off
	global_load_dwordx4 v[26:29], v[38:39], off
	global_load_dwordx3 v[30:32], v[38:39], off offset:16
	global_load_dwordx3 v[34:36], v[4:5], off offset:16
	s_waitcnt vmcnt(2)
	v_fmac_f32_e32 v20, v26, v22
	v_fmac_f32_e32 v20, v27, v23
	;; [unrolled: 1-line block ×4, first 2 shown]
	s_waitcnt vmcnt(0)
	v_fmac_f32_e32 v20, v30, v34
	v_fmac_f32_e32 v20, v31, v35
	;; [unrolled: 1-line block ×3, first 2 shown]
	v_mov_b32_e32 v21, v20
	s_add_i32 s24, s24, -1
	s_add_i32 s25, s25, 4
	s_cmp_eq_u32 s24, 0
	s_cbranch_scc1 .LBB8_41
.LBB8_40:                               ;   in Loop: Header=BB8_35 Depth=2
	v_mov_b32_e32 v20, v21
	s_branch .LBB8_35
.LBB8_41:                               ;   in Loop: Header=BB8_18 Depth=1
	ds_write_b32 v18, v21
	s_waitcnt lgkmcnt(0)
	ds_read_b32 v5, v12
	ds_read_b32 v4, v14
	s_waitcnt lgkmcnt(1)
	v_cmp_neq_f32_e32 vcc, 0, v5
	s_nop 1
	v_cndmask_b32_e32 v5, 1.0, v5, vcc
	s_nor_b64 s[24:25], vcc, s[0:1]
	s_and_saveexec_b64 s[22:23], s[24:25]
	s_cbranch_execz .LBB8_45
; %bb.42:                               ;   in Loop: Header=BB8_18 Depth=1
	v_mbcnt_lo_u32_b32 v5, exec_lo, 0
	v_mbcnt_hi_u32_b32 v5, exec_hi, v5
	v_cmp_eq_u32_e32 vcc, 0, v5
	s_and_saveexec_b64 s[24:25], vcc
	s_cbranch_execz .LBB8_44
; %bb.43:                               ;   in Loop: Header=BB8_18 Depth=1
	v_mov_b32_e32 v5, s21
	global_atomic_smin v12, v5, s[10:11]
.LBB8_44:                               ;   in Loop: Header=BB8_18 Depth=1
	s_or_b64 exec, exec, s[24:25]
	v_mov_b32_e32 v5, 1.0
.LBB8_45:                               ;   in Loop: Header=BB8_18 Depth=1
	s_or_b64 exec, exec, s[22:23]
	ds_read_b32 v20, v17
	s_waitcnt lgkmcnt(0)
	v_sub_f32_e32 v4, v4, v20
	v_div_scale_f32 v20, s[22:23], v5, v5, v4
	v_rcp_f32_e32 v21, v20
	v_div_scale_f32 v22, vcc, v4, v5, v4
	v_fma_f32 v23, -v20, v21, 1.0
	v_fmac_f32_e32 v21, v23, v21
	v_mul_f32_e32 v23, v22, v21
	v_fma_f32 v24, -v20, v23, v22
	v_fmac_f32_e32 v23, v24, v21
	v_fma_f32 v20, -v20, v23, v22
	v_div_fmas_f32 v20, v20, v21, v23
	v_div_fixup_f32 v4, v20, v5, v4
	ds_write_b32 v14, v4
	s_waitcnt lgkmcnt(0)
	ds_read_b32 v5, v19
	ds_read_b32 v20, v9
	s_waitcnt lgkmcnt(0)
	v_fmac_f32_e32 v20, v4, v5
	ds_write_b32 v9, v20
	s_waitcnt lgkmcnt(0)
	ds_read_b32 v5, v12 offset:36
	ds_read_b32 v4, v14 offset:4
	s_waitcnt lgkmcnt(1)
	v_cmp_neq_f32_e32 vcc, 0, v5
	s_nop 1
	v_cndmask_b32_e32 v5, 1.0, v5, vcc
	s_nor_b64 s[24:25], vcc, s[0:1]
	s_and_saveexec_b64 s[22:23], s[24:25]
	s_cbranch_execz .LBB8_49
; %bb.46:                               ;   in Loop: Header=BB8_18 Depth=1
	v_mbcnt_lo_u32_b32 v5, exec_lo, 0
	v_mbcnt_hi_u32_b32 v5, exec_hi, v5
	v_cmp_eq_u32_e32 vcc, 0, v5
	s_and_saveexec_b64 s[24:25], vcc
	s_cbranch_execz .LBB8_48
; %bb.47:                               ;   in Loop: Header=BB8_18 Depth=1
	v_mov_b32_e32 v5, s21
	global_atomic_smin v12, v5, s[10:11]
.LBB8_48:                               ;   in Loop: Header=BB8_18 Depth=1
	s_or_b64 exec, exec, s[24:25]
	v_mov_b32_e32 v5, 1.0
.LBB8_49:                               ;   in Loop: Header=BB8_18 Depth=1
	s_or_b64 exec, exec, s[22:23]
	ds_read_b32 v20, v12 offset:32
	ds_read_b32 v21, v14
	ds_read_b32 v22, v17 offset:4
	s_waitcnt lgkmcnt(0)
	v_fmac_f32_e32 v22, v20, v21
	v_sub_f32_e32 v4, v4, v22
	v_div_scale_f32 v20, s[22:23], v5, v5, v4
	v_rcp_f32_e32 v21, v20
	v_div_scale_f32 v22, vcc, v4, v5, v4
	v_fma_f32 v23, -v20, v21, 1.0
	v_fmac_f32_e32 v21, v23, v21
	v_mul_f32_e32 v23, v22, v21
	v_fma_f32 v24, -v20, v23, v22
	v_fmac_f32_e32 v23, v24, v21
	v_fma_f32 v20, -v20, v23, v22
	v_div_fmas_f32 v20, v20, v21, v23
	v_div_fixup_f32 v4, v20, v5, v4
	ds_write_b32 v14, v4 offset:4
	s_waitcnt lgkmcnt(0)
	ds_read_b32 v5, v19 offset:4
	ds_read_b32 v20, v9
	s_waitcnt lgkmcnt(0)
	v_fmac_f32_e32 v20, v4, v5
	ds_write_b32 v9, v20
	s_waitcnt lgkmcnt(0)
	ds_read_b32 v5, v12 offset:72
	ds_read_b32 v4, v14 offset:8
	s_waitcnt lgkmcnt(1)
	v_cmp_neq_f32_e32 vcc, 0, v5
	s_nop 1
	v_cndmask_b32_e32 v5, 1.0, v5, vcc
	s_nor_b64 s[24:25], vcc, s[0:1]
	s_and_saveexec_b64 s[22:23], s[24:25]
	s_cbranch_execz .LBB8_53
; %bb.50:                               ;   in Loop: Header=BB8_18 Depth=1
	v_mbcnt_lo_u32_b32 v5, exec_lo, 0
	v_mbcnt_hi_u32_b32 v5, exec_hi, v5
	v_cmp_eq_u32_e32 vcc, 0, v5
	s_and_saveexec_b64 s[24:25], vcc
	s_cbranch_execz .LBB8_52
; %bb.51:                               ;   in Loop: Header=BB8_18 Depth=1
	v_mov_b32_e32 v5, s21
	global_atomic_smin v12, v5, s[10:11]
.LBB8_52:                               ;   in Loop: Header=BB8_18 Depth=1
	s_or_b64 exec, exec, s[24:25]
	v_mov_b32_e32 v5, 1.0
.LBB8_53:                               ;   in Loop: Header=BB8_18 Depth=1
	s_or_b64 exec, exec, s[22:23]
	ds_read_b64 v[20:21], v12 offset:64
	ds_read_b64 v[22:23], v14
	ds_read_b32 v24, v17 offset:8
	s_waitcnt lgkmcnt(0)
	v_fmac_f32_e32 v24, v20, v22
	v_fmac_f32_e32 v24, v21, v23
	v_sub_f32_e32 v4, v4, v24
	v_div_scale_f32 v20, s[22:23], v5, v5, v4
	v_rcp_f32_e32 v21, v20
	v_div_scale_f32 v22, vcc, v4, v5, v4
	v_fma_f32 v23, -v20, v21, 1.0
	v_fmac_f32_e32 v21, v23, v21
	v_mul_f32_e32 v23, v22, v21
	v_fma_f32 v24, -v20, v23, v22
	v_fmac_f32_e32 v23, v24, v21
	v_fma_f32 v20, -v20, v23, v22
	v_div_fmas_f32 v20, v20, v21, v23
	v_div_fixup_f32 v4, v20, v5, v4
	ds_write_b32 v14, v4 offset:8
	s_waitcnt lgkmcnt(0)
	ds_read_b32 v5, v19 offset:8
	ds_read_b32 v20, v9
	s_waitcnt lgkmcnt(0)
	v_fmac_f32_e32 v20, v4, v5
	ds_write_b32 v9, v20
	s_waitcnt lgkmcnt(0)
	ds_read_b32 v5, v12 offset:108
	ds_read_b32 v4, v14 offset:12
	s_waitcnt lgkmcnt(1)
	v_cmp_neq_f32_e32 vcc, 0, v5
	s_nop 1
	v_cndmask_b32_e32 v5, 1.0, v5, vcc
	s_nor_b64 s[24:25], vcc, s[0:1]
	s_and_saveexec_b64 s[22:23], s[24:25]
	s_cbranch_execz .LBB8_57
; %bb.54:                               ;   in Loop: Header=BB8_18 Depth=1
	v_mbcnt_lo_u32_b32 v5, exec_lo, 0
	v_mbcnt_hi_u32_b32 v5, exec_hi, v5
	v_cmp_eq_u32_e32 vcc, 0, v5
	s_and_saveexec_b64 s[24:25], vcc
	s_cbranch_execz .LBB8_56
; %bb.55:                               ;   in Loop: Header=BB8_18 Depth=1
	v_mov_b32_e32 v5, s21
	global_atomic_smin v12, v5, s[10:11]
.LBB8_56:                               ;   in Loop: Header=BB8_18 Depth=1
	s_or_b64 exec, exec, s[24:25]
	v_mov_b32_e32 v5, 1.0
.LBB8_57:                               ;   in Loop: Header=BB8_18 Depth=1
	s_or_b64 exec, exec, s[22:23]
	ds_read_b96 v[20:22], v12 offset:96
	ds_read_b96 v[24:26], v14
	ds_read_b32 v23, v17 offset:12
	s_waitcnt lgkmcnt(0)
	v_fmac_f32_e32 v23, v20, v24
	v_fmac_f32_e32 v23, v21, v25
	;; [unrolled: 1-line block ×3, first 2 shown]
	v_sub_f32_e32 v4, v4, v23
	v_div_scale_f32 v20, s[22:23], v5, v5, v4
	v_rcp_f32_e32 v21, v20
	v_div_scale_f32 v22, vcc, v4, v5, v4
	v_fma_f32 v23, -v20, v21, 1.0
	v_fmac_f32_e32 v21, v23, v21
	v_mul_f32_e32 v23, v22, v21
	v_fma_f32 v24, -v20, v23, v22
	v_fmac_f32_e32 v23, v24, v21
	v_fma_f32 v20, -v20, v23, v22
	v_div_fmas_f32 v20, v20, v21, v23
	v_div_fixup_f32 v4, v20, v5, v4
	ds_write_b32 v14, v4 offset:12
	s_waitcnt lgkmcnt(0)
	ds_read_b32 v5, v19 offset:12
	ds_read_b32 v20, v9
	s_waitcnt lgkmcnt(0)
	v_fmac_f32_e32 v20, v4, v5
	ds_write_b32 v9, v20
	s_waitcnt lgkmcnt(0)
	ds_read_b32 v5, v12 offset:144
	ds_read_b32 v4, v14 offset:16
	s_waitcnt lgkmcnt(1)
	v_cmp_neq_f32_e32 vcc, 0, v5
	s_nop 1
	v_cndmask_b32_e32 v5, 1.0, v5, vcc
	s_nor_b64 s[24:25], vcc, s[0:1]
	s_and_saveexec_b64 s[22:23], s[24:25]
	s_cbranch_execz .LBB8_61
; %bb.58:                               ;   in Loop: Header=BB8_18 Depth=1
	v_mbcnt_lo_u32_b32 v5, exec_lo, 0
	v_mbcnt_hi_u32_b32 v5, exec_hi, v5
	v_cmp_eq_u32_e32 vcc, 0, v5
	s_and_saveexec_b64 s[24:25], vcc
	s_cbranch_execz .LBB8_60
; %bb.59:                               ;   in Loop: Header=BB8_18 Depth=1
	v_mov_b32_e32 v5, s21
	global_atomic_smin v12, v5, s[10:11]
.LBB8_60:                               ;   in Loop: Header=BB8_18 Depth=1
	s_or_b64 exec, exec, s[24:25]
	v_mov_b32_e32 v5, 1.0
.LBB8_61:                               ;   in Loop: Header=BB8_18 Depth=1
	s_or_b64 exec, exec, s[22:23]
	ds_read_b128 v[20:23], v12 offset:128
	ds_read_b128 v[24:27], v14
	ds_read_b32 v28, v17 offset:16
	s_waitcnt lgkmcnt(0)
	v_fmac_f32_e32 v28, v20, v24
	v_fmac_f32_e32 v28, v21, v25
	;; [unrolled: 1-line block ×4, first 2 shown]
	v_sub_f32_e32 v4, v4, v28
	v_div_scale_f32 v20, s[22:23], v5, v5, v4
	v_rcp_f32_e32 v21, v20
	v_div_scale_f32 v22, vcc, v4, v5, v4
	v_fma_f32 v23, -v20, v21, 1.0
	v_fmac_f32_e32 v21, v23, v21
	v_mul_f32_e32 v23, v22, v21
	v_fma_f32 v24, -v20, v23, v22
	v_fmac_f32_e32 v23, v24, v21
	v_fma_f32 v20, -v20, v23, v22
	v_div_fmas_f32 v20, v20, v21, v23
	v_div_fixup_f32 v4, v20, v5, v4
	ds_write_b32 v14, v4 offset:16
	s_waitcnt lgkmcnt(0)
	ds_read_b32 v5, v19 offset:16
	ds_read_b32 v20, v9
	s_waitcnt lgkmcnt(0)
	v_fmac_f32_e32 v20, v4, v5
	ds_write_b32 v9, v20
	s_waitcnt lgkmcnt(0)
	ds_read_b32 v5, v12 offset:180
	ds_read_b32 v4, v14 offset:20
	s_waitcnt lgkmcnt(1)
	v_cmp_neq_f32_e32 vcc, 0, v5
	s_nop 1
	v_cndmask_b32_e32 v5, 1.0, v5, vcc
	s_nor_b64 s[24:25], vcc, s[0:1]
	s_and_saveexec_b64 s[22:23], s[24:25]
	s_cbranch_execz .LBB8_65
; %bb.62:                               ;   in Loop: Header=BB8_18 Depth=1
	v_mbcnt_lo_u32_b32 v5, exec_lo, 0
	v_mbcnt_hi_u32_b32 v5, exec_hi, v5
	v_cmp_eq_u32_e32 vcc, 0, v5
	s_and_saveexec_b64 s[24:25], vcc
	s_cbranch_execz .LBB8_64
; %bb.63:                               ;   in Loop: Header=BB8_18 Depth=1
	v_mov_b32_e32 v5, s21
	global_atomic_smin v12, v5, s[10:11]
.LBB8_64:                               ;   in Loop: Header=BB8_18 Depth=1
	s_or_b64 exec, exec, s[24:25]
	v_mov_b32_e32 v5, 1.0
.LBB8_65:                               ;   in Loop: Header=BB8_18 Depth=1
	s_or_b64 exec, exec, s[22:23]
	ds_read_b128 v[20:23], v12 offset:160
	ds_read_b128 v[24:27], v14
	ds_read_b32 v28, v17 offset:20
	ds_read_b32 v29, v14 offset:16
	;; [unrolled: 1-line block ×3, first 2 shown]
	s_waitcnt lgkmcnt(2)
	v_fmac_f32_e32 v28, v20, v24
	v_fmac_f32_e32 v28, v21, v25
	;; [unrolled: 1-line block ×4, first 2 shown]
	s_waitcnt lgkmcnt(0)
	v_fmac_f32_e32 v28, v30, v29
	v_sub_f32_e32 v4, v4, v28
	v_div_scale_f32 v20, s[22:23], v5, v5, v4
	v_rcp_f32_e32 v21, v20
	v_div_scale_f32 v22, vcc, v4, v5, v4
	v_fma_f32 v23, -v20, v21, 1.0
	v_fmac_f32_e32 v21, v23, v21
	v_mul_f32_e32 v23, v22, v21
	v_fma_f32 v24, -v20, v23, v22
	v_fmac_f32_e32 v23, v24, v21
	v_fma_f32 v20, -v20, v23, v22
	v_div_fmas_f32 v20, v20, v21, v23
	v_div_fixup_f32 v4, v20, v5, v4
	ds_write_b32 v14, v4 offset:20
	s_waitcnt lgkmcnt(0)
	ds_read_b32 v5, v19 offset:20
	ds_read_b32 v20, v9
	s_waitcnt lgkmcnt(0)
	v_fmac_f32_e32 v20, v4, v5
	ds_write_b32 v9, v20
	s_waitcnt lgkmcnt(0)
	ds_read_b32 v5, v12 offset:216
	ds_read_b32 v4, v14 offset:24
	s_waitcnt lgkmcnt(1)
	v_cmp_neq_f32_e32 vcc, 0, v5
	s_nop 1
	v_cndmask_b32_e32 v5, 1.0, v5, vcc
	s_nor_b64 s[24:25], vcc, s[0:1]
	s_and_saveexec_b64 s[22:23], s[24:25]
	s_cbranch_execz .LBB8_17
; %bb.66:                               ;   in Loop: Header=BB8_18 Depth=1
	v_mbcnt_lo_u32_b32 v5, exec_lo, 0
	v_mbcnt_hi_u32_b32 v5, exec_hi, v5
	v_cmp_eq_u32_e32 vcc, 0, v5
	s_and_saveexec_b64 s[24:25], vcc
	s_cbranch_execz .LBB8_16
; %bb.67:                               ;   in Loop: Header=BB8_18 Depth=1
	v_mov_b32_e32 v5, s21
	global_atomic_smin v12, v5, s[10:11]
	s_branch .LBB8_16
.LBB8_68:                               ;   in Loop: Header=BB8_18 Depth=1
                                        ; implicit-def: $sgpr20
	s_cbranch_execz .LBB8_18
.LBB8_69:
	s_cmp_lg_u32 s33, 0
	s_cselect_b64 s[4:5], -1, 0
	s_cmp_eq_u32 s33, 0
	v_mov_b32_e32 v0, v8
	s_cbranch_scc1 .LBB8_71
; %bb.70:
	v_mad_u32_u24 v0, v6, 7, v7
.LBB8_71:
	s_mul_i32 s30, s30, 49
	v_add_u32_e32 v2, s30, v0
	v_ashrrev_i32_e32 v3, 31, v2
	v_lshl_add_u64 v[2:3], v[2:3], 2, s[18:19]
	global_load_dword v3, v[2:3], off
	v_mov_b32_e32 v0, 0x1c0
	v_lshl_add_u32 v2, v7, 5, v0
	v_cmp_ne_u32_e32 vcc, 0, v7
	v_lshl_add_u32 v0, v6, 2, v2
	v_cmp_eq_u32_e64 s[0:1], 0, v7
	s_waitcnt vmcnt(0)
	ds_write_b32 v0, v3
	s_waitcnt lgkmcnt(0)
	s_and_saveexec_b64 s[12:13], s[0:1]
	s_cbranch_execz .LBB8_73
; %bb.72:
	v_mov_b32_e32 v3, 0
	ds_read2_b32 v[4:5], v3 offset0:112 offset1:168
	s_mov_b32 s2, 0xf800000
	s_waitcnt lgkmcnt(0)
	v_sub_f32_e32 v4, v4, v5
	v_cmp_gt_f32_e64 s[0:1], 0, v4
	s_nop 1
	v_cndmask_b32_e64 v4, v4, -v4, s[0:1]
	v_mul_f32_e32 v5, 0x4f800000, v4
	v_cmp_gt_f32_e64 s[0:1], s2, v4
	s_nop 1
	v_cndmask_b32_e64 v4, v4, v5, s[0:1]
	v_sqrt_f32_e32 v5, v4
	s_nop 0
	v_add_u32_e32 v11, -1, v5
	v_add_u32_e32 v12, 1, v5
	v_fma_f32 v13, -v11, v5, v4
	v_fma_f32 v14, -v12, v5, v4
	v_cmp_ge_f32_e64 s[2:3], 0, v13
	s_nop 1
	v_cndmask_b32_e64 v5, v5, v11, s[2:3]
	v_cmp_lt_f32_e64 s[2:3], 0, v14
	s_nop 1
	v_cndmask_b32_e64 v5, v5, v12, s[2:3]
	v_mul_f32_e32 v11, 0x37800000, v5
	v_cndmask_b32_e64 v5, v5, v11, s[0:1]
	v_mov_b32_e32 v11, 0x260
	v_cmp_class_f32_e64 s[0:1], v4, v11
	s_nop 1
	v_cndmask_b32_e64 v4, v5, v4, s[0:1]
	ds_write_b32 v3, v4 offset:448
.LBB8_73:
	s_or_b64 exec, exec, s[12:13]
	v_mov_b32_e32 v3, 0
	s_waitcnt lgkmcnt(0)
	ds_read_b32 v4, v3 offset:448
	v_or_b32_e32 v3, v6, v7
	v_cmp_ne_u32_e64 s[0:1], 0, v3
	s_add_i32 s20, s16, s17
	s_waitcnt lgkmcnt(0)
	v_cmp_neq_f32_e64 s[2:3], 0, v4
	s_nop 1
	v_cndmask_b32_e64 v5, 1.0, v4, s[2:3]
	s_nor_b64 s[2:3], s[2:3], s[0:1]
	s_and_saveexec_b64 s[12:13], s[2:3]
	s_cbranch_execz .LBB8_77
; %bb.74:
	v_mbcnt_lo_u32_b32 v4, exec_lo, 0
	v_mbcnt_hi_u32_b32 v4, exec_hi, v4
	v_cmp_eq_u32_e64 s[2:3], 0, v4
	s_and_saveexec_b64 s[14:15], s[2:3]
	s_cbranch_execz .LBB8_76
; %bb.75:
	v_mov_b32_e32 v4, 0
	v_mov_b32_e32 v5, s20
	global_atomic_smin v4, v5, s[10:11]
.LBB8_76:
	s_or_b64 exec, exec, s[14:15]
	v_mov_b32_e32 v5, 1.0
.LBB8_77:
	s_or_b64 exec, exec, s[12:13]
	v_mov_b32_e32 v4, 0x1c0
	v_lshl_add_u32 v4, v6, 5, v4
	s_and_saveexec_b64 s[2:3], vcc
	s_cbranch_execz .LBB8_79
; %bb.78:
	ds_read_b32 v11, v2
	ds_read_b32 v12, v10
	s_waitcnt lgkmcnt(0)
	v_sub_f32_e32 v11, v11, v12
	v_div_scale_f32 v12, s[12:13], v5, v5, v11
	v_rcp_f32_e32 v13, v12
	v_div_scale_f32 v14, vcc, v11, v5, v11
	v_fma_f32 v15, -v12, v13, 1.0
	v_fmac_f32_e32 v13, v15, v13
	v_mul_f32_e32 v15, v14, v13
	v_fma_f32 v16, -v12, v15, v14
	v_fmac_f32_e32 v15, v16, v13
	v_fma_f32 v12, -v12, v15, v14
	v_div_fmas_f32 v12, v12, v13, v15
	v_div_fixup_f32 v5, v12, v5, v11
	ds_write_b32 v2, v5
	s_waitcnt lgkmcnt(0)
	ds_read_b32 v11, v4
	ds_read_b32 v12, v9
	s_waitcnt lgkmcnt(0)
	v_fmac_f32_e32 v12, v5, v11
	ds_write_b32 v9, v12
.LBB8_79:
	s_or_b64 exec, exec, s[2:3]
	v_cmp_eq_u32_e32 vcc, 1, v7
	s_waitcnt lgkmcnt(0)
	s_and_saveexec_b64 s[12:13], vcc
	s_cbranch_execz .LBB8_81
; %bb.80:
	v_mov_b32_e32 v5, 0
	ds_read2_b32 v[12:13], v5 offset0:121 offset1:177
	s_mov_b32 s2, 0xf800000
	s_waitcnt lgkmcnt(0)
	v_sub_f32_e32 v11, v12, v13
	v_cmp_gt_f32_e32 vcc, 0, v11
	s_nop 1
	v_cndmask_b32_e64 v11, v11, -v11, vcc
	v_mul_f32_e32 v12, 0x4f800000, v11
	v_cmp_gt_f32_e32 vcc, s2, v11
	s_nop 1
	v_cndmask_b32_e32 v11, v11, v12, vcc
	v_sqrt_f32_e32 v12, v11
	s_nop 0
	v_add_u32_e32 v13, -1, v12
	v_add_u32_e32 v14, 1, v12
	v_fma_f32 v15, -v13, v12, v11
	v_fma_f32 v16, -v14, v12, v11
	v_cmp_ge_f32_e64 s[2:3], 0, v15
	s_nop 1
	v_cndmask_b32_e64 v12, v12, v13, s[2:3]
	v_cmp_lt_f32_e64 s[2:3], 0, v16
	s_nop 1
	v_cndmask_b32_e64 v12, v12, v14, s[2:3]
	v_mul_f32_e32 v13, 0x37800000, v12
	v_cndmask_b32_e32 v12, v12, v13, vcc
	v_mov_b32_e32 v13, 0x260
	v_cmp_class_f32_e32 vcc, v11, v13
	s_nop 1
	v_cndmask_b32_e32 v11, v12, v11, vcc
	ds_write_b32 v5, v11 offset:484
.LBB8_81:
	s_or_b64 exec, exec, s[12:13]
	v_mov_b32_e32 v5, 0
	s_waitcnt lgkmcnt(0)
	ds_read_b32 v5, v5 offset:484
	s_waitcnt lgkmcnt(0)
	v_cmp_neq_f32_e32 vcc, 0, v5
	s_nop 1
	v_cndmask_b32_e32 v5, 1.0, v5, vcc
	s_nor_b64 s[12:13], vcc, s[0:1]
	s_and_saveexec_b64 s[2:3], s[12:13]
	s_cbranch_execz .LBB8_85
; %bb.82:
	v_mbcnt_lo_u32_b32 v5, exec_lo, 0
	v_mbcnt_hi_u32_b32 v5, exec_hi, v5
	v_cmp_eq_u32_e32 vcc, 0, v5
	s_and_saveexec_b64 s[12:13], vcc
	s_cbranch_execz .LBB8_84
; %bb.83:
	v_mov_b32_e32 v5, 0
	v_mov_b32_e32 v11, s20
	global_atomic_smin v5, v11, s[10:11]
.LBB8_84:
	s_or_b64 exec, exec, s[12:13]
	v_mov_b32_e32 v5, 1.0
.LBB8_85:
	s_or_b64 exec, exec, s[2:3]
	v_cmp_lt_u32_e32 vcc, 1, v7
	s_and_saveexec_b64 s[2:3], vcc
	s_cbranch_execz .LBB8_87
; %bb.86:
	ds_read_b32 v11, v2 offset:4
	ds_read_b32 v12, v10 offset:4
	s_waitcnt lgkmcnt(0)
	v_sub_f32_e32 v11, v11, v12
	v_div_scale_f32 v12, s[12:13], v5, v5, v11
	v_rcp_f32_e32 v13, v12
	v_div_scale_f32 v14, vcc, v11, v5, v11
	v_fma_f32 v15, -v12, v13, 1.0
	v_fmac_f32_e32 v13, v15, v13
	v_mul_f32_e32 v15, v14, v13
	v_fma_f32 v16, -v12, v15, v14
	v_fmac_f32_e32 v15, v16, v13
	v_fma_f32 v12, -v12, v15, v14
	v_div_fmas_f32 v12, v12, v13, v15
	v_div_fixup_f32 v5, v12, v5, v11
	ds_write_b32 v2, v5 offset:4
	s_waitcnt lgkmcnt(0)
	ds_read_b32 v11, v4 offset:4
	ds_read_b32 v12, v9
	s_waitcnt lgkmcnt(0)
	v_fmac_f32_e32 v12, v5, v11
	ds_write_b32 v9, v12
.LBB8_87:
	s_or_b64 exec, exec, s[2:3]
	v_cmp_eq_u32_e32 vcc, 2, v7
	s_waitcnt lgkmcnt(0)
	s_and_saveexec_b64 s[12:13], vcc
	s_cbranch_execz .LBB8_89
; %bb.88:
	v_mov_b32_e32 v5, 0
	ds_read2_b32 v[12:13], v5 offset0:130 offset1:186
	s_mov_b32 s2, 0xf800000
	s_waitcnt lgkmcnt(0)
	v_sub_f32_e32 v11, v12, v13
	v_cmp_gt_f32_e32 vcc, 0, v11
	s_nop 1
	v_cndmask_b32_e64 v11, v11, -v11, vcc
	v_mul_f32_e32 v12, 0x4f800000, v11
	v_cmp_gt_f32_e32 vcc, s2, v11
	s_nop 1
	v_cndmask_b32_e32 v11, v11, v12, vcc
	v_sqrt_f32_e32 v12, v11
	s_nop 0
	v_add_u32_e32 v13, -1, v12
	v_add_u32_e32 v14, 1, v12
	v_fma_f32 v15, -v13, v12, v11
	v_fma_f32 v16, -v14, v12, v11
	v_cmp_ge_f32_e64 s[2:3], 0, v15
	s_nop 1
	v_cndmask_b32_e64 v12, v12, v13, s[2:3]
	v_cmp_lt_f32_e64 s[2:3], 0, v16
	s_nop 1
	v_cndmask_b32_e64 v12, v12, v14, s[2:3]
	v_mul_f32_e32 v13, 0x37800000, v12
	v_cndmask_b32_e32 v12, v12, v13, vcc
	v_mov_b32_e32 v13, 0x260
	v_cmp_class_f32_e32 vcc, v11, v13
	s_nop 1
	v_cndmask_b32_e32 v11, v12, v11, vcc
	ds_write_b32 v5, v11 offset:520
.LBB8_89:
	s_or_b64 exec, exec, s[12:13]
	v_mov_b32_e32 v5, 0
	s_waitcnt lgkmcnt(0)
	ds_read_b32 v5, v5 offset:520
	s_waitcnt lgkmcnt(0)
	v_cmp_neq_f32_e32 vcc, 0, v5
	s_nop 1
	v_cndmask_b32_e32 v5, 1.0, v5, vcc
	s_nor_b64 s[12:13], vcc, s[0:1]
	s_and_saveexec_b64 s[2:3], s[12:13]
	s_cbranch_execz .LBB8_93
; %bb.90:
	v_mbcnt_lo_u32_b32 v5, exec_lo, 0
	v_mbcnt_hi_u32_b32 v5, exec_hi, v5
	v_cmp_eq_u32_e32 vcc, 0, v5
	s_and_saveexec_b64 s[12:13], vcc
	s_cbranch_execz .LBB8_92
; %bb.91:
	v_mov_b32_e32 v5, 0
	v_mov_b32_e32 v11, s20
	global_atomic_smin v5, v11, s[10:11]
.LBB8_92:
	s_or_b64 exec, exec, s[12:13]
	v_mov_b32_e32 v5, 1.0
.LBB8_93:
	s_or_b64 exec, exec, s[2:3]
	v_cmp_lt_u32_e32 vcc, 2, v7
	s_and_saveexec_b64 s[2:3], vcc
	s_cbranch_execz .LBB8_95
; %bb.94:
	ds_read_b32 v11, v2 offset:8
	ds_read_b32 v12, v10 offset:8
	s_waitcnt lgkmcnt(0)
	v_sub_f32_e32 v11, v11, v12
	v_div_scale_f32 v12, s[12:13], v5, v5, v11
	v_rcp_f32_e32 v13, v12
	v_div_scale_f32 v14, vcc, v11, v5, v11
	v_fma_f32 v15, -v12, v13, 1.0
	v_fmac_f32_e32 v13, v15, v13
	v_mul_f32_e32 v15, v14, v13
	v_fma_f32 v16, -v12, v15, v14
	v_fmac_f32_e32 v15, v16, v13
	v_fma_f32 v12, -v12, v15, v14
	v_div_fmas_f32 v12, v12, v13, v15
	v_div_fixup_f32 v5, v12, v5, v11
	ds_write_b32 v2, v5 offset:8
	s_waitcnt lgkmcnt(0)
	ds_read_b32 v11, v4 offset:8
	ds_read_b32 v12, v9
	s_waitcnt lgkmcnt(0)
	v_fmac_f32_e32 v12, v5, v11
	ds_write_b32 v9, v12
.LBB8_95:
	s_or_b64 exec, exec, s[2:3]
	v_cmp_eq_u32_e32 vcc, 3, v7
	s_waitcnt lgkmcnt(0)
	s_and_saveexec_b64 s[12:13], vcc
	s_cbranch_execz .LBB8_97
; %bb.96:
	v_mov_b32_e32 v5, 0
	ds_read2_b32 v[12:13], v5 offset0:139 offset1:195
	s_mov_b32 s2, 0xf800000
	s_waitcnt lgkmcnt(0)
	v_sub_f32_e32 v11, v12, v13
	v_cmp_gt_f32_e32 vcc, 0, v11
	s_nop 1
	v_cndmask_b32_e64 v11, v11, -v11, vcc
	v_mul_f32_e32 v12, 0x4f800000, v11
	v_cmp_gt_f32_e32 vcc, s2, v11
	s_nop 1
	v_cndmask_b32_e32 v11, v11, v12, vcc
	v_sqrt_f32_e32 v12, v11
	s_nop 0
	v_add_u32_e32 v13, -1, v12
	v_add_u32_e32 v14, 1, v12
	v_fma_f32 v15, -v13, v12, v11
	v_fma_f32 v16, -v14, v12, v11
	v_cmp_ge_f32_e64 s[2:3], 0, v15
	s_nop 1
	v_cndmask_b32_e64 v12, v12, v13, s[2:3]
	v_cmp_lt_f32_e64 s[2:3], 0, v16
	s_nop 1
	v_cndmask_b32_e64 v12, v12, v14, s[2:3]
	v_mul_f32_e32 v13, 0x37800000, v12
	v_cndmask_b32_e32 v12, v12, v13, vcc
	v_mov_b32_e32 v13, 0x260
	v_cmp_class_f32_e32 vcc, v11, v13
	s_nop 1
	v_cndmask_b32_e32 v11, v12, v11, vcc
	ds_write_b32 v5, v11 offset:556
.LBB8_97:
	s_or_b64 exec, exec, s[12:13]
	v_mov_b32_e32 v5, 0
	s_waitcnt lgkmcnt(0)
	ds_read_b32 v5, v5 offset:556
	s_waitcnt lgkmcnt(0)
	v_cmp_neq_f32_e32 vcc, 0, v5
	s_nop 1
	v_cndmask_b32_e32 v5, 1.0, v5, vcc
	s_nor_b64 s[12:13], vcc, s[0:1]
	s_and_saveexec_b64 s[2:3], s[12:13]
	s_cbranch_execz .LBB8_101
; %bb.98:
	v_mbcnt_lo_u32_b32 v5, exec_lo, 0
	v_mbcnt_hi_u32_b32 v5, exec_hi, v5
	v_cmp_eq_u32_e32 vcc, 0, v5
	s_and_saveexec_b64 s[12:13], vcc
	s_cbranch_execz .LBB8_100
; %bb.99:
	v_mov_b32_e32 v5, 0
	v_mov_b32_e32 v11, s20
	global_atomic_smin v5, v11, s[10:11]
.LBB8_100:
	s_or_b64 exec, exec, s[12:13]
	v_mov_b32_e32 v5, 1.0
.LBB8_101:
	s_or_b64 exec, exec, s[2:3]
	v_cmp_lt_u32_e32 vcc, 3, v7
	s_and_saveexec_b64 s[2:3], vcc
	s_cbranch_execz .LBB8_103
; %bb.102:
	ds_read_b32 v11, v2 offset:12
	ds_read_b32 v12, v10 offset:12
	s_waitcnt lgkmcnt(0)
	v_sub_f32_e32 v11, v11, v12
	v_div_scale_f32 v12, s[12:13], v5, v5, v11
	v_rcp_f32_e32 v13, v12
	v_div_scale_f32 v14, vcc, v11, v5, v11
	v_fma_f32 v15, -v12, v13, 1.0
	v_fmac_f32_e32 v13, v15, v13
	v_mul_f32_e32 v15, v14, v13
	v_fma_f32 v16, -v12, v15, v14
	v_fmac_f32_e32 v15, v16, v13
	v_fma_f32 v12, -v12, v15, v14
	v_div_fmas_f32 v12, v12, v13, v15
	v_div_fixup_f32 v5, v12, v5, v11
	ds_write_b32 v2, v5 offset:12
	s_waitcnt lgkmcnt(0)
	ds_read_b32 v11, v4 offset:12
	ds_read_b32 v12, v9
	s_waitcnt lgkmcnt(0)
	v_fmac_f32_e32 v12, v5, v11
	ds_write_b32 v9, v12
.LBB8_103:
	s_or_b64 exec, exec, s[2:3]
	v_cmp_eq_u32_e32 vcc, 4, v7
	s_waitcnt lgkmcnt(0)
	s_and_saveexec_b64 s[12:13], vcc
	s_cbranch_execz .LBB8_105
; %bb.104:
	v_mov_b32_e32 v5, 0
	ds_read2_b32 v[12:13], v5 offset0:148 offset1:204
	s_mov_b32 s2, 0xf800000
	s_waitcnt lgkmcnt(0)
	v_sub_f32_e32 v11, v12, v13
	v_cmp_gt_f32_e32 vcc, 0, v11
	s_nop 1
	v_cndmask_b32_e64 v11, v11, -v11, vcc
	v_mul_f32_e32 v12, 0x4f800000, v11
	v_cmp_gt_f32_e32 vcc, s2, v11
	s_nop 1
	v_cndmask_b32_e32 v11, v11, v12, vcc
	v_sqrt_f32_e32 v12, v11
	s_nop 0
	v_add_u32_e32 v13, -1, v12
	v_add_u32_e32 v14, 1, v12
	v_fma_f32 v15, -v13, v12, v11
	v_fma_f32 v16, -v14, v12, v11
	v_cmp_ge_f32_e64 s[2:3], 0, v15
	s_nop 1
	v_cndmask_b32_e64 v12, v12, v13, s[2:3]
	v_cmp_lt_f32_e64 s[2:3], 0, v16
	s_nop 1
	v_cndmask_b32_e64 v12, v12, v14, s[2:3]
	v_mul_f32_e32 v13, 0x37800000, v12
	v_cndmask_b32_e32 v12, v12, v13, vcc
	v_mov_b32_e32 v13, 0x260
	v_cmp_class_f32_e32 vcc, v11, v13
	s_nop 1
	v_cndmask_b32_e32 v11, v12, v11, vcc
	ds_write_b32 v5, v11 offset:592
.LBB8_105:
	s_or_b64 exec, exec, s[12:13]
	v_mov_b32_e32 v5, 0
	s_waitcnt lgkmcnt(0)
	ds_read_b32 v5, v5 offset:592
	s_waitcnt lgkmcnt(0)
	v_cmp_neq_f32_e32 vcc, 0, v5
	s_nop 1
	v_cndmask_b32_e32 v5, 1.0, v5, vcc
	s_nor_b64 s[12:13], vcc, s[0:1]
	s_and_saveexec_b64 s[2:3], s[12:13]
	s_cbranch_execz .LBB8_109
; %bb.106:
	v_mbcnt_lo_u32_b32 v5, exec_lo, 0
	v_mbcnt_hi_u32_b32 v5, exec_hi, v5
	v_cmp_eq_u32_e32 vcc, 0, v5
	s_and_saveexec_b64 s[12:13], vcc
	s_cbranch_execz .LBB8_108
; %bb.107:
	v_mov_b32_e32 v5, 0
	v_mov_b32_e32 v11, s20
	global_atomic_smin v5, v11, s[10:11]
.LBB8_108:
	s_or_b64 exec, exec, s[12:13]
	v_mov_b32_e32 v5, 1.0
.LBB8_109:
	s_or_b64 exec, exec, s[2:3]
	v_cmp_lt_u32_e32 vcc, 4, v7
	s_and_saveexec_b64 s[2:3], vcc
	s_cbranch_execz .LBB8_111
; %bb.110:
	ds_read_b32 v11, v2 offset:16
	ds_read_b32 v12, v10 offset:16
	s_waitcnt lgkmcnt(0)
	v_sub_f32_e32 v11, v11, v12
	v_div_scale_f32 v12, s[12:13], v5, v5, v11
	v_rcp_f32_e32 v13, v12
	v_div_scale_f32 v14, vcc, v11, v5, v11
	v_fma_f32 v15, -v12, v13, 1.0
	v_fmac_f32_e32 v13, v15, v13
	v_mul_f32_e32 v15, v14, v13
	v_fma_f32 v16, -v12, v15, v14
	v_fmac_f32_e32 v15, v16, v13
	v_fma_f32 v12, -v12, v15, v14
	v_div_fmas_f32 v12, v12, v13, v15
	v_div_fixup_f32 v5, v12, v5, v11
	ds_write_b32 v2, v5 offset:16
	s_waitcnt lgkmcnt(0)
	ds_read_b32 v11, v4 offset:16
	ds_read_b32 v12, v9
	s_waitcnt lgkmcnt(0)
	v_fmac_f32_e32 v12, v5, v11
	ds_write_b32 v9, v12
.LBB8_111:
	s_or_b64 exec, exec, s[2:3]
	v_cmp_eq_u32_e32 vcc, 5, v7
	s_waitcnt lgkmcnt(0)
	s_and_saveexec_b64 s[12:13], vcc
	s_cbranch_execz .LBB8_113
; %bb.112:
	v_mov_b32_e32 v5, 0
	ds_read2_b32 v[12:13], v5 offset0:157 offset1:213
	s_mov_b32 s2, 0xf800000
	s_waitcnt lgkmcnt(0)
	v_sub_f32_e32 v11, v12, v13
	v_cmp_gt_f32_e32 vcc, 0, v11
	s_nop 1
	v_cndmask_b32_e64 v11, v11, -v11, vcc
	v_mul_f32_e32 v12, 0x4f800000, v11
	v_cmp_gt_f32_e32 vcc, s2, v11
	s_nop 1
	v_cndmask_b32_e32 v11, v11, v12, vcc
	v_sqrt_f32_e32 v12, v11
	s_nop 0
	v_add_u32_e32 v13, -1, v12
	v_add_u32_e32 v14, 1, v12
	v_fma_f32 v15, -v13, v12, v11
	v_fma_f32 v16, -v14, v12, v11
	v_cmp_ge_f32_e64 s[2:3], 0, v15
	s_nop 1
	v_cndmask_b32_e64 v12, v12, v13, s[2:3]
	v_cmp_lt_f32_e64 s[2:3], 0, v16
	s_nop 1
	v_cndmask_b32_e64 v12, v12, v14, s[2:3]
	v_mul_f32_e32 v13, 0x37800000, v12
	v_cndmask_b32_e32 v12, v12, v13, vcc
	v_mov_b32_e32 v13, 0x260
	v_cmp_class_f32_e32 vcc, v11, v13
	s_nop 1
	v_cndmask_b32_e32 v11, v12, v11, vcc
	ds_write_b32 v5, v11 offset:628
.LBB8_113:
	s_or_b64 exec, exec, s[12:13]
	v_mov_b32_e32 v5, 0
	s_waitcnt lgkmcnt(0)
	ds_read_b32 v5, v5 offset:628
	s_waitcnt lgkmcnt(0)
	v_cmp_neq_f32_e32 vcc, 0, v5
	s_nop 1
	v_cndmask_b32_e32 v5, 1.0, v5, vcc
	s_nor_b64 s[12:13], vcc, s[0:1]
	s_and_saveexec_b64 s[2:3], s[12:13]
	s_cbranch_execz .LBB8_117
; %bb.114:
	v_mbcnt_lo_u32_b32 v5, exec_lo, 0
	v_mbcnt_hi_u32_b32 v5, exec_hi, v5
	v_cmp_eq_u32_e32 vcc, 0, v5
	s_and_saveexec_b64 s[12:13], vcc
	s_cbranch_execz .LBB8_116
; %bb.115:
	v_mov_b32_e32 v5, 0
	v_mov_b32_e32 v11, s20
	global_atomic_smin v5, v11, s[10:11]
.LBB8_116:
	s_or_b64 exec, exec, s[12:13]
	v_mov_b32_e32 v5, 1.0
.LBB8_117:
	s_or_b64 exec, exec, s[2:3]
	v_cmp_lt_u32_e32 vcc, 5, v7
	s_and_saveexec_b64 s[2:3], vcc
	s_cbranch_execz .LBB8_119
; %bb.118:
	ds_read_b32 v11, v2 offset:20
	ds_read_b32 v12, v10 offset:20
	s_waitcnt lgkmcnt(0)
	v_sub_f32_e32 v11, v11, v12
	v_div_scale_f32 v12, s[12:13], v5, v5, v11
	v_rcp_f32_e32 v13, v12
	v_div_scale_f32 v14, vcc, v11, v5, v11
	v_fma_f32 v15, -v12, v13, 1.0
	v_fmac_f32_e32 v13, v15, v13
	v_mul_f32_e32 v15, v14, v13
	v_fma_f32 v16, -v12, v15, v14
	v_fmac_f32_e32 v15, v16, v13
	v_fma_f32 v12, -v12, v15, v14
	v_div_fmas_f32 v12, v12, v13, v15
	v_div_fixup_f32 v5, v12, v5, v11
	ds_write_b32 v2, v5 offset:20
	s_waitcnt lgkmcnt(0)
	ds_read_b32 v11, v4 offset:20
	ds_read_b32 v12, v9
	s_waitcnt lgkmcnt(0)
	v_fmac_f32_e32 v12, v5, v11
	ds_write_b32 v9, v12
.LBB8_119:
	s_or_b64 exec, exec, s[2:3]
	v_cmp_eq_u32_e32 vcc, 6, v7
	s_waitcnt lgkmcnt(0)
	s_and_saveexec_b64 s[12:13], vcc
	s_cbranch_execz .LBB8_121
; %bb.120:
	v_mov_b32_e32 v5, 0
	ds_read2_b32 v[12:13], v5 offset0:166 offset1:222
	s_mov_b32 s2, 0xf800000
	s_waitcnt lgkmcnt(0)
	v_sub_f32_e32 v11, v12, v13
	v_cmp_gt_f32_e32 vcc, 0, v11
	s_nop 1
	v_cndmask_b32_e64 v11, v11, -v11, vcc
	v_mul_f32_e32 v12, 0x4f800000, v11
	v_cmp_gt_f32_e32 vcc, s2, v11
	s_nop 1
	v_cndmask_b32_e32 v11, v11, v12, vcc
	v_sqrt_f32_e32 v12, v11
	s_nop 0
	v_add_u32_e32 v13, -1, v12
	v_add_u32_e32 v14, 1, v12
	v_fma_f32 v15, -v13, v12, v11
	v_fma_f32 v16, -v14, v12, v11
	v_cmp_ge_f32_e64 s[2:3], 0, v15
	s_nop 1
	v_cndmask_b32_e64 v12, v12, v13, s[2:3]
	v_cmp_lt_f32_e64 s[2:3], 0, v16
	s_nop 1
	v_cndmask_b32_e64 v12, v12, v14, s[2:3]
	v_mul_f32_e32 v13, 0x37800000, v12
	v_cndmask_b32_e32 v12, v12, v13, vcc
	v_mov_b32_e32 v13, 0x260
	v_cmp_class_f32_e32 vcc, v11, v13
	s_nop 1
	v_cndmask_b32_e32 v11, v12, v11, vcc
	ds_write_b32 v5, v11 offset:664
.LBB8_121:
	s_or_b64 exec, exec, s[12:13]
	v_mov_b32_e32 v5, 0
	s_waitcnt lgkmcnt(0)
	ds_read_b32 v5, v5 offset:664
	s_waitcnt lgkmcnt(0)
	v_cmp_neq_f32_e32 vcc, 0, v5
	s_nop 1
	v_cndmask_b32_e32 v5, 1.0, v5, vcc
	s_nor_b64 s[2:3], vcc, s[0:1]
	s_and_saveexec_b64 s[0:1], s[2:3]
	s_cbranch_execz .LBB8_125
; %bb.122:
	v_mbcnt_lo_u32_b32 v5, exec_lo, 0
	v_mbcnt_hi_u32_b32 v5, exec_hi, v5
	v_cmp_eq_u32_e32 vcc, 0, v5
	s_and_saveexec_b64 s[2:3], vcc
	s_cbranch_execz .LBB8_124
; %bb.123:
	v_mov_b32_e32 v5, 0
	v_mov_b32_e32 v11, s20
	global_atomic_smin v5, v11, s[10:11]
.LBB8_124:
	s_or_b64 exec, exec, s[2:3]
	v_mov_b32_e32 v5, 1.0
.LBB8_125:
	s_or_b64 exec, exec, s[0:1]
	v_cmp_lt_u32_e32 vcc, 6, v7
	s_and_saveexec_b64 s[0:1], vcc
	s_cbranch_execz .LBB8_127
; %bb.126:
	ds_read_b32 v11, v2 offset:24
	ds_read_b32 v10, v10 offset:24
	s_waitcnt lgkmcnt(0)
	v_sub_f32_e32 v10, v11, v10
	v_div_scale_f32 v11, s[2:3], v5, v5, v10
	v_rcp_f32_e32 v12, v11
	v_div_scale_f32 v13, vcc, v10, v5, v10
	v_fma_f32 v14, -v11, v12, 1.0
	v_fmac_f32_e32 v12, v14, v12
	v_mul_f32_e32 v14, v13, v12
	v_fma_f32 v15, -v11, v14, v13
	v_fmac_f32_e32 v14, v15, v12
	v_fma_f32 v11, -v11, v14, v13
	v_div_fmas_f32 v11, v11, v12, v14
	v_div_fixup_f32 v5, v11, v5, v10
	ds_write_b32 v2, v5 offset:24
	s_waitcnt lgkmcnt(0)
	ds_read_b32 v2, v4 offset:24
	ds_read_b32 v4, v9
	s_waitcnt lgkmcnt(0)
	v_fmac_f32_e32 v4, v5, v2
	ds_write_b32 v9, v4
.LBB8_127:
	s_or_b64 exec, exec, s[0:1]
	s_waitcnt lgkmcnt(0)
	ds_read_b32 v0, v0
	s_andn2_b64 vcc, exec, s[4:5]
	s_cbranch_vccnz .LBB8_129
; %bb.128:
	v_mov_b32_e32 v8, v1
.LBB8_129:
	v_add_u32_e32 v4, s30, v8
	v_ashrrev_i32_e32 v5, 31, v4
	v_lshl_add_u64 v[4:5], v[4:5], 2, s[18:19]
	v_cmp_eq_u32_e32 vcc, 0, v3
	s_waitcnt lgkmcnt(0)
	global_store_dword v[4:5], v0, off
	s_and_saveexec_b64 s[0:1], vcc
	s_cbranch_execz .LBB8_131
; %bb.130:
	s_add_u32 s2, s6, s8
	s_addc_u32 s3, s7, s9
	v_mov_b32_e32 v0, 0
	v_mov_b32_e32 v1, 1
	buffer_wbl2 sc1
	s_waitcnt vmcnt(0)
	global_store_dword v0, v1, s[2:3] sc1
.LBB8_131:
	s_or_b64 exec, exec, s[0:1]
.LBB8_132:
	s_endpgm
.LBB8_133:
	s_cbranch_execz .LBB8_132
; %bb.134:
	v_or_b32_e32 v0, v6, v7
	v_cmp_eq_u32_e32 vcc, 0, v0
	s_and_saveexec_b64 s[0:1], vcc
	s_cbranch_execz .LBB8_132
; %bb.135:
	v_mbcnt_lo_u32_b32 v0, exec_lo, 0
	v_mbcnt_hi_u32_b32 v0, exec_hi, v0
	v_cmp_eq_u32_e32 vcc, 0, v0
	s_and_saveexec_b64 s[0:1], vcc
	s_cbranch_execz .LBB8_137
; %bb.136:
	s_add_i32 s2, s16, s17
	v_mov_b32_e32 v0, 0
	v_mov_b32_e32 v1, s2
	global_atomic_smin v0, v1, s[10:11]
.LBB8_137:
	s_or_b64 exec, exec, s[0:1]
	s_add_u32 s0, s6, s8
	s_addc_u32 s1, s7, s9
	v_mov_b32_e32 v0, 0
	v_mov_b32_e32 v1, 1
	buffer_wbl2 sc1
	s_waitcnt vmcnt(0)
	global_store_dword v0, v1, s[0:1] sc1
	s_endpgm
	.section	.rodata,"a",@progbits
	.p2align	6, 0x0
	.amdhsa_kernel _ZN9rocsparseL26bsric0_2_8_unrolled_kernelILi49ELi32ELi7EfEEv20rocsparse_direction_iiPKiS3_PT2_S3_PiS3_S6_21rocsparse_index_base_
		.amdhsa_group_segment_fixed_size 1280
		.amdhsa_private_segment_fixed_size 0
		.amdhsa_kernarg_size 76
		.amdhsa_user_sgpr_count 2
		.amdhsa_user_sgpr_dispatch_ptr 0
		.amdhsa_user_sgpr_queue_ptr 0
		.amdhsa_user_sgpr_kernarg_segment_ptr 1
		.amdhsa_user_sgpr_dispatch_id 0
		.amdhsa_user_sgpr_kernarg_preload_length 0
		.amdhsa_user_sgpr_kernarg_preload_offset 0
		.amdhsa_user_sgpr_private_segment_size 0
		.amdhsa_uses_dynamic_stack 0
		.amdhsa_enable_private_segment 0
		.amdhsa_system_sgpr_workgroup_id_x 1
		.amdhsa_system_sgpr_workgroup_id_y 0
		.amdhsa_system_sgpr_workgroup_id_z 0
		.amdhsa_system_sgpr_workgroup_info 0
		.amdhsa_system_vgpr_workitem_id 1
		.amdhsa_next_free_vgpr 66
		.amdhsa_next_free_sgpr 40
		.amdhsa_accum_offset 68
		.amdhsa_reserve_vcc 1
		.amdhsa_float_round_mode_32 0
		.amdhsa_float_round_mode_16_64 0
		.amdhsa_float_denorm_mode_32 3
		.amdhsa_float_denorm_mode_16_64 3
		.amdhsa_dx10_clamp 1
		.amdhsa_ieee_mode 1
		.amdhsa_fp16_overflow 0
		.amdhsa_tg_split 0
		.amdhsa_exception_fp_ieee_invalid_op 0
		.amdhsa_exception_fp_denorm_src 0
		.amdhsa_exception_fp_ieee_div_zero 0
		.amdhsa_exception_fp_ieee_overflow 0
		.amdhsa_exception_fp_ieee_underflow 0
		.amdhsa_exception_fp_ieee_inexact 0
		.amdhsa_exception_int_div_zero 0
	.end_amdhsa_kernel
	.section	.text._ZN9rocsparseL26bsric0_2_8_unrolled_kernelILi49ELi32ELi7EfEEv20rocsparse_direction_iiPKiS3_PT2_S3_PiS3_S6_21rocsparse_index_base_,"axG",@progbits,_ZN9rocsparseL26bsric0_2_8_unrolled_kernelILi49ELi32ELi7EfEEv20rocsparse_direction_iiPKiS3_PT2_S3_PiS3_S6_21rocsparse_index_base_,comdat
.Lfunc_end8:
	.size	_ZN9rocsparseL26bsric0_2_8_unrolled_kernelILi49ELi32ELi7EfEEv20rocsparse_direction_iiPKiS3_PT2_S3_PiS3_S6_21rocsparse_index_base_, .Lfunc_end8-_ZN9rocsparseL26bsric0_2_8_unrolled_kernelILi49ELi32ELi7EfEEv20rocsparse_direction_iiPKiS3_PT2_S3_PiS3_S6_21rocsparse_index_base_
                                        ; -- End function
	.set _ZN9rocsparseL26bsric0_2_8_unrolled_kernelILi49ELi32ELi7EfEEv20rocsparse_direction_iiPKiS3_PT2_S3_PiS3_S6_21rocsparse_index_base_.num_vgpr, 66
	.set _ZN9rocsparseL26bsric0_2_8_unrolled_kernelILi49ELi32ELi7EfEEv20rocsparse_direction_iiPKiS3_PT2_S3_PiS3_S6_21rocsparse_index_base_.num_agpr, 0
	.set _ZN9rocsparseL26bsric0_2_8_unrolled_kernelILi49ELi32ELi7EfEEv20rocsparse_direction_iiPKiS3_PT2_S3_PiS3_S6_21rocsparse_index_base_.numbered_sgpr, 40
	.set _ZN9rocsparseL26bsric0_2_8_unrolled_kernelILi49ELi32ELi7EfEEv20rocsparse_direction_iiPKiS3_PT2_S3_PiS3_S6_21rocsparse_index_base_.num_named_barrier, 0
	.set _ZN9rocsparseL26bsric0_2_8_unrolled_kernelILi49ELi32ELi7EfEEv20rocsparse_direction_iiPKiS3_PT2_S3_PiS3_S6_21rocsparse_index_base_.private_seg_size, 0
	.set _ZN9rocsparseL26bsric0_2_8_unrolled_kernelILi49ELi32ELi7EfEEv20rocsparse_direction_iiPKiS3_PT2_S3_PiS3_S6_21rocsparse_index_base_.uses_vcc, 1
	.set _ZN9rocsparseL26bsric0_2_8_unrolled_kernelILi49ELi32ELi7EfEEv20rocsparse_direction_iiPKiS3_PT2_S3_PiS3_S6_21rocsparse_index_base_.uses_flat_scratch, 0
	.set _ZN9rocsparseL26bsric0_2_8_unrolled_kernelILi49ELi32ELi7EfEEv20rocsparse_direction_iiPKiS3_PT2_S3_PiS3_S6_21rocsparse_index_base_.has_dyn_sized_stack, 0
	.set _ZN9rocsparseL26bsric0_2_8_unrolled_kernelILi49ELi32ELi7EfEEv20rocsparse_direction_iiPKiS3_PT2_S3_PiS3_S6_21rocsparse_index_base_.has_recursion, 0
	.set _ZN9rocsparseL26bsric0_2_8_unrolled_kernelILi49ELi32ELi7EfEEv20rocsparse_direction_iiPKiS3_PT2_S3_PiS3_S6_21rocsparse_index_base_.has_indirect_call, 0
	.section	.AMDGPU.csdata,"",@progbits
; Kernel info:
; codeLenInByte = 8212
; TotalNumSgprs: 46
; NumVgprs: 66
; NumAgprs: 0
; TotalNumVgprs: 66
; ScratchSize: 0
; MemoryBound: 0
; FloatMode: 240
; IeeeMode: 1
; LDSByteSize: 1280 bytes/workgroup (compile time only)
; SGPRBlocks: 5
; VGPRBlocks: 8
; NumSGPRsForWavesPerEU: 46
; NumVGPRsForWavesPerEU: 66
; AccumOffset: 68
; Occupancy: 7
; WaveLimiterHint : 1
; COMPUTE_PGM_RSRC2:SCRATCH_EN: 0
; COMPUTE_PGM_RSRC2:USER_SGPR: 2
; COMPUTE_PGM_RSRC2:TRAP_HANDLER: 0
; COMPUTE_PGM_RSRC2:TGID_X_EN: 1
; COMPUTE_PGM_RSRC2:TGID_Y_EN: 0
; COMPUTE_PGM_RSRC2:TGID_Z_EN: 0
; COMPUTE_PGM_RSRC2:TIDIG_COMP_CNT: 1
; COMPUTE_PGM_RSRC3_GFX90A:ACCUM_OFFSET: 16
; COMPUTE_PGM_RSRC3_GFX90A:TG_SPLIT: 0
	.section	.text._ZN9rocsparseL26bsric0_2_8_unrolled_kernelILi64ELi32ELi8EfEEv20rocsparse_direction_iiPKiS3_PT2_S3_PiS3_S6_21rocsparse_index_base_,"axG",@progbits,_ZN9rocsparseL26bsric0_2_8_unrolled_kernelILi64ELi32ELi8EfEEv20rocsparse_direction_iiPKiS3_PT2_S3_PiS3_S6_21rocsparse_index_base_,comdat
	.globl	_ZN9rocsparseL26bsric0_2_8_unrolled_kernelILi64ELi32ELi8EfEEv20rocsparse_direction_iiPKiS3_PT2_S3_PiS3_S6_21rocsparse_index_base_ ; -- Begin function _ZN9rocsparseL26bsric0_2_8_unrolled_kernelILi64ELi32ELi8EfEEv20rocsparse_direction_iiPKiS3_PT2_S3_PiS3_S6_21rocsparse_index_base_
	.p2align	8
	.type	_ZN9rocsparseL26bsric0_2_8_unrolled_kernelILi64ELi32ELi8EfEEv20rocsparse_direction_iiPKiS3_PT2_S3_PiS3_S6_21rocsparse_index_base_,@function
_ZN9rocsparseL26bsric0_2_8_unrolled_kernelILi64ELi32ELi8EfEEv20rocsparse_direction_iiPKiS3_PT2_S3_PiS3_S6_21rocsparse_index_base_: ; @_ZN9rocsparseL26bsric0_2_8_unrolled_kernelILi64ELi32ELi8EfEEv20rocsparse_direction_iiPKiS3_PT2_S3_PiS3_S6_21rocsparse_index_base_
; %bb.0:
	s_load_dwordx8 s[4:11], s[0:1], 0x28
	s_mov_b32 s3, 0
	s_lshl_b64 s[2:3], s[2:3], 2
	v_and_b32_e32 v4, 0x3ff, v0
	v_bfe_u32 v5, v0, 10, 10
	s_waitcnt lgkmcnt(0)
	s_add_u32 s2, s8, s2
	s_addc_u32 s3, s9, s3
	s_load_dword s16, s[2:3], 0x0
	s_waitcnt lgkmcnt(0)
	s_ashr_i32 s17, s16, 31
	s_lshl_b64 s[8:9], s[16:17], 2
	s_add_u32 s2, s4, s8
	s_addc_u32 s3, s5, s9
	s_load_dword s30, s[2:3], 0x0
	s_load_dword s17, s[0:1], 0x48
	s_waitcnt lgkmcnt(0)
	s_cmp_lg_u32 s30, -1
	s_cbranch_scc0 .LBB9_16
; %bb.1:
	s_load_dwordx4 s[12:15], s[0:1], 0x10
	v_lshlrev_b32_e32 v10, 3, v5
	v_add_u32_e32 v9, v10, v4
	s_waitcnt lgkmcnt(0)
	s_add_u32 s2, s12, s8
	s_addc_u32 s3, s13, s9
	s_load_dword s24, s[2:3], 0x0
	s_waitcnt lgkmcnt(0)
	s_sub_i32 s31, s24, s17
	v_add_u32_e32 v0, s31, v9
	v_cmp_ge_i32_e32 vcc, s30, v0
	s_and_saveexec_b64 s[2:3], vcc
	s_cbranch_execz .LBB9_14
; %bb.2:
	v_add_u32_e32 v1, s24, v9
	v_subrev_u32_e32 v1, s17, v1
	v_add_u32_e32 v1, 64, v1
	s_add_i32 s18, s30, 1
	v_max_i32_e32 v1, s18, v1
	v_not_b32_e32 v2, v4
	v_add3_u32 v1, s17, v1, v2
	v_add_u32_e32 v2, s24, v10
	v_sub_u32_e32 v1, v1, v2
	v_cmp_lt_u32_e32 vcc, 63, v1
	s_mov_b64 s[20:21], -1
	s_and_saveexec_b64 s[18:19], vcc
	s_cbranch_execz .LBB9_11
; %bb.3:
	v_lshrrev_b32_e32 v6, 6, v1
	v_add_u32_e32 v2, -1, v6
	v_add_u32_e32 v1, 64, v0
	v_lshrrev_b32_e32 v3, 1, v2
	v_add_u32_e32 v7, 1, v3
	v_cmp_lt_u32_e32 vcc, 13, v2
	v_mov_b64_e32 v[2:3], v[0:1]
	s_and_saveexec_b64 s[20:21], vcc
	s_cbranch_execz .LBB9_7
; %bb.4:
	v_and_b32_e32 v8, -8, v7
	s_mov_b64 s[22:23], 0
	v_mov_b64_e32 v[2:3], v[0:1]
.LBB9_5:                                ; =>This Inner Loop Header: Depth=1
	v_ashrrev_i32_e32 v15, 31, v2
	v_mov_b32_e32 v14, v2
	v_ashrrev_i32_e32 v13, 31, v3
	v_mov_b32_e32 v12, v3
	v_add_u32_e32 v16, 0x80, v2
	v_add_u32_e32 v18, 0x80, v3
	v_lshl_add_u64 v[14:15], v[14:15], 2, s[14:15]
	v_add_u32_e32 v20, 0x100, v2
	v_add_u32_e32 v22, 0x100, v3
	;; [unrolled: 1-line block ×12, first 2 shown]
	v_lshl_add_u64 v[12:13], v[12:13], 2, s[14:15]
	v_ashrrev_i32_e32 v19, 31, v18
	v_ashrrev_i32_e32 v17, 31, v16
	global_load_dword v1, v[14:15], off
	global_load_dword v11, v[12:13], off
	v_ashrrev_i32_e32 v23, 31, v22
	v_ashrrev_i32_e32 v21, 31, v20
	;; [unrolled: 1-line block ×12, first 2 shown]
	v_lshl_add_u64 v[12:13], v[16:17], 2, s[14:15]
	v_lshl_add_u64 v[14:15], v[18:19], 2, s[14:15]
	;; [unrolled: 1-line block ×13, first 2 shown]
	global_load_dword v17, v[14:15], off
	v_lshl_add_u64 v[14:15], v[42:43], 2, s[14:15]
	global_load_dword v19, v[12:13], off
	global_load_dword v21, v[46:47], off
	;; [unrolled: 1-line block ×13, first 2 shown]
	v_subrev_u32_e32 v13, s31, v2
	v_add_u32_e32 v8, -8, v8
	v_subrev_u32_e32 v12, s31, v3
	v_lshlrev_b32_e32 v13, 2, v13
	v_subrev_u32_e32 v15, s31, v16
	v_cmp_eq_u32_e32 vcc, 0, v8
	v_add_u32_e32 v3, 0x400, v3
	v_add_u32_e32 v2, 0x400, v2
	v_lshlrev_b32_e32 v12, 2, v12
	v_subrev_u32_e32 v14, s31, v18
	v_subrev_u32_e32 v16, s31, v22
	;; [unrolled: 1-line block ×13, first 2 shown]
	v_lshlrev_b32_e32 v15, 2, v15
	s_or_b64 s[22:23], vcc, s[22:23]
	v_lshlrev_b32_e32 v14, 2, v14
	v_lshlrev_b32_e32 v18, 2, v18
	;; [unrolled: 1-line block ×13, first 2 shown]
	s_waitcnt vmcnt(15)
	v_subrev_u32_e32 v1, s17, v1
	s_waitcnt vmcnt(14)
	v_subrev_u32_e32 v11, s17, v11
	ds_write_b32 v13, v1 offset:1408
	ds_write_b32 v12, v11 offset:1408
	s_waitcnt vmcnt(12)
	v_subrev_u32_e32 v11, s17, v19
	s_waitcnt vmcnt(11)
	v_subrev_u32_e32 v12, s17, v21
	;; [unrolled: 2-line block ×8, first 2 shown]
	v_subrev_u32_e32 v1, s17, v17
	v_subrev_u32_e32 v17, s17, v25
	v_subrev_u32_e32 v25, s17, v33
	s_waitcnt vmcnt(2)
	v_subrev_u32_e32 v31, s17, v39
	s_waitcnt vmcnt(1)
	v_subrev_u32_e32 v33, s17, v41
	;; [unrolled: 2-line block ×3, first 2 shown]
	ds_write_b32 v15, v11 offset:1408
	ds_write_b32 v14, v1 offset:1408
	;; [unrolled: 1-line block ×14, first 2 shown]
	s_andn2_b64 exec, exec, s[22:23]
	s_cbranch_execnz .LBB9_5
; %bb.6:
	s_or_b64 exec, exec, s[22:23]
.LBB9_7:
	s_or_b64 exec, exec, s[20:21]
	v_and_b32_e32 v1, 7, v7
	v_cmp_ne_u32_e32 vcc, 0, v1
	s_and_saveexec_b64 s[20:21], vcc
	s_cbranch_execz .LBB9_10
; %bb.8:
	s_mov_b64 s[22:23], 0
.LBB9_9:                                ; =>This Inner Loop Header: Depth=1
	v_ashrrev_i32_e32 v13, 31, v3
	v_mov_b32_e32 v12, v3
	v_ashrrev_i32_e32 v15, 31, v2
	v_mov_b32_e32 v14, v2
	v_lshl_add_u64 v[12:13], v[12:13], 2, s[14:15]
	v_lshl_add_u64 v[14:15], v[14:15], 2, s[14:15]
	global_load_dword v7, v[12:13], off
	global_load_dword v8, v[14:15], off
	v_add_u32_e32 v1, -1, v1
	v_subrev_u32_e32 v12, s31, v2
	v_cmp_eq_u32_e32 vcc, 0, v1
	v_subrev_u32_e32 v11, s31, v3
	v_add_u32_e32 v3, 0x80, v3
	v_add_u32_e32 v2, 0x80, v2
	v_lshlrev_b32_e32 v12, 2, v12
	s_or_b64 s[22:23], vcc, s[22:23]
	v_lshlrev_b32_e32 v11, 2, v11
	s_waitcnt vmcnt(1)
	v_subrev_u32_e32 v7, s17, v7
	s_waitcnt vmcnt(0)
	v_subrev_u32_e32 v8, s17, v8
	ds_write_b32 v12, v8 offset:1408
	ds_write_b32 v11, v7 offset:1408
	s_andn2_b64 exec, exec, s[22:23]
	s_cbranch_execnz .LBB9_9
.LBB9_10:
	s_or_b64 exec, exec, s[20:21]
	v_add_u32_e32 v1, 1, v6
	v_and_b32_e32 v2, 0x7fffffe, v1
	v_cmp_ne_u32_e32 vcc, v1, v2
	v_lshl_add_u32 v0, v2, 6, v0
	s_orn2_b64 s[20:21], vcc, exec
.LBB9_11:
	s_or_b64 exec, exec, s[18:19]
	s_and_b64 exec, exec, s[20:21]
	s_cbranch_execz .LBB9_14
; %bb.12:
	v_add_u32_e32 v1, s17, v0
	v_subrev_u32_e32 v1, s24, v1
	v_mov_b32_e32 v2, 0x580
	v_lshl_add_u32 v6, v1, 2, v2
	v_ashrrev_i32_e32 v1, 31, v0
	v_lshl_add_u64 v[2:3], v[0:1], 2, s[14:15]
	s_mov_b64 s[18:19], 0
	s_mov_b64 s[20:21], 0x100
.LBB9_13:                               ; =>This Inner Loop Header: Depth=1
	global_load_dword v1, v[2:3], off
	v_add_u32_e32 v0, 64, v0
	v_cmp_lt_i32_e32 vcc, s30, v0
	v_lshl_add_u64 v[2:3], v[2:3], 0, s[20:21]
	s_or_b64 s[18:19], vcc, s[18:19]
	s_waitcnt vmcnt(0)
	v_subrev_u32_e32 v1, s17, v1
	ds_write_b32 v6, v1
	v_add_u32_e32 v6, 0x100, v6
	s_andn2_b64 exec, exec, s[18:19]
	s_cbranch_execnz .LBB9_13
.LBB9_14:
	s_or_b64 exec, exec, s[2:3]
	s_load_dwordx2 s[2:3], s[0:1], 0x20
	v_mov_b32_e32 v0, 0x360
	v_mad_u32_u24 v8, v5, 36, v0
	v_lshl_add_u32 v6, v4, 2, v8
	v_mov_b32_e32 v0, 0
	s_cmp_lt_i32 s31, s30
	ds_write_b32 v6, v0
	s_waitcnt lgkmcnt(0)
	s_cbranch_scc1 .LBB9_18
; %bb.15:
	v_lshl_add_u32 v11, v4, 3, v5
	v_or_b32_e32 v7, v4, v5
	s_load_dword s33, s[0:1], 0x0
	s_cbranch_execz .LBB9_19
	s_branch .LBB9_77
.LBB9_16:
	s_cbranch_execnz .LBB9_144
.LBB9_17:
	s_endpgm
.LBB9_18:
                                        ; implicit-def: $vgpr11
                                        ; implicit-def: $vgpr7
	s_load_dword s33, s[0:1], 0x0
.LBB9_19:
	s_waitcnt lgkmcnt(0)
	s_cmp_lg_u32 s33, 0
	s_cselect_b64 s[18:19], -1, 0
	s_cmp_eq_u32 s33, 0
	v_lshlrev_b32_e32 v12, 3, v4
	v_mov_b32_e32 v0, 0x240
	v_mov_b32_e32 v2, 0x120
	v_add_u32_e32 v11, v12, v5
	v_mad_u32_u24 v13, v5, 36, v0
	v_lshlrev_b32_e32 v1, 2, v4
	v_mad_u32_u24 v16, v5, 36, v2
	v_or_b32_e32 v7, v4, v5
	s_cselect_b64 vcc, -1, 0
	v_add_u32_e32 v14, v13, v1
	v_mad_u32_u24 v15, v5, 36, v1
	v_add_u32_e32 v17, v16, v1
	v_mad_u32_u24 v18, v4, 36, v0
	v_cmp_ne_u32_e64 s[0:1], 0, v7
	v_cndmask_b32_e32 v19, v11, v9, vcc
	v_mov_b32_e32 v20, 0
	s_mov_b32 s20, s31
	s_branch .LBB9_22
.LBB9_20:                               ;   in Loop: Header=BB9_22 Depth=1
	s_or_b64 exec, exec, s[24:25]
	v_mov_b32_e32 v3, 1.0
.LBB9_21:                               ;   in Loop: Header=BB9_22 Depth=1
	s_or_b64 exec, exec, s[22:23]
	ds_read2_b32 v[22:23], v20 offset0:67 offset1:68
	ds_read2_b32 v[24:25], v20 offset0:65 offset1:66
	ds_read2_b32 v[26:27], v20 offset0:63 offset1:64
	ds_read_b32 v21, v16 offset:28
	ds_read2_b32 v[28:29], v13 offset1:1
	ds_read2_b32 v[30:31], v13 offset0:2 offset1:3
	ds_read_b32 v34, v13 offset:24
	ds_read2_b32 v[32:33], v13 offset0:4 offset1:5
	ds_read_b32 v35, v20 offset:276
	s_waitcnt lgkmcnt(4)
	v_fmac_f32_e32 v21, v26, v28
	v_fmac_f32_e32 v21, v27, v29
	s_waitcnt lgkmcnt(3)
	v_fmac_f32_e32 v21, v24, v30
	v_fmac_f32_e32 v21, v25, v31
	;; [unrolled: 3-line block ×3, first 2 shown]
	s_waitcnt lgkmcnt(0)
	v_fmac_f32_e32 v21, v35, v34
	v_sub_f32_e32 v2, v2, v21
	v_div_scale_f32 v21, s[22:23], v3, v3, v2
	v_rcp_f32_e32 v22, v21
	s_add_i32 s20, s20, 1
	s_cmp_ge_i32 s20, s30
	s_cselect_b64 s[22:23], -1, 0
	v_fma_f32 v23, -v21, v22, 1.0
	v_fmac_f32_e32 v22, v23, v22
	v_div_scale_f32 v23, vcc, v2, v3, v2
	v_mul_f32_e32 v24, v23, v22
	v_fma_f32 v25, -v21, v24, v23
	v_fmac_f32_e32 v24, v25, v22
	v_fma_f32 v21, -v21, v24, v23
	v_div_fmas_f32 v21, v21, v22, v24
	v_div_fixup_f32 v2, v21, v3, v2
	ds_write_b32 v13, v2 offset:28
	s_waitcnt lgkmcnt(0)
	ds_read_b32 v3, v18 offset:28
	ds_read_b32 v21, v6
	s_waitcnt lgkmcnt(0)
	v_fmac_f32_e32 v21, v2, v3
	ds_write_b32 v6, v21
	s_waitcnt lgkmcnt(0)
	ds_read_b32 v2, v14
	s_waitcnt lgkmcnt(0)
	global_store_dword v[0:1], v2, off
	buffer_wbl2 sc1
	s_waitcnt vmcnt(0)
	buffer_inv sc1
	s_and_b64 vcc, exec, s[22:23]
	s_cbranch_vccnz .LBB9_77
.LBB9_22:                               ; =>This Loop Header: Depth=1
                                        ;     Child Loop BB9_25 Depth 2
                                        ;     Child Loop BB9_36 Depth 2
	;; [unrolled: 1-line block ×3, first 2 shown]
	s_ashr_i32 s21, s20, 31
	s_lshl_b64 s[22:23], s[20:21], 2
	s_add_u32 s22, s14, s22
	s_addc_u32 s23, s15, s23
	s_load_dword s21, s[22:23], 0x0
	s_waitcnt lgkmcnt(0)
	s_sub_i32 s24, s21, s17
	s_ashr_i32 s25, s24, 31
	s_lshl_b64 s[22:23], s[24:25], 2
	s_add_u32 s26, s4, s22
	s_addc_u32 s27, s5, s23
	s_load_dword s25, s[26:27], 0x0
	s_waitcnt lgkmcnt(0)
	s_cmp_eq_u32 s25, -1
	s_cbranch_scc1 .LBB9_76
; %bb.23:                               ;   in Loop: Header=BB9_22 Depth=1
	v_lshl_add_u32 v0, s20, 6, v19
	v_ashrrev_i32_e32 v1, 31, v0
	v_lshl_add_u64 v[0:1], v[0:1], 2, s[2:3]
	global_load_dword v2, v[0:1], off
	s_add_u32 s26, s12, s22
	s_addc_u32 s27, s13, s23
	s_load_dword s26, s[26:27], 0x0
	ds_read_b32 v3, v20 offset:1408
	s_mov_b32 s27, 0
	s_waitcnt lgkmcnt(0)
	s_sub_i32 s26, s26, s17
	s_cmp_le_i32 s26, s25
	v_cmp_ge_i32_e32 vcc, s24, v3
	s_cselect_b64 s[28:29], -1, 0
	s_and_b64 s[28:29], s[28:29], vcc
	s_andn2_b64 vcc, exec, s[28:29]
	s_waitcnt vmcnt(0)
	ds_write_b32 v14, v2
	s_cbranch_vccnz .LBB9_35
; %bb.24:                               ;   in Loop: Header=BB9_22 Depth=1
	s_mov_b32 s34, 0
	s_mov_b32 s35, 0
.LBB9_25:                               ;   Parent Loop BB9_22 Depth=1
                                        ; =>  This Inner Loop Header: Depth=2
	s_ashr_i32 s27, s26, 31
	s_lshl_b64 s[28:29], s[26:27], 2
	s_add_u32 s28, s14, s28
	s_addc_u32 s29, s15, s29
	s_load_dword s27, s[28:29], 0x0
	s_lshl_b32 s28, s35, 2
	v_mov_b32_e32 v2, s28
	ds_read_b32 v2, v2 offset:1408
	s_mov_b64 s[28:29], -1
	s_waitcnt lgkmcnt(0)
	s_sub_i32 s39, s27, s17
                                        ; implicit-def: $sgpr27
                                        ; implicit-def: $sgpr38
                                        ; implicit-def: $sgpr37
	v_cmp_ge_i32_e32 vcc, s39, v2
	v_readfirstlane_b32 s36, v2
	s_cbranch_vccz .LBB9_31
; %bb.26:                               ;   in Loop: Header=BB9_25 Depth=2
	s_cmp_le_i32 s39, s36
                                        ; implicit-def: $sgpr27
                                        ; implicit-def: $sgpr38
                                        ; implicit-def: $sgpr37
	s_cbranch_scc0 .LBB9_28
; %bb.27:                               ;   in Loop: Header=BB9_25 Depth=2
	s_add_i32 s27, s35, s31
	s_lshl_b32 s27, s27, 6
	s_lshl_b32 s28, s34, 2
	v_mov_b32_e32 v2, s28
	v_mov_b32_e32 v3, s27
	s_lshl_b32 s27, s26, 6
	v_mov_b32_e32 v21, s27
	v_add_u32_e32 v2, 0x400, v2
	ds_write2_b32 v2, v21, v3 offset0:32 offset1:64
	s_add_i32 s37, s35, 1
	s_add_i32 s38, s26, 1
	s_add_i32 s27, s34, 1
	s_mov_b64 s[28:29], 0
.LBB9_28:                               ;   in Loop: Header=BB9_25 Depth=2
	s_andn2_b64 vcc, exec, s[28:29]
	s_cbranch_vccnz .LBB9_30
; %bb.29:                               ;   in Loop: Header=BB9_25 Depth=2
	s_add_i32 s37, s35, 1
	s_mov_b32 s27, s34
	s_mov_b32 s38, s26
.LBB9_30:                               ;   in Loop: Header=BB9_25 Depth=2
	s_mov_b64 s[28:29], 0
.LBB9_31:                               ;   in Loop: Header=BB9_25 Depth=2
	s_andn2_b64 vcc, exec, s[28:29]
	s_cbranch_vccnz .LBB9_33
; %bb.32:                               ;   in Loop: Header=BB9_25 Depth=2
	s_add_i32 s38, s26, 1
	s_mov_b32 s37, s35
	s_mov_b32 s27, s34
.LBB9_33:                               ;   in Loop: Header=BB9_25 Depth=2
	s_cmp_le_i32 s38, s25
	s_cselect_b64 s[28:29], -1, 0
	s_cmp_le_i32 s36, s24
	s_cselect_b64 s[34:35], -1, 0
	s_and_b64 s[28:29], s[28:29], s[34:35]
	s_and_b64 vcc, exec, s[28:29]
	s_cbranch_vccz .LBB9_35
; %bb.34:                               ;   in Loop: Header=BB9_25 Depth=2
	s_mov_b32 s34, s27
	s_mov_b32 s26, s38
	;; [unrolled: 1-line block ×3, first 2 shown]
	s_branch .LBB9_25
.LBB9_35:                               ;   in Loop: Header=BB9_22 Depth=1
	s_add_u32 s22, s6, s22
	s_addc_u32 s23, s7, s23
	s_waitcnt lgkmcnt(0)
.LBB9_36:                               ;   Parent Loop BB9_22 Depth=1
                                        ; =>  This Inner Loop Header: Depth=2
	global_load_dword v2, v20, s[22:23] sc1
	s_waitcnt vmcnt(0)
	v_cmp_eq_u32_e32 vcc, 0, v2
	s_cbranch_vccnz .LBB9_36
; %bb.37:                               ;   in Loop: Header=BB9_22 Depth=1
	v_lshl_add_u32 v2, s25, 6, v19
	v_ashrrev_i32_e32 v3, 31, v2
	v_lshl_add_u64 v[2:3], v[2:3], 2, s[2:3]
	buffer_inv sc1
	global_load_dword v2, v[2:3], off
	s_cmp_lt_i32 s27, 2
	v_mov_b32_e32 v22, 0
	s_waitcnt vmcnt(0)
	ds_write_b32 v15, v2
	s_waitcnt lgkmcnt(0)
	s_cbranch_scc1 .LBB9_45
; %bb.38:                               ;   in Loop: Header=BB9_22 Depth=1
	s_add_i32 s24, s27, -1
	v_mov_b32_e32 v21, 0
	s_movk_i32 s25, 0x480
.LBB9_39:                               ;   Parent Loop BB9_22 Depth=1
                                        ; =>  This Inner Loop Header: Depth=2
	s_waitcnt lgkmcnt(0)
	v_mov_b32_e32 v2, s25
	ds_read2_b32 v[2:3], v2 offset1:32
	s_mov_b64 s[22:23], -1
	s_and_b64 vcc, exec, s[18:19]
                                        ; implicit-def: $vgpr22
	s_cbranch_vccz .LBB9_42
; %bb.40:                               ;   in Loop: Header=BB9_39 Depth=2
	s_waitcnt lgkmcnt(0)
	v_add_u32_e32 v22, v2, v4
	v_add_u32_e32 v26, v3, v5
	v_ashrrev_i32_e32 v23, 31, v22
	v_add_u32_e32 v30, 8, v22
	v_add_u32_e32 v32, 8, v26
	;; [unrolled: 1-line block ×6, first 2 shown]
	v_lshl_add_u64 v[24:25], v[22:23], 2, s[2:3]
	v_ashrrev_i32_e32 v27, 31, v26
	v_ashrrev_i32_e32 v31, 31, v30
	;; [unrolled: 1-line block ×7, first 2 shown]
	v_lshl_add_u64 v[28:29], v[26:27], 2, s[2:3]
	v_lshl_add_u64 v[30:31], v[30:31], 2, s[2:3]
	;; [unrolled: 1-line block ×7, first 2 shown]
	global_load_dword v42, v[24:25], off
	global_load_dword v43, v[28:29], off
	;; [unrolled: 1-line block ×8, first 2 shown]
	v_add_u32_e32 v24, 32, v22
	v_ashrrev_i32_e32 v25, 31, v24
	v_add_u32_e32 v28, 32, v26
	v_add_u32_e32 v30, 40, v22
	v_add_u32_e32 v32, 40, v26
	v_add_u32_e32 v34, 48, v22
	v_add_u32_e32 v36, 48, v26
	v_add_u32_e32 v22, 56, v22
	v_add_u32_e32 v26, 56, v26
	v_lshl_add_u64 v[24:25], v[24:25], 2, s[2:3]
	v_ashrrev_i32_e32 v29, 31, v28
	v_ashrrev_i32_e32 v31, 31, v30
	;; [unrolled: 1-line block ×7, first 2 shown]
	v_lshl_add_u64 v[28:29], v[28:29], 2, s[2:3]
	v_lshl_add_u64 v[30:31], v[30:31], 2, s[2:3]
	;; [unrolled: 1-line block ×7, first 2 shown]
	global_load_dword v38, v[24:25], off
	global_load_dword v39, v[28:29], off
	global_load_dword v40, v[30:31], off
	global_load_dword v41, v[32:33], off
	global_load_dword v50, v[34:35], off
	global_load_dword v51, v[36:37], off
	global_load_dword v52, v[22:23], off
	global_load_dword v53, v[26:27], off
	s_waitcnt vmcnt(14)
	v_fma_f32 v22, v42, v43, v21
	s_waitcnt vmcnt(12)
	v_fmac_f32_e32 v22, v44, v45
	s_waitcnt vmcnt(10)
	v_fmac_f32_e32 v22, v46, v47
	;; [unrolled: 2-line block ×7, first 2 shown]
	s_cbranch_execz .LBB9_43
.LBB9_41:                               ;   in Loop: Header=BB9_39 Depth=2
	s_add_i32 s24, s24, -1
	s_add_i32 s25, s25, 4
	s_cmp_eq_u32 s24, 0
	s_cbranch_scc0 .LBB9_44
	s_branch .LBB9_45
.LBB9_42:                               ;   in Loop: Header=BB9_39 Depth=2
	s_andn2_b64 vcc, exec, s[22:23]
	s_cbranch_vccnz .LBB9_41
.LBB9_43:                               ;   in Loop: Header=BB9_39 Depth=2
	s_waitcnt lgkmcnt(0)
	v_add_u32_e32 v22, v2, v12
	v_add_u32_e32 v2, v3, v10
	v_ashrrev_i32_e32 v3, 31, v2
	v_ashrrev_i32_e32 v23, 31, v22
	v_lshl_add_u64 v[2:3], v[2:3], 2, s[2:3]
	v_lshl_add_u64 v[38:39], v[22:23], 2, s[2:3]
	global_load_dwordx4 v[22:25], v[2:3], off
	global_load_dwordx4 v[26:29], v[38:39], off
	global_load_dwordx4 v[30:33], v[38:39], off offset:16
	global_load_dwordx4 v[34:37], v[2:3], off offset:16
	s_waitcnt vmcnt(2)
	v_fmac_f32_e32 v21, v26, v22
	v_fmac_f32_e32 v21, v27, v23
	v_fmac_f32_e32 v21, v28, v24
	v_fmac_f32_e32 v21, v29, v25
	s_waitcnt vmcnt(0)
	v_fmac_f32_e32 v21, v30, v34
	v_fmac_f32_e32 v21, v31, v35
	;; [unrolled: 1-line block ×4, first 2 shown]
	v_mov_b32_e32 v22, v21
	s_add_i32 s24, s24, -1
	s_add_i32 s25, s25, 4
	s_cmp_eq_u32 s24, 0
	s_cbranch_scc1 .LBB9_45
.LBB9_44:                               ;   in Loop: Header=BB9_39 Depth=2
	v_mov_b32_e32 v21, v22
	s_branch .LBB9_39
.LBB9_45:                               ;   in Loop: Header=BB9_22 Depth=1
	ds_write_b32 v17, v22
	s_waitcnt lgkmcnt(0)
	ds_read_b32 v3, v20
	ds_read_b32 v2, v13
	s_waitcnt lgkmcnt(1)
	v_cmp_neq_f32_e32 vcc, 0, v3
	s_nop 1
	v_cndmask_b32_e32 v3, 1.0, v3, vcc
	s_nor_b64 s[24:25], vcc, s[0:1]
	s_and_saveexec_b64 s[22:23], s[24:25]
	s_cbranch_execz .LBB9_49
; %bb.46:                               ;   in Loop: Header=BB9_22 Depth=1
	v_mbcnt_lo_u32_b32 v3, exec_lo, 0
	v_mbcnt_hi_u32_b32 v3, exec_hi, v3
	v_cmp_eq_u32_e32 vcc, 0, v3
	s_and_saveexec_b64 s[24:25], vcc
	s_cbranch_execz .LBB9_48
; %bb.47:                               ;   in Loop: Header=BB9_22 Depth=1
	v_mov_b32_e32 v3, s21
	global_atomic_smin v20, v3, s[10:11]
.LBB9_48:                               ;   in Loop: Header=BB9_22 Depth=1
	s_or_b64 exec, exec, s[24:25]
	v_mov_b32_e32 v3, 1.0
.LBB9_49:                               ;   in Loop: Header=BB9_22 Depth=1
	s_or_b64 exec, exec, s[22:23]
	ds_read_b32 v21, v16
	s_waitcnt lgkmcnt(0)
	v_sub_f32_e32 v2, v2, v21
	v_div_scale_f32 v21, s[22:23], v3, v3, v2
	v_rcp_f32_e32 v22, v21
	v_div_scale_f32 v23, vcc, v2, v3, v2
	v_fma_f32 v24, -v21, v22, 1.0
	v_fmac_f32_e32 v22, v24, v22
	v_mul_f32_e32 v24, v23, v22
	v_fma_f32 v25, -v21, v24, v23
	v_fmac_f32_e32 v24, v25, v22
	v_fma_f32 v21, -v21, v24, v23
	v_div_fmas_f32 v21, v21, v22, v24
	v_div_fixup_f32 v2, v21, v3, v2
	ds_write_b32 v13, v2
	s_waitcnt lgkmcnt(0)
	ds_read_b32 v3, v18
	ds_read_b32 v21, v6
	s_waitcnt lgkmcnt(0)
	v_fmac_f32_e32 v21, v2, v3
	ds_write_b32 v6, v21
	s_waitcnt lgkmcnt(0)
	ds_read_b32 v3, v20 offset:40
	ds_read_b32 v2, v13 offset:4
	s_waitcnt lgkmcnt(1)
	v_cmp_neq_f32_e32 vcc, 0, v3
	s_nop 1
	v_cndmask_b32_e32 v3, 1.0, v3, vcc
	s_nor_b64 s[24:25], vcc, s[0:1]
	s_and_saveexec_b64 s[22:23], s[24:25]
	s_cbranch_execz .LBB9_53
; %bb.50:                               ;   in Loop: Header=BB9_22 Depth=1
	v_mbcnt_lo_u32_b32 v3, exec_lo, 0
	v_mbcnt_hi_u32_b32 v3, exec_hi, v3
	v_cmp_eq_u32_e32 vcc, 0, v3
	s_and_saveexec_b64 s[24:25], vcc
	s_cbranch_execz .LBB9_52
; %bb.51:                               ;   in Loop: Header=BB9_22 Depth=1
	v_mov_b32_e32 v3, s21
	global_atomic_smin v20, v3, s[10:11]
.LBB9_52:                               ;   in Loop: Header=BB9_22 Depth=1
	s_or_b64 exec, exec, s[24:25]
	v_mov_b32_e32 v3, 1.0
.LBB9_53:                               ;   in Loop: Header=BB9_22 Depth=1
	s_or_b64 exec, exec, s[22:23]
	ds_read_b32 v21, v20 offset:36
	ds_read_b32 v22, v13
	ds_read_b32 v23, v16 offset:4
	s_waitcnt lgkmcnt(0)
	v_fmac_f32_e32 v23, v21, v22
	v_sub_f32_e32 v2, v2, v23
	v_div_scale_f32 v21, s[22:23], v3, v3, v2
	v_rcp_f32_e32 v22, v21
	v_div_scale_f32 v23, vcc, v2, v3, v2
	v_fma_f32 v24, -v21, v22, 1.0
	v_fmac_f32_e32 v22, v24, v22
	v_mul_f32_e32 v24, v23, v22
	v_fma_f32 v25, -v21, v24, v23
	v_fmac_f32_e32 v24, v25, v22
	v_fma_f32 v21, -v21, v24, v23
	v_div_fmas_f32 v21, v21, v22, v24
	v_div_fixup_f32 v2, v21, v3, v2
	ds_write_b32 v13, v2 offset:4
	s_waitcnt lgkmcnt(0)
	ds_read_b32 v3, v18 offset:4
	ds_read_b32 v21, v6
	s_waitcnt lgkmcnt(0)
	v_fmac_f32_e32 v21, v2, v3
	ds_write_b32 v6, v21
	s_waitcnt lgkmcnt(0)
	ds_read_b32 v3, v20 offset:80
	ds_read_b32 v2, v13 offset:8
	s_waitcnt lgkmcnt(1)
	v_cmp_neq_f32_e32 vcc, 0, v3
	s_nop 1
	v_cndmask_b32_e32 v3, 1.0, v3, vcc
	s_nor_b64 s[24:25], vcc, s[0:1]
	s_and_saveexec_b64 s[22:23], s[24:25]
	s_cbranch_execz .LBB9_57
; %bb.54:                               ;   in Loop: Header=BB9_22 Depth=1
	v_mbcnt_lo_u32_b32 v3, exec_lo, 0
	v_mbcnt_hi_u32_b32 v3, exec_hi, v3
	v_cmp_eq_u32_e32 vcc, 0, v3
	s_and_saveexec_b64 s[24:25], vcc
	s_cbranch_execz .LBB9_56
; %bb.55:                               ;   in Loop: Header=BB9_22 Depth=1
	v_mov_b32_e32 v3, s21
	global_atomic_smin v20, v3, s[10:11]
.LBB9_56:                               ;   in Loop: Header=BB9_22 Depth=1
	s_or_b64 exec, exec, s[24:25]
	v_mov_b32_e32 v3, 1.0
.LBB9_57:                               ;   in Loop: Header=BB9_22 Depth=1
	s_or_b64 exec, exec, s[22:23]
	ds_read_b64 v[22:23], v20 offset:72
	ds_read2_b32 v[24:25], v13 offset1:1
	ds_read_b32 v21, v16 offset:8
	s_waitcnt lgkmcnt(0)
	v_fmac_f32_e32 v21, v22, v24
	v_fmac_f32_e32 v21, v23, v25
	v_sub_f32_e32 v2, v2, v21
	v_div_scale_f32 v21, s[22:23], v3, v3, v2
	v_rcp_f32_e32 v22, v21
	v_div_scale_f32 v23, vcc, v2, v3, v2
	v_fma_f32 v24, -v21, v22, 1.0
	v_fmac_f32_e32 v22, v24, v22
	v_mul_f32_e32 v24, v23, v22
	v_fma_f32 v25, -v21, v24, v23
	v_fmac_f32_e32 v24, v25, v22
	v_fma_f32 v21, -v21, v24, v23
	v_div_fmas_f32 v21, v21, v22, v24
	v_div_fixup_f32 v2, v21, v3, v2
	ds_write_b32 v13, v2 offset:8
	s_waitcnt lgkmcnt(0)
	ds_read_b32 v3, v18 offset:8
	ds_read_b32 v21, v6
	s_waitcnt lgkmcnt(0)
	v_fmac_f32_e32 v21, v2, v3
	ds_write_b32 v6, v21
	s_waitcnt lgkmcnt(0)
	ds_read_b32 v3, v20 offset:120
	ds_read_b32 v2, v13 offset:12
	s_waitcnt lgkmcnt(1)
	v_cmp_neq_f32_e32 vcc, 0, v3
	s_nop 1
	v_cndmask_b32_e32 v3, 1.0, v3, vcc
	s_nor_b64 s[24:25], vcc, s[0:1]
	s_and_saveexec_b64 s[22:23], s[24:25]
	s_cbranch_execz .LBB9_61
; %bb.58:                               ;   in Loop: Header=BB9_22 Depth=1
	v_mbcnt_lo_u32_b32 v3, exec_lo, 0
	v_mbcnt_hi_u32_b32 v3, exec_hi, v3
	v_cmp_eq_u32_e32 vcc, 0, v3
	s_and_saveexec_b64 s[24:25], vcc
	s_cbranch_execz .LBB9_60
; %bb.59:                               ;   in Loop: Header=BB9_22 Depth=1
	v_mov_b32_e32 v3, s21
	global_atomic_smin v20, v3, s[10:11]
.LBB9_60:                               ;   in Loop: Header=BB9_22 Depth=1
	s_or_b64 exec, exec, s[24:25]
	v_mov_b32_e32 v3, 1.0
.LBB9_61:                               ;   in Loop: Header=BB9_22 Depth=1
	s_or_b64 exec, exec, s[22:23]
	ds_read2_b32 v[22:23], v20 offset0:27 offset1:28
	ds_read_b32 v21, v16 offset:12
	ds_read2_b32 v[24:25], v13 offset1:1
	ds_read_b32 v26, v13 offset:8
	ds_read_b32 v27, v20 offset:116
	s_waitcnt lgkmcnt(2)
	v_fmac_f32_e32 v21, v22, v24
	v_fmac_f32_e32 v21, v23, v25
	s_waitcnt lgkmcnt(0)
	v_fmac_f32_e32 v21, v27, v26
	v_sub_f32_e32 v2, v2, v21
	v_div_scale_f32 v21, s[22:23], v3, v3, v2
	v_rcp_f32_e32 v22, v21
	v_div_scale_f32 v23, vcc, v2, v3, v2
	v_fma_f32 v24, -v21, v22, 1.0
	v_fmac_f32_e32 v22, v24, v22
	v_mul_f32_e32 v24, v23, v22
	v_fma_f32 v25, -v21, v24, v23
	v_fmac_f32_e32 v24, v25, v22
	v_fma_f32 v21, -v21, v24, v23
	v_div_fmas_f32 v21, v21, v22, v24
	v_div_fixup_f32 v2, v21, v3, v2
	ds_write_b32 v13, v2 offset:12
	s_waitcnt lgkmcnt(0)
	ds_read_b32 v3, v18 offset:12
	ds_read_b32 v21, v6
	s_waitcnt lgkmcnt(0)
	v_fmac_f32_e32 v21, v2, v3
	ds_write_b32 v6, v21
	s_waitcnt lgkmcnt(0)
	ds_read_b32 v3, v20 offset:160
	ds_read_b32 v2, v13 offset:16
	s_waitcnt lgkmcnt(1)
	v_cmp_neq_f32_e32 vcc, 0, v3
	s_nop 1
	v_cndmask_b32_e32 v3, 1.0, v3, vcc
	s_nor_b64 s[24:25], vcc, s[0:1]
	s_and_saveexec_b64 s[22:23], s[24:25]
	s_cbranch_execz .LBB9_65
; %bb.62:                               ;   in Loop: Header=BB9_22 Depth=1
	v_mbcnt_lo_u32_b32 v3, exec_lo, 0
	v_mbcnt_hi_u32_b32 v3, exec_hi, v3
	v_cmp_eq_u32_e32 vcc, 0, v3
	s_and_saveexec_b64 s[24:25], vcc
	s_cbranch_execz .LBB9_64
; %bb.63:                               ;   in Loop: Header=BB9_22 Depth=1
	v_mov_b32_e32 v3, s21
	global_atomic_smin v20, v3, s[10:11]
.LBB9_64:                               ;   in Loop: Header=BB9_22 Depth=1
	s_or_b64 exec, exec, s[24:25]
	v_mov_b32_e32 v3, 1.0
.LBB9_65:                               ;   in Loop: Header=BB9_22 Depth=1
	s_or_b64 exec, exec, s[22:23]
	ds_read_b128 v[22:25], v20 offset:144
	ds_read_b32 v21, v16 offset:16
	ds_read2_b32 v[26:27], v13 offset1:1
	ds_read2_b32 v[28:29], v13 offset0:2 offset1:3
	s_waitcnt lgkmcnt(1)
	v_fmac_f32_e32 v21, v22, v26
	v_fmac_f32_e32 v21, v23, v27
	s_waitcnt lgkmcnt(0)
	v_fmac_f32_e32 v21, v24, v28
	v_fmac_f32_e32 v21, v25, v29
	v_sub_f32_e32 v2, v2, v21
	v_div_scale_f32 v21, s[22:23], v3, v3, v2
	v_rcp_f32_e32 v22, v21
	v_div_scale_f32 v23, vcc, v2, v3, v2
	v_fma_f32 v24, -v21, v22, 1.0
	v_fmac_f32_e32 v22, v24, v22
	v_mul_f32_e32 v24, v23, v22
	v_fma_f32 v25, -v21, v24, v23
	v_fmac_f32_e32 v24, v25, v22
	v_fma_f32 v21, -v21, v24, v23
	v_div_fmas_f32 v21, v21, v22, v24
	v_div_fixup_f32 v2, v21, v3, v2
	ds_write_b32 v13, v2 offset:16
	s_waitcnt lgkmcnt(0)
	ds_read_b32 v3, v18 offset:16
	ds_read_b32 v21, v6
	s_waitcnt lgkmcnt(0)
	v_fmac_f32_e32 v21, v2, v3
	ds_write_b32 v6, v21
	s_waitcnt lgkmcnt(0)
	ds_read_b32 v3, v20 offset:200
	ds_read_b32 v2, v13 offset:20
	s_waitcnt lgkmcnt(1)
	v_cmp_neq_f32_e32 vcc, 0, v3
	s_nop 1
	v_cndmask_b32_e32 v3, 1.0, v3, vcc
	s_nor_b64 s[24:25], vcc, s[0:1]
	s_and_saveexec_b64 s[22:23], s[24:25]
	s_cbranch_execz .LBB9_69
; %bb.66:                               ;   in Loop: Header=BB9_22 Depth=1
	v_mbcnt_lo_u32_b32 v3, exec_lo, 0
	v_mbcnt_hi_u32_b32 v3, exec_hi, v3
	v_cmp_eq_u32_e32 vcc, 0, v3
	s_and_saveexec_b64 s[24:25], vcc
	s_cbranch_execz .LBB9_68
; %bb.67:                               ;   in Loop: Header=BB9_22 Depth=1
	v_mov_b32_e32 v3, s21
	global_atomic_smin v20, v3, s[10:11]
.LBB9_68:                               ;   in Loop: Header=BB9_22 Depth=1
	s_or_b64 exec, exec, s[24:25]
	v_mov_b32_e32 v3, 1.0
.LBB9_69:                               ;   in Loop: Header=BB9_22 Depth=1
	s_or_b64 exec, exec, s[22:23]
	ds_read2_b32 v[22:23], v13 offset1:1
	ds_read_b32 v21, v16 offset:20
	ds_read2_b32 v[24:25], v20 offset0:45 offset1:46
	ds_read2_b32 v[26:27], v20 offset0:47 offset1:48
	;; [unrolled: 1-line block ×3, first 2 shown]
	ds_read_b32 v30, v13 offset:16
	ds_read_b32 v31, v20 offset:196
	s_waitcnt lgkmcnt(4)
	v_fmac_f32_e32 v21, v24, v22
	v_fmac_f32_e32 v21, v25, v23
	s_waitcnt lgkmcnt(2)
	v_fmac_f32_e32 v21, v26, v28
	v_fmac_f32_e32 v21, v27, v29
	s_waitcnt lgkmcnt(0)
	v_fmac_f32_e32 v21, v31, v30
	v_sub_f32_e32 v2, v2, v21
	v_div_scale_f32 v21, s[22:23], v3, v3, v2
	v_rcp_f32_e32 v22, v21
	s_nop 0
	v_fma_f32 v23, -v21, v22, 1.0
	v_fmac_f32_e32 v22, v23, v22
	v_div_scale_f32 v23, vcc, v2, v3, v2
	v_mul_f32_e32 v24, v23, v22
	v_fma_f32 v25, -v21, v24, v23
	v_fmac_f32_e32 v24, v25, v22
	v_fma_f32 v21, -v21, v24, v23
	v_div_fmas_f32 v21, v21, v22, v24
	v_div_fixup_f32 v2, v21, v3, v2
	ds_write_b32 v13, v2 offset:20
	s_waitcnt lgkmcnt(0)
	ds_read_b32 v3, v18 offset:20
	ds_read_b32 v21, v6
	s_waitcnt lgkmcnt(0)
	v_fmac_f32_e32 v21, v2, v3
	ds_write_b32 v6, v21
	s_waitcnt lgkmcnt(0)
	ds_read_b32 v3, v20 offset:240
	ds_read_b32 v2, v13 offset:24
	s_waitcnt lgkmcnt(1)
	v_cmp_neq_f32_e32 vcc, 0, v3
	s_nop 1
	v_cndmask_b32_e32 v3, 1.0, v3, vcc
	s_nor_b64 s[24:25], vcc, s[0:1]
	s_and_saveexec_b64 s[22:23], s[24:25]
	s_cbranch_execz .LBB9_73
; %bb.70:                               ;   in Loop: Header=BB9_22 Depth=1
	v_mbcnt_lo_u32_b32 v3, exec_lo, 0
	v_mbcnt_hi_u32_b32 v3, exec_hi, v3
	v_cmp_eq_u32_e32 vcc, 0, v3
	s_and_saveexec_b64 s[24:25], vcc
	s_cbranch_execz .LBB9_72
; %bb.71:                               ;   in Loop: Header=BB9_22 Depth=1
	v_mov_b32_e32 v3, s21
	global_atomic_smin v20, v3, s[10:11]
.LBB9_72:                               ;   in Loop: Header=BB9_22 Depth=1
	s_or_b64 exec, exec, s[24:25]
	v_mov_b32_e32 v3, 1.0
.LBB9_73:                               ;   in Loop: Header=BB9_22 Depth=1
	s_or_b64 exec, exec, s[22:23]
	ds_read2_b64 v[22:25], v20 offset0:27 offset1:28
	ds_read2_b32 v[26:27], v13 offset1:1
	ds_read_b32 v21, v16 offset:24
	ds_read2_b32 v[28:29], v13 offset0:2 offset1:3
	ds_read2_b32 v[30:31], v13 offset0:4 offset1:5
	ds_read_b64 v[32:33], v20 offset:232
	s_waitcnt lgkmcnt(3)
	v_fmac_f32_e32 v21, v22, v26
	v_fmac_f32_e32 v21, v23, v27
	s_waitcnt lgkmcnt(2)
	v_fmac_f32_e32 v21, v24, v28
	v_fmac_f32_e32 v21, v25, v29
	;; [unrolled: 3-line block ×3, first 2 shown]
	v_sub_f32_e32 v2, v2, v21
	v_div_scale_f32 v21, s[22:23], v3, v3, v2
	v_rcp_f32_e32 v22, v21
	s_nop 0
	v_fma_f32 v23, -v21, v22, 1.0
	v_fmac_f32_e32 v22, v23, v22
	v_div_scale_f32 v23, vcc, v2, v3, v2
	v_mul_f32_e32 v24, v23, v22
	v_fma_f32 v25, -v21, v24, v23
	v_fmac_f32_e32 v24, v25, v22
	v_fma_f32 v21, -v21, v24, v23
	v_div_fmas_f32 v21, v21, v22, v24
	v_div_fixup_f32 v2, v21, v3, v2
	ds_write_b32 v13, v2 offset:24
	s_waitcnt lgkmcnt(0)
	ds_read_b32 v3, v18 offset:24
	ds_read_b32 v21, v6
	s_waitcnt lgkmcnt(0)
	v_fmac_f32_e32 v21, v2, v3
	ds_write_b32 v6, v21
	s_waitcnt lgkmcnt(0)
	ds_read_b32 v3, v20 offset:280
	ds_read_b32 v2, v13 offset:28
	s_waitcnt lgkmcnt(1)
	v_cmp_neq_f32_e32 vcc, 0, v3
	s_nop 1
	v_cndmask_b32_e32 v3, 1.0, v3, vcc
	s_nor_b64 s[24:25], vcc, s[0:1]
	s_and_saveexec_b64 s[22:23], s[24:25]
	s_cbranch_execz .LBB9_21
; %bb.74:                               ;   in Loop: Header=BB9_22 Depth=1
	v_mbcnt_lo_u32_b32 v3, exec_lo, 0
	v_mbcnt_hi_u32_b32 v3, exec_hi, v3
	v_cmp_eq_u32_e32 vcc, 0, v3
	s_and_saveexec_b64 s[24:25], vcc
	s_cbranch_execz .LBB9_20
; %bb.75:                               ;   in Loop: Header=BB9_22 Depth=1
	v_mov_b32_e32 v3, s21
	global_atomic_smin v20, v3, s[10:11]
	s_branch .LBB9_20
.LBB9_76:                               ;   in Loop: Header=BB9_22 Depth=1
                                        ; implicit-def: $sgpr20
	s_cbranch_execz .LBB9_22
.LBB9_77:
	s_waitcnt lgkmcnt(0)
	s_cmp_eq_u32 s33, 0
	s_cselect_b64 vcc, -1, 0
	v_cndmask_b32_e32 v0, v11, v9, vcc
	v_lshl_add_u32 v0, s30, 6, v0
	v_ashrrev_i32_e32 v1, 31, v0
	v_lshl_add_u64 v[0:1], v[0:1], 2, s[2:3]
	global_load_dword v9, v[0:1], off
	v_mov_b32_e32 v2, 0x240
	v_mad_u32_u24 v3, v5, 36, v2
	v_cmp_ne_u32_e32 vcc, 0, v5
	v_lshl_add_u32 v2, v4, 2, v3
	v_cmp_eq_u32_e64 s[0:1], 0, v5
	s_waitcnt vmcnt(0)
	ds_write_b32 v2, v9
	s_waitcnt lgkmcnt(0)
	s_and_saveexec_b64 s[4:5], s[0:1]
	s_cbranch_execz .LBB9_79
; %bb.78:
	v_mov_b32_e32 v9, 0
	ds_read2_b32 v[10:11], v9 offset0:144 offset1:216
	s_mov_b32 s2, 0xf800000
	s_waitcnt lgkmcnt(0)
	v_sub_f32_e32 v10, v10, v11
	v_cmp_gt_f32_e64 s[0:1], 0, v10
	s_nop 1
	v_cndmask_b32_e64 v10, v10, -v10, s[0:1]
	v_mul_f32_e32 v11, 0x4f800000, v10
	v_cmp_gt_f32_e64 s[0:1], s2, v10
	s_nop 1
	v_cndmask_b32_e64 v10, v10, v11, s[0:1]
	v_sqrt_f32_e32 v11, v10
	s_nop 0
	v_add_u32_e32 v12, -1, v11
	v_add_u32_e32 v13, 1, v11
	v_fma_f32 v14, -v12, v11, v10
	v_fma_f32 v15, -v13, v11, v10
	v_cmp_ge_f32_e64 s[2:3], 0, v14
	s_nop 1
	v_cndmask_b32_e64 v11, v11, v12, s[2:3]
	v_cmp_lt_f32_e64 s[2:3], 0, v15
	s_nop 1
	v_cndmask_b32_e64 v11, v11, v13, s[2:3]
	v_mul_f32_e32 v12, 0x37800000, v11
	v_cndmask_b32_e64 v11, v11, v12, s[0:1]
	v_mov_b32_e32 v12, 0x260
	v_cmp_class_f32_e64 s[0:1], v10, v12
	s_nop 1
	v_cndmask_b32_e64 v10, v11, v10, s[0:1]
	ds_write_b32 v9, v10 offset:576
.LBB9_79:
	s_or_b64 exec, exec, s[4:5]
	v_mov_b32_e32 v9, 0
	s_waitcnt lgkmcnt(0)
	ds_read_b32 v9, v9 offset:576
	v_cmp_ne_u32_e64 s[0:1], 0, v7
	s_add_i32 s14, s16, s17
	s_waitcnt lgkmcnt(0)
	v_cmp_neq_f32_e64 s[2:3], 0, v9
	s_nop 1
	v_cndmask_b32_e64 v10, 1.0, v9, s[2:3]
	s_nor_b64 s[2:3], s[2:3], s[0:1]
	s_and_saveexec_b64 s[4:5], s[2:3]
	s_cbranch_execz .LBB9_83
; %bb.80:
	v_mbcnt_lo_u32_b32 v9, exec_lo, 0
	v_mbcnt_hi_u32_b32 v9, exec_hi, v9
	v_cmp_eq_u32_e64 s[2:3], 0, v9
	s_and_saveexec_b64 s[12:13], s[2:3]
	s_cbranch_execz .LBB9_82
; %bb.81:
	v_mov_b32_e32 v9, 0
	v_mov_b32_e32 v10, s14
	global_atomic_smin v9, v10, s[10:11]
.LBB9_82:
	s_or_b64 exec, exec, s[12:13]
	v_mov_b32_e32 v10, 1.0
.LBB9_83:
	s_or_b64 exec, exec, s[4:5]
	v_mov_b32_e32 v9, 0x240
	v_mad_u32_u24 v9, v4, 36, v9
	s_and_saveexec_b64 s[2:3], vcc
	s_cbranch_execz .LBB9_85
; %bb.84:
	ds_read_b32 v11, v3
	ds_read_b32 v12, v8
	s_waitcnt lgkmcnt(0)
	v_sub_f32_e32 v11, v11, v12
	v_div_scale_f32 v12, s[4:5], v10, v10, v11
	v_rcp_f32_e32 v13, v12
	v_div_scale_f32 v14, vcc, v11, v10, v11
	v_fma_f32 v15, -v12, v13, 1.0
	v_fmac_f32_e32 v13, v15, v13
	v_mul_f32_e32 v15, v14, v13
	v_fma_f32 v16, -v12, v15, v14
	v_fmac_f32_e32 v15, v16, v13
	v_fma_f32 v12, -v12, v15, v14
	v_div_fmas_f32 v12, v12, v13, v15
	v_div_fixup_f32 v10, v12, v10, v11
	ds_write_b32 v3, v10
	s_waitcnt lgkmcnt(0)
	ds_read_b32 v11, v9
	ds_read_b32 v12, v6
	s_waitcnt lgkmcnt(0)
	v_fmac_f32_e32 v12, v10, v11
	ds_write_b32 v6, v12
.LBB9_85:
	s_or_b64 exec, exec, s[2:3]
	v_cmp_eq_u32_e32 vcc, 1, v5
	s_waitcnt lgkmcnt(0)
	s_and_saveexec_b64 s[4:5], vcc
	s_cbranch_execz .LBB9_87
; %bb.86:
	v_mov_b32_e32 v12, 0
	ds_read2_b32 v[10:11], v12 offset0:154 offset1:226
	s_mov_b32 s2, 0xf800000
	s_waitcnt lgkmcnt(0)
	v_sub_f32_e32 v10, v10, v11
	v_cmp_gt_f32_e32 vcc, 0, v10
	s_nop 1
	v_cndmask_b32_e64 v10, v10, -v10, vcc
	v_mul_f32_e32 v11, 0x4f800000, v10
	v_cmp_gt_f32_e32 vcc, s2, v10
	s_nop 1
	v_cndmask_b32_e32 v10, v10, v11, vcc
	v_sqrt_f32_e32 v11, v10
	s_nop 0
	v_add_u32_e32 v13, -1, v11
	v_add_u32_e32 v14, 1, v11
	v_fma_f32 v15, -v13, v11, v10
	v_fma_f32 v16, -v14, v11, v10
	v_cmp_ge_f32_e64 s[2:3], 0, v15
	s_nop 1
	v_cndmask_b32_e64 v11, v11, v13, s[2:3]
	v_cmp_lt_f32_e64 s[2:3], 0, v16
	s_nop 1
	v_cndmask_b32_e64 v11, v11, v14, s[2:3]
	v_mul_f32_e32 v13, 0x37800000, v11
	v_cndmask_b32_e32 v11, v11, v13, vcc
	v_mov_b32_e32 v13, 0x260
	v_cmp_class_f32_e32 vcc, v10, v13
	s_nop 1
	v_cndmask_b32_e32 v10, v11, v10, vcc
	ds_write_b32 v12, v10 offset:616
.LBB9_87:
	s_or_b64 exec, exec, s[4:5]
	v_mov_b32_e32 v10, 0
	s_waitcnt lgkmcnt(0)
	ds_read_b32 v10, v10 offset:616
	s_waitcnt lgkmcnt(0)
	v_cmp_neq_f32_e32 vcc, 0, v10
	s_nop 1
	v_cndmask_b32_e32 v10, 1.0, v10, vcc
	s_nor_b64 s[4:5], vcc, s[0:1]
	s_and_saveexec_b64 s[2:3], s[4:5]
	s_cbranch_execz .LBB9_91
; %bb.88:
	v_mbcnt_lo_u32_b32 v10, exec_lo, 0
	v_mbcnt_hi_u32_b32 v10, exec_hi, v10
	v_cmp_eq_u32_e32 vcc, 0, v10
	s_and_saveexec_b64 s[4:5], vcc
	s_cbranch_execz .LBB9_90
; %bb.89:
	v_mov_b32_e32 v10, 0
	v_mov_b32_e32 v11, s14
	global_atomic_smin v10, v11, s[10:11]
.LBB9_90:
	s_or_b64 exec, exec, s[4:5]
	v_mov_b32_e32 v10, 1.0
.LBB9_91:
	s_or_b64 exec, exec, s[2:3]
	v_cmp_lt_u32_e32 vcc, 1, v5
	s_and_saveexec_b64 s[2:3], vcc
	s_cbranch_execz .LBB9_93
; %bb.92:
	ds_read_b32 v11, v3 offset:4
	ds_read_b32 v12, v8 offset:4
	s_waitcnt lgkmcnt(0)
	v_sub_f32_e32 v11, v11, v12
	v_div_scale_f32 v12, s[4:5], v10, v10, v11
	v_rcp_f32_e32 v13, v12
	v_div_scale_f32 v14, vcc, v11, v10, v11
	v_fma_f32 v15, -v12, v13, 1.0
	v_fmac_f32_e32 v13, v15, v13
	v_mul_f32_e32 v15, v14, v13
	v_fma_f32 v16, -v12, v15, v14
	v_fmac_f32_e32 v15, v16, v13
	v_fma_f32 v12, -v12, v15, v14
	v_div_fmas_f32 v12, v12, v13, v15
	v_div_fixup_f32 v10, v12, v10, v11
	ds_write_b32 v3, v10 offset:4
	s_waitcnt lgkmcnt(0)
	ds_read_b32 v11, v9 offset:4
	ds_read_b32 v12, v6
	s_waitcnt lgkmcnt(0)
	v_fmac_f32_e32 v12, v10, v11
	ds_write_b32 v6, v12
.LBB9_93:
	s_or_b64 exec, exec, s[2:3]
	v_cmp_eq_u32_e32 vcc, 2, v5
	s_waitcnt lgkmcnt(0)
	s_and_saveexec_b64 s[4:5], vcc
	s_cbranch_execz .LBB9_95
; %bb.94:
	v_mov_b32_e32 v12, 0
	ds_read2_b32 v[10:11], v12 offset0:164 offset1:236
	s_mov_b32 s2, 0xf800000
	s_waitcnt lgkmcnt(0)
	v_sub_f32_e32 v10, v10, v11
	v_cmp_gt_f32_e32 vcc, 0, v10
	s_nop 1
	v_cndmask_b32_e64 v10, v10, -v10, vcc
	v_mul_f32_e32 v11, 0x4f800000, v10
	v_cmp_gt_f32_e32 vcc, s2, v10
	s_nop 1
	v_cndmask_b32_e32 v10, v10, v11, vcc
	v_sqrt_f32_e32 v11, v10
	s_nop 0
	v_add_u32_e32 v13, -1, v11
	v_add_u32_e32 v14, 1, v11
	v_fma_f32 v15, -v13, v11, v10
	v_fma_f32 v16, -v14, v11, v10
	v_cmp_ge_f32_e64 s[2:3], 0, v15
	s_nop 1
	v_cndmask_b32_e64 v11, v11, v13, s[2:3]
	v_cmp_lt_f32_e64 s[2:3], 0, v16
	s_nop 1
	v_cndmask_b32_e64 v11, v11, v14, s[2:3]
	v_mul_f32_e32 v13, 0x37800000, v11
	v_cndmask_b32_e32 v11, v11, v13, vcc
	v_mov_b32_e32 v13, 0x260
	v_cmp_class_f32_e32 vcc, v10, v13
	s_nop 1
	v_cndmask_b32_e32 v10, v11, v10, vcc
	ds_write_b32 v12, v10 offset:656
.LBB9_95:
	s_or_b64 exec, exec, s[4:5]
	v_mov_b32_e32 v10, 0
	s_waitcnt lgkmcnt(0)
	ds_read_b32 v10, v10 offset:656
	s_waitcnt lgkmcnt(0)
	v_cmp_neq_f32_e32 vcc, 0, v10
	s_nop 1
	v_cndmask_b32_e32 v10, 1.0, v10, vcc
	s_nor_b64 s[4:5], vcc, s[0:1]
	s_and_saveexec_b64 s[2:3], s[4:5]
	s_cbranch_execz .LBB9_99
; %bb.96:
	v_mbcnt_lo_u32_b32 v10, exec_lo, 0
	v_mbcnt_hi_u32_b32 v10, exec_hi, v10
	v_cmp_eq_u32_e32 vcc, 0, v10
	s_and_saveexec_b64 s[4:5], vcc
	s_cbranch_execz .LBB9_98
; %bb.97:
	v_mov_b32_e32 v10, 0
	v_mov_b32_e32 v11, s14
	global_atomic_smin v10, v11, s[10:11]
.LBB9_98:
	s_or_b64 exec, exec, s[4:5]
	v_mov_b32_e32 v10, 1.0
.LBB9_99:
	s_or_b64 exec, exec, s[2:3]
	v_cmp_lt_u32_e32 vcc, 2, v5
	s_and_saveexec_b64 s[2:3], vcc
	s_cbranch_execz .LBB9_101
; %bb.100:
	ds_read_b32 v11, v3 offset:8
	ds_read_b32 v12, v8 offset:8
	s_waitcnt lgkmcnt(0)
	v_sub_f32_e32 v11, v11, v12
	v_div_scale_f32 v12, s[4:5], v10, v10, v11
	v_rcp_f32_e32 v13, v12
	v_div_scale_f32 v14, vcc, v11, v10, v11
	v_fma_f32 v15, -v12, v13, 1.0
	v_fmac_f32_e32 v13, v15, v13
	v_mul_f32_e32 v15, v14, v13
	v_fma_f32 v16, -v12, v15, v14
	v_fmac_f32_e32 v15, v16, v13
	v_fma_f32 v12, -v12, v15, v14
	v_div_fmas_f32 v12, v12, v13, v15
	v_div_fixup_f32 v10, v12, v10, v11
	ds_write_b32 v3, v10 offset:8
	s_waitcnt lgkmcnt(0)
	ds_read_b32 v11, v9 offset:8
	ds_read_b32 v12, v6
	s_waitcnt lgkmcnt(0)
	v_fmac_f32_e32 v12, v10, v11
	ds_write_b32 v6, v12
.LBB9_101:
	s_or_b64 exec, exec, s[2:3]
	v_cmp_eq_u32_e32 vcc, 3, v5
	s_waitcnt lgkmcnt(0)
	s_and_saveexec_b64 s[4:5], vcc
	s_cbranch_execz .LBB9_103
; %bb.102:
	v_mov_b32_e32 v12, 0
	ds_read2_b32 v[10:11], v12 offset0:174 offset1:246
	s_mov_b32 s2, 0xf800000
	s_waitcnt lgkmcnt(0)
	v_sub_f32_e32 v10, v10, v11
	v_cmp_gt_f32_e32 vcc, 0, v10
	s_nop 1
	v_cndmask_b32_e64 v10, v10, -v10, vcc
	v_mul_f32_e32 v11, 0x4f800000, v10
	v_cmp_gt_f32_e32 vcc, s2, v10
	s_nop 1
	v_cndmask_b32_e32 v10, v10, v11, vcc
	v_sqrt_f32_e32 v11, v10
	s_nop 0
	v_add_u32_e32 v13, -1, v11
	v_add_u32_e32 v14, 1, v11
	v_fma_f32 v15, -v13, v11, v10
	v_fma_f32 v16, -v14, v11, v10
	v_cmp_ge_f32_e64 s[2:3], 0, v15
	s_nop 1
	v_cndmask_b32_e64 v11, v11, v13, s[2:3]
	v_cmp_lt_f32_e64 s[2:3], 0, v16
	s_nop 1
	v_cndmask_b32_e64 v11, v11, v14, s[2:3]
	v_mul_f32_e32 v13, 0x37800000, v11
	v_cndmask_b32_e32 v11, v11, v13, vcc
	v_mov_b32_e32 v13, 0x260
	v_cmp_class_f32_e32 vcc, v10, v13
	s_nop 1
	v_cndmask_b32_e32 v10, v11, v10, vcc
	ds_write_b32 v12, v10 offset:696
.LBB9_103:
	s_or_b64 exec, exec, s[4:5]
	v_mov_b32_e32 v10, 0
	s_waitcnt lgkmcnt(0)
	ds_read_b32 v10, v10 offset:696
	s_waitcnt lgkmcnt(0)
	v_cmp_neq_f32_e32 vcc, 0, v10
	s_nop 1
	v_cndmask_b32_e32 v10, 1.0, v10, vcc
	s_nor_b64 s[4:5], vcc, s[0:1]
	s_and_saveexec_b64 s[2:3], s[4:5]
	s_cbranch_execz .LBB9_107
; %bb.104:
	v_mbcnt_lo_u32_b32 v10, exec_lo, 0
	v_mbcnt_hi_u32_b32 v10, exec_hi, v10
	v_cmp_eq_u32_e32 vcc, 0, v10
	s_and_saveexec_b64 s[4:5], vcc
	s_cbranch_execz .LBB9_106
; %bb.105:
	v_mov_b32_e32 v10, 0
	v_mov_b32_e32 v11, s14
	global_atomic_smin v10, v11, s[10:11]
.LBB9_106:
	s_or_b64 exec, exec, s[4:5]
	v_mov_b32_e32 v10, 1.0
.LBB9_107:
	s_or_b64 exec, exec, s[2:3]
	v_cmp_lt_u32_e32 vcc, 3, v5
	s_and_saveexec_b64 s[2:3], vcc
	s_cbranch_execz .LBB9_109
; %bb.108:
	ds_read_b32 v11, v3 offset:12
	ds_read_b32 v12, v8 offset:12
	s_waitcnt lgkmcnt(0)
	v_sub_f32_e32 v11, v11, v12
	v_div_scale_f32 v12, s[4:5], v10, v10, v11
	v_rcp_f32_e32 v13, v12
	v_div_scale_f32 v14, vcc, v11, v10, v11
	v_fma_f32 v15, -v12, v13, 1.0
	v_fmac_f32_e32 v13, v15, v13
	v_mul_f32_e32 v15, v14, v13
	v_fma_f32 v16, -v12, v15, v14
	v_fmac_f32_e32 v15, v16, v13
	v_fma_f32 v12, -v12, v15, v14
	v_div_fmas_f32 v12, v12, v13, v15
	v_div_fixup_f32 v10, v12, v10, v11
	ds_write_b32 v3, v10 offset:12
	s_waitcnt lgkmcnt(0)
	ds_read_b32 v11, v9 offset:12
	ds_read_b32 v12, v6
	s_waitcnt lgkmcnt(0)
	v_fmac_f32_e32 v12, v10, v11
	ds_write_b32 v6, v12
.LBB9_109:
	s_or_b64 exec, exec, s[2:3]
	v_cmp_eq_u32_e32 vcc, 4, v5
	s_waitcnt lgkmcnt(0)
	s_and_saveexec_b64 s[4:5], vcc
	s_cbranch_execz .LBB9_111
; %bb.110:
	s_movk_i32 s2, 0x200
	v_add_u32_e64 v10, s2, 0
	ds_read2_b32 v[10:11], v10 offset0:56 offset1:128
	s_mov_b32 s2, 0xf800000
	v_mov_b32_e32 v12, 0
	s_waitcnt lgkmcnt(0)
	v_sub_f32_e32 v10, v10, v11
	v_cmp_gt_f32_e32 vcc, 0, v10
	s_nop 1
	v_cndmask_b32_e64 v10, v10, -v10, vcc
	v_mul_f32_e32 v11, 0x4f800000, v10
	v_cmp_gt_f32_e32 vcc, s2, v10
	s_nop 1
	v_cndmask_b32_e32 v10, v10, v11, vcc
	v_sqrt_f32_e32 v11, v10
	s_nop 0
	v_add_u32_e32 v13, -1, v11
	v_add_u32_e32 v14, 1, v11
	v_fma_f32 v15, -v13, v11, v10
	v_fma_f32 v16, -v14, v11, v10
	v_cmp_ge_f32_e64 s[2:3], 0, v15
	s_nop 1
	v_cndmask_b32_e64 v11, v11, v13, s[2:3]
	v_cmp_lt_f32_e64 s[2:3], 0, v16
	s_nop 1
	v_cndmask_b32_e64 v11, v11, v14, s[2:3]
	v_mul_f32_e32 v13, 0x37800000, v11
	v_cndmask_b32_e32 v11, v11, v13, vcc
	v_mov_b32_e32 v13, 0x260
	v_cmp_class_f32_e32 vcc, v10, v13
	s_nop 1
	v_cndmask_b32_e32 v10, v11, v10, vcc
	ds_write_b32 v12, v10 offset:736
.LBB9_111:
	s_or_b64 exec, exec, s[4:5]
	v_mov_b32_e32 v10, 0
	s_waitcnt lgkmcnt(0)
	ds_read_b32 v10, v10 offset:736
	s_waitcnt lgkmcnt(0)
	v_cmp_neq_f32_e32 vcc, 0, v10
	s_nop 1
	v_cndmask_b32_e32 v10, 1.0, v10, vcc
	s_nor_b64 s[4:5], vcc, s[0:1]
	s_and_saveexec_b64 s[2:3], s[4:5]
	s_cbranch_execz .LBB9_115
; %bb.112:
	v_mbcnt_lo_u32_b32 v10, exec_lo, 0
	v_mbcnt_hi_u32_b32 v10, exec_hi, v10
	v_cmp_eq_u32_e32 vcc, 0, v10
	s_and_saveexec_b64 s[4:5], vcc
	s_cbranch_execz .LBB9_114
; %bb.113:
	v_mov_b32_e32 v10, 0
	v_mov_b32_e32 v11, s14
	global_atomic_smin v10, v11, s[10:11]
.LBB9_114:
	s_or_b64 exec, exec, s[4:5]
	v_mov_b32_e32 v10, 1.0
.LBB9_115:
	s_or_b64 exec, exec, s[2:3]
	v_cmp_lt_u32_e32 vcc, 4, v5
	s_and_saveexec_b64 s[2:3], vcc
	s_cbranch_execz .LBB9_117
; %bb.116:
	ds_read_b32 v11, v3 offset:16
	ds_read_b32 v12, v8 offset:16
	s_waitcnt lgkmcnt(0)
	v_sub_f32_e32 v11, v11, v12
	v_div_scale_f32 v12, s[4:5], v10, v10, v11
	v_rcp_f32_e32 v13, v12
	v_div_scale_f32 v14, vcc, v11, v10, v11
	v_fma_f32 v15, -v12, v13, 1.0
	v_fmac_f32_e32 v13, v15, v13
	v_mul_f32_e32 v15, v14, v13
	v_fma_f32 v16, -v12, v15, v14
	v_fmac_f32_e32 v15, v16, v13
	v_fma_f32 v12, -v12, v15, v14
	v_div_fmas_f32 v12, v12, v13, v15
	v_div_fixup_f32 v10, v12, v10, v11
	ds_write_b32 v3, v10 offset:16
	s_waitcnt lgkmcnt(0)
	ds_read_b32 v11, v9 offset:16
	ds_read_b32 v12, v6
	s_waitcnt lgkmcnt(0)
	v_fmac_f32_e32 v12, v10, v11
	ds_write_b32 v6, v12
.LBB9_117:
	s_or_b64 exec, exec, s[2:3]
	v_cmp_eq_u32_e32 vcc, 5, v5
	s_waitcnt lgkmcnt(0)
	s_and_saveexec_b64 s[4:5], vcc
	s_cbranch_execz .LBB9_119
; %bb.118:
	s_movk_i32 s2, 0x200
	v_add_u32_e64 v10, s2, 0
	ds_read2_b32 v[10:11], v10 offset0:66 offset1:138
	s_mov_b32 s2, 0xf800000
	v_mov_b32_e32 v12, 0
	s_waitcnt lgkmcnt(0)
	v_sub_f32_e32 v10, v10, v11
	v_cmp_gt_f32_e32 vcc, 0, v10
	s_nop 1
	v_cndmask_b32_e64 v10, v10, -v10, vcc
	v_mul_f32_e32 v11, 0x4f800000, v10
	v_cmp_gt_f32_e32 vcc, s2, v10
	s_nop 1
	v_cndmask_b32_e32 v10, v10, v11, vcc
	v_sqrt_f32_e32 v11, v10
	s_nop 0
	v_add_u32_e32 v13, -1, v11
	v_add_u32_e32 v14, 1, v11
	v_fma_f32 v15, -v13, v11, v10
	v_fma_f32 v16, -v14, v11, v10
	v_cmp_ge_f32_e64 s[2:3], 0, v15
	s_nop 1
	v_cndmask_b32_e64 v11, v11, v13, s[2:3]
	v_cmp_lt_f32_e64 s[2:3], 0, v16
	s_nop 1
	v_cndmask_b32_e64 v11, v11, v14, s[2:3]
	v_mul_f32_e32 v13, 0x37800000, v11
	v_cndmask_b32_e32 v11, v11, v13, vcc
	v_mov_b32_e32 v13, 0x260
	v_cmp_class_f32_e32 vcc, v10, v13
	s_nop 1
	v_cndmask_b32_e32 v10, v11, v10, vcc
	ds_write_b32 v12, v10 offset:776
.LBB9_119:
	s_or_b64 exec, exec, s[4:5]
	v_mov_b32_e32 v10, 0
	s_waitcnt lgkmcnt(0)
	ds_read_b32 v10, v10 offset:776
	s_waitcnt lgkmcnt(0)
	v_cmp_neq_f32_e32 vcc, 0, v10
	s_nop 1
	v_cndmask_b32_e32 v10, 1.0, v10, vcc
	s_nor_b64 s[4:5], vcc, s[0:1]
	s_and_saveexec_b64 s[2:3], s[4:5]
	s_cbranch_execz .LBB9_123
; %bb.120:
	v_mbcnt_lo_u32_b32 v10, exec_lo, 0
	v_mbcnt_hi_u32_b32 v10, exec_hi, v10
	v_cmp_eq_u32_e32 vcc, 0, v10
	s_and_saveexec_b64 s[4:5], vcc
	s_cbranch_execz .LBB9_122
; %bb.121:
	v_mov_b32_e32 v10, 0
	v_mov_b32_e32 v11, s14
	global_atomic_smin v10, v11, s[10:11]
.LBB9_122:
	s_or_b64 exec, exec, s[4:5]
	v_mov_b32_e32 v10, 1.0
.LBB9_123:
	s_or_b64 exec, exec, s[2:3]
	v_cmp_lt_u32_e32 vcc, 5, v5
	s_and_saveexec_b64 s[2:3], vcc
	s_cbranch_execz .LBB9_125
; %bb.124:
	ds_read_b32 v11, v3 offset:20
	ds_read_b32 v12, v8 offset:20
	s_waitcnt lgkmcnt(0)
	v_sub_f32_e32 v11, v11, v12
	v_div_scale_f32 v12, s[4:5], v10, v10, v11
	v_rcp_f32_e32 v13, v12
	v_div_scale_f32 v14, vcc, v11, v10, v11
	v_fma_f32 v15, -v12, v13, 1.0
	v_fmac_f32_e32 v13, v15, v13
	v_mul_f32_e32 v15, v14, v13
	v_fma_f32 v16, -v12, v15, v14
	v_fmac_f32_e32 v15, v16, v13
	v_fma_f32 v12, -v12, v15, v14
	v_div_fmas_f32 v12, v12, v13, v15
	v_div_fixup_f32 v10, v12, v10, v11
	ds_write_b32 v3, v10 offset:20
	s_waitcnt lgkmcnt(0)
	ds_read_b32 v11, v9 offset:20
	ds_read_b32 v12, v6
	s_waitcnt lgkmcnt(0)
	v_fmac_f32_e32 v12, v10, v11
	ds_write_b32 v6, v12
.LBB9_125:
	s_or_b64 exec, exec, s[2:3]
	v_cmp_eq_u32_e32 vcc, 6, v5
	s_waitcnt lgkmcnt(0)
	s_and_saveexec_b64 s[4:5], vcc
	s_cbranch_execz .LBB9_127
; %bb.126:
	s_movk_i32 s2, 0x200
	v_add_u32_e64 v10, s2, 0
	ds_read2_b32 v[10:11], v10 offset0:76 offset1:148
	s_mov_b32 s2, 0xf800000
	v_mov_b32_e32 v12, 0
	s_waitcnt lgkmcnt(0)
	v_sub_f32_e32 v10, v10, v11
	v_cmp_gt_f32_e32 vcc, 0, v10
	s_nop 1
	v_cndmask_b32_e64 v10, v10, -v10, vcc
	v_mul_f32_e32 v11, 0x4f800000, v10
	v_cmp_gt_f32_e32 vcc, s2, v10
	s_nop 1
	v_cndmask_b32_e32 v10, v10, v11, vcc
	v_sqrt_f32_e32 v11, v10
	s_nop 0
	v_add_u32_e32 v13, -1, v11
	v_add_u32_e32 v14, 1, v11
	v_fma_f32 v15, -v13, v11, v10
	v_fma_f32 v16, -v14, v11, v10
	v_cmp_ge_f32_e64 s[2:3], 0, v15
	s_nop 1
	v_cndmask_b32_e64 v11, v11, v13, s[2:3]
	v_cmp_lt_f32_e64 s[2:3], 0, v16
	s_nop 1
	v_cndmask_b32_e64 v11, v11, v14, s[2:3]
	v_mul_f32_e32 v13, 0x37800000, v11
	v_cndmask_b32_e32 v11, v11, v13, vcc
	v_mov_b32_e32 v13, 0x260
	v_cmp_class_f32_e32 vcc, v10, v13
	s_nop 1
	v_cndmask_b32_e32 v10, v11, v10, vcc
	ds_write_b32 v12, v10 offset:816
.LBB9_127:
	s_or_b64 exec, exec, s[4:5]
	v_mov_b32_e32 v10, 0
	s_waitcnt lgkmcnt(0)
	ds_read_b32 v10, v10 offset:816
	s_waitcnt lgkmcnt(0)
	v_cmp_neq_f32_e32 vcc, 0, v10
	s_nop 1
	v_cndmask_b32_e32 v10, 1.0, v10, vcc
	s_nor_b64 s[4:5], vcc, s[0:1]
	s_and_saveexec_b64 s[2:3], s[4:5]
	s_cbranch_execz .LBB9_131
; %bb.128:
	v_mbcnt_lo_u32_b32 v10, exec_lo, 0
	v_mbcnt_hi_u32_b32 v10, exec_hi, v10
	v_cmp_eq_u32_e32 vcc, 0, v10
	s_and_saveexec_b64 s[4:5], vcc
	s_cbranch_execz .LBB9_130
; %bb.129:
	v_mov_b32_e32 v10, 0
	v_mov_b32_e32 v11, s14
	global_atomic_smin v10, v11, s[10:11]
.LBB9_130:
	s_or_b64 exec, exec, s[4:5]
	v_mov_b32_e32 v10, 1.0
.LBB9_131:
	s_or_b64 exec, exec, s[2:3]
	v_cmp_lt_u32_e32 vcc, 6, v5
	s_and_saveexec_b64 s[2:3], vcc
	s_cbranch_execz .LBB9_133
; %bb.132:
	ds_read_b32 v11, v3 offset:24
	ds_read_b32 v12, v8 offset:24
	s_waitcnt lgkmcnt(0)
	v_sub_f32_e32 v11, v11, v12
	v_div_scale_f32 v12, s[4:5], v10, v10, v11
	v_rcp_f32_e32 v13, v12
	v_div_scale_f32 v14, vcc, v11, v10, v11
	v_fma_f32 v15, -v12, v13, 1.0
	v_fmac_f32_e32 v13, v15, v13
	v_mul_f32_e32 v15, v14, v13
	v_fma_f32 v16, -v12, v15, v14
	v_fmac_f32_e32 v15, v16, v13
	v_fma_f32 v12, -v12, v15, v14
	v_div_fmas_f32 v12, v12, v13, v15
	v_div_fixup_f32 v10, v12, v10, v11
	ds_write_b32 v3, v10 offset:24
	s_waitcnt lgkmcnt(0)
	ds_read_b32 v11, v9 offset:24
	ds_read_b32 v12, v6
	s_waitcnt lgkmcnt(0)
	v_fmac_f32_e32 v12, v10, v11
	ds_write_b32 v6, v12
.LBB9_133:
	s_or_b64 exec, exec, s[2:3]
	v_cmp_eq_u32_e32 vcc, 7, v5
	s_waitcnt lgkmcnt(0)
	s_and_saveexec_b64 s[4:5], vcc
	s_cbranch_execz .LBB9_135
; %bb.134:
	s_movk_i32 s2, 0x200
	v_add_u32_e64 v10, s2, 0
	ds_read2_b32 v[10:11], v10 offset0:86 offset1:158
	s_mov_b32 s2, 0xf800000
	v_mov_b32_e32 v12, 0
	s_waitcnt lgkmcnt(0)
	v_sub_f32_e32 v10, v10, v11
	v_cmp_gt_f32_e32 vcc, 0, v10
	s_nop 1
	v_cndmask_b32_e64 v10, v10, -v10, vcc
	v_mul_f32_e32 v11, 0x4f800000, v10
	v_cmp_gt_f32_e32 vcc, s2, v10
	s_nop 1
	v_cndmask_b32_e32 v10, v10, v11, vcc
	v_sqrt_f32_e32 v11, v10
	s_nop 0
	v_add_u32_e32 v13, -1, v11
	v_add_u32_e32 v14, 1, v11
	v_fma_f32 v15, -v13, v11, v10
	v_fma_f32 v16, -v14, v11, v10
	v_cmp_ge_f32_e64 s[2:3], 0, v15
	s_nop 1
	v_cndmask_b32_e64 v11, v11, v13, s[2:3]
	v_cmp_lt_f32_e64 s[2:3], 0, v16
	s_nop 1
	v_cndmask_b32_e64 v11, v11, v14, s[2:3]
	v_mul_f32_e32 v13, 0x37800000, v11
	v_cndmask_b32_e32 v11, v11, v13, vcc
	v_mov_b32_e32 v13, 0x260
	v_cmp_class_f32_e32 vcc, v10, v13
	s_nop 1
	v_cndmask_b32_e32 v10, v11, v10, vcc
	ds_write_b32 v12, v10 offset:856
.LBB9_135:
	s_or_b64 exec, exec, s[4:5]
	v_mov_b32_e32 v10, 0
	s_waitcnt lgkmcnt(0)
	ds_read_b32 v10, v10 offset:856
	s_waitcnt lgkmcnt(0)
	v_cmp_neq_f32_e32 vcc, 0, v10
	s_nop 1
	v_cndmask_b32_e32 v10, 1.0, v10, vcc
	s_nor_b64 s[2:3], vcc, s[0:1]
	s_and_saveexec_b64 s[0:1], s[2:3]
	s_cbranch_execz .LBB9_139
; %bb.136:
	v_mbcnt_lo_u32_b32 v10, exec_lo, 0
	v_mbcnt_hi_u32_b32 v10, exec_hi, v10
	v_cmp_eq_u32_e32 vcc, 0, v10
	s_and_saveexec_b64 s[2:3], vcc
	s_cbranch_execz .LBB9_138
; %bb.137:
	v_mov_b32_e32 v10, 0
	v_mov_b32_e32 v11, s14
	global_atomic_smin v10, v11, s[10:11]
.LBB9_138:
	s_or_b64 exec, exec, s[2:3]
	v_mov_b32_e32 v10, 1.0
.LBB9_139:
	s_or_b64 exec, exec, s[0:1]
	v_cmp_lt_u32_e32 vcc, 7, v5
	s_and_saveexec_b64 s[0:1], vcc
	s_cbranch_execz .LBB9_141
; %bb.140:
	ds_read_b32 v11, v3 offset:28
	ds_read_b32 v8, v8 offset:28
	s_waitcnt lgkmcnt(0)
	v_sub_f32_e32 v8, v11, v8
	v_div_scale_f32 v11, s[2:3], v10, v10, v8
	v_rcp_f32_e32 v12, v11
	v_div_scale_f32 v13, vcc, v8, v10, v8
	v_fma_f32 v14, -v11, v12, 1.0
	v_fmac_f32_e32 v12, v14, v12
	v_mul_f32_e32 v14, v13, v12
	v_fma_f32 v15, -v11, v14, v13
	v_fmac_f32_e32 v14, v15, v12
	v_fma_f32 v11, -v11, v14, v13
	v_div_fmas_f32 v11, v11, v12, v14
	v_div_fixup_f32 v8, v11, v10, v8
	ds_write_b32 v3, v8 offset:28
	s_waitcnt lgkmcnt(0)
	ds_read_b32 v3, v9 offset:28
	ds_read_b32 v9, v6
	s_waitcnt lgkmcnt(0)
	v_fmac_f32_e32 v9, v8, v3
	ds_write_b32 v6, v9
.LBB9_141:
	s_or_b64 exec, exec, s[0:1]
	s_waitcnt lgkmcnt(0)
	ds_read_b32 v2, v2
	v_cmp_eq_u32_e32 vcc, 0, v7
	s_waitcnt lgkmcnt(0)
	global_store_dword v[0:1], v2, off
	s_and_saveexec_b64 s[0:1], vcc
	s_cbranch_execz .LBB9_143
; %bb.142:
	s_add_u32 s2, s6, s8
	s_addc_u32 s3, s7, s9
	v_mov_b32_e32 v0, 0
	v_mov_b32_e32 v1, 1
	buffer_wbl2 sc1
	s_waitcnt vmcnt(0)
	global_store_dword v0, v1, s[2:3] sc1
.LBB9_143:
	s_or_b64 exec, exec, s[0:1]
	s_branch .LBB9_17
.LBB9_144:
	v_or_b32_e32 v0, v4, v5
	v_cmp_eq_u32_e32 vcc, 0, v0
	s_and_saveexec_b64 s[0:1], vcc
	s_cbranch_execz .LBB9_17
; %bb.145:
	v_mbcnt_lo_u32_b32 v0, exec_lo, 0
	v_mbcnt_hi_u32_b32 v0, exec_hi, v0
	v_cmp_eq_u32_e32 vcc, 0, v0
	s_and_saveexec_b64 s[0:1], vcc
	s_cbranch_execz .LBB9_147
; %bb.146:
	s_add_i32 s2, s16, s17
	v_mov_b32_e32 v0, 0
	v_mov_b32_e32 v1, s2
	global_atomic_smin v0, v1, s[10:11]
.LBB9_147:
	s_or_b64 exec, exec, s[0:1]
	s_add_u32 s0, s6, s8
	s_addc_u32 s1, s7, s9
	v_mov_b32_e32 v0, 0
	v_mov_b32_e32 v1, 1
	buffer_wbl2 sc1
	s_waitcnt vmcnt(0)
	global_store_dword v0, v1, s[0:1] sc1
	s_endpgm
	.section	.rodata,"a",@progbits
	.p2align	6, 0x0
	.amdhsa_kernel _ZN9rocsparseL26bsric0_2_8_unrolled_kernelILi64ELi32ELi8EfEEv20rocsparse_direction_iiPKiS3_PT2_S3_PiS3_S6_21rocsparse_index_base_
		.amdhsa_group_segment_fixed_size 1536
		.amdhsa_private_segment_fixed_size 0
		.amdhsa_kernarg_size 76
		.amdhsa_user_sgpr_count 2
		.amdhsa_user_sgpr_dispatch_ptr 0
		.amdhsa_user_sgpr_queue_ptr 0
		.amdhsa_user_sgpr_kernarg_segment_ptr 1
		.amdhsa_user_sgpr_dispatch_id 0
		.amdhsa_user_sgpr_kernarg_preload_length 0
		.amdhsa_user_sgpr_kernarg_preload_offset 0
		.amdhsa_user_sgpr_private_segment_size 0
		.amdhsa_uses_dynamic_stack 0
		.amdhsa_enable_private_segment 0
		.amdhsa_system_sgpr_workgroup_id_x 1
		.amdhsa_system_sgpr_workgroup_id_y 0
		.amdhsa_system_sgpr_workgroup_id_z 0
		.amdhsa_system_sgpr_workgroup_info 0
		.amdhsa_system_vgpr_workitem_id 1
		.amdhsa_next_free_vgpr 66
		.amdhsa_next_free_sgpr 40
		.amdhsa_accum_offset 68
		.amdhsa_reserve_vcc 1
		.amdhsa_float_round_mode_32 0
		.amdhsa_float_round_mode_16_64 0
		.amdhsa_float_denorm_mode_32 3
		.amdhsa_float_denorm_mode_16_64 3
		.amdhsa_dx10_clamp 1
		.amdhsa_ieee_mode 1
		.amdhsa_fp16_overflow 0
		.amdhsa_tg_split 0
		.amdhsa_exception_fp_ieee_invalid_op 0
		.amdhsa_exception_fp_denorm_src 0
		.amdhsa_exception_fp_ieee_div_zero 0
		.amdhsa_exception_fp_ieee_overflow 0
		.amdhsa_exception_fp_ieee_underflow 0
		.amdhsa_exception_fp_ieee_inexact 0
		.amdhsa_exception_int_div_zero 0
	.end_amdhsa_kernel
	.section	.text._ZN9rocsparseL26bsric0_2_8_unrolled_kernelILi64ELi32ELi8EfEEv20rocsparse_direction_iiPKiS3_PT2_S3_PiS3_S6_21rocsparse_index_base_,"axG",@progbits,_ZN9rocsparseL26bsric0_2_8_unrolled_kernelILi64ELi32ELi8EfEEv20rocsparse_direction_iiPKiS3_PT2_S3_PiS3_S6_21rocsparse_index_base_,comdat
.Lfunc_end9:
	.size	_ZN9rocsparseL26bsric0_2_8_unrolled_kernelILi64ELi32ELi8EfEEv20rocsparse_direction_iiPKiS3_PT2_S3_PiS3_S6_21rocsparse_index_base_, .Lfunc_end9-_ZN9rocsparseL26bsric0_2_8_unrolled_kernelILi64ELi32ELi8EfEEv20rocsparse_direction_iiPKiS3_PT2_S3_PiS3_S6_21rocsparse_index_base_
                                        ; -- End function
	.set _ZN9rocsparseL26bsric0_2_8_unrolled_kernelILi64ELi32ELi8EfEEv20rocsparse_direction_iiPKiS3_PT2_S3_PiS3_S6_21rocsparse_index_base_.num_vgpr, 66
	.set _ZN9rocsparseL26bsric0_2_8_unrolled_kernelILi64ELi32ELi8EfEEv20rocsparse_direction_iiPKiS3_PT2_S3_PiS3_S6_21rocsparse_index_base_.num_agpr, 0
	.set _ZN9rocsparseL26bsric0_2_8_unrolled_kernelILi64ELi32ELi8EfEEv20rocsparse_direction_iiPKiS3_PT2_S3_PiS3_S6_21rocsparse_index_base_.numbered_sgpr, 40
	.set _ZN9rocsparseL26bsric0_2_8_unrolled_kernelILi64ELi32ELi8EfEEv20rocsparse_direction_iiPKiS3_PT2_S3_PiS3_S6_21rocsparse_index_base_.num_named_barrier, 0
	.set _ZN9rocsparseL26bsric0_2_8_unrolled_kernelILi64ELi32ELi8EfEEv20rocsparse_direction_iiPKiS3_PT2_S3_PiS3_S6_21rocsparse_index_base_.private_seg_size, 0
	.set _ZN9rocsparseL26bsric0_2_8_unrolled_kernelILi64ELi32ELi8EfEEv20rocsparse_direction_iiPKiS3_PT2_S3_PiS3_S6_21rocsparse_index_base_.uses_vcc, 1
	.set _ZN9rocsparseL26bsric0_2_8_unrolled_kernelILi64ELi32ELi8EfEEv20rocsparse_direction_iiPKiS3_PT2_S3_PiS3_S6_21rocsparse_index_base_.uses_flat_scratch, 0
	.set _ZN9rocsparseL26bsric0_2_8_unrolled_kernelILi64ELi32ELi8EfEEv20rocsparse_direction_iiPKiS3_PT2_S3_PiS3_S6_21rocsparse_index_base_.has_dyn_sized_stack, 0
	.set _ZN9rocsparseL26bsric0_2_8_unrolled_kernelILi64ELi32ELi8EfEEv20rocsparse_direction_iiPKiS3_PT2_S3_PiS3_S6_21rocsparse_index_base_.has_recursion, 0
	.set _ZN9rocsparseL26bsric0_2_8_unrolled_kernelILi64ELi32ELi8EfEEv20rocsparse_direction_iiPKiS3_PT2_S3_PiS3_S6_21rocsparse_index_base_.has_indirect_call, 0
	.section	.AMDGPU.csdata,"",@progbits
; Kernel info:
; codeLenInByte = 9132
; TotalNumSgprs: 46
; NumVgprs: 66
; NumAgprs: 0
; TotalNumVgprs: 66
; ScratchSize: 0
; MemoryBound: 0
; FloatMode: 240
; IeeeMode: 1
; LDSByteSize: 1536 bytes/workgroup (compile time only)
; SGPRBlocks: 5
; VGPRBlocks: 8
; NumSGPRsForWavesPerEU: 46
; NumVGPRsForWavesPerEU: 66
; AccumOffset: 68
; Occupancy: 7
; WaveLimiterHint : 1
; COMPUTE_PGM_RSRC2:SCRATCH_EN: 0
; COMPUTE_PGM_RSRC2:USER_SGPR: 2
; COMPUTE_PGM_RSRC2:TRAP_HANDLER: 0
; COMPUTE_PGM_RSRC2:TGID_X_EN: 1
; COMPUTE_PGM_RSRC2:TGID_Y_EN: 0
; COMPUTE_PGM_RSRC2:TGID_Z_EN: 0
; COMPUTE_PGM_RSRC2:TIDIG_COMP_CNT: 1
; COMPUTE_PGM_RSRC3_GFX90A:ACCUM_OFFSET: 16
; COMPUTE_PGM_RSRC3_GFX90A:TG_SPLIT: 0
	.section	.text._ZN9rocsparseL18bsric0_9_16_kernelILi64ELi32ELi16EfEEv20rocsparse_direction_iiPKiS3_PT2_S3_PiS3_S6_21rocsparse_index_base_,"axG",@progbits,_ZN9rocsparseL18bsric0_9_16_kernelILi64ELi32ELi16EfEEv20rocsparse_direction_iiPKiS3_PT2_S3_PiS3_S6_21rocsparse_index_base_,comdat
	.globl	_ZN9rocsparseL18bsric0_9_16_kernelILi64ELi32ELi16EfEEv20rocsparse_direction_iiPKiS3_PT2_S3_PiS3_S6_21rocsparse_index_base_ ; -- Begin function _ZN9rocsparseL18bsric0_9_16_kernelILi64ELi32ELi16EfEEv20rocsparse_direction_iiPKiS3_PT2_S3_PiS3_S6_21rocsparse_index_base_
	.p2align	8
	.type	_ZN9rocsparseL18bsric0_9_16_kernelILi64ELi32ELi16EfEEv20rocsparse_direction_iiPKiS3_PT2_S3_PiS3_S6_21rocsparse_index_base_,@function
_ZN9rocsparseL18bsric0_9_16_kernelILi64ELi32ELi16EfEEv20rocsparse_direction_iiPKiS3_PT2_S3_PiS3_S6_21rocsparse_index_base_: ; @_ZN9rocsparseL18bsric0_9_16_kernelILi64ELi32ELi16EfEEv20rocsparse_direction_iiPKiS3_PT2_S3_PiS3_S6_21rocsparse_index_base_
; %bb.0:
	s_load_dwordx8 s[12:19], s[0:1], 0x28
	s_mov_b32 s3, 0
	s_lshl_b64 s[2:3], s[2:3], 2
	v_and_b32_e32 v6, 0x3ff, v0
	v_bfe_u32 v0, v0, 10, 10
	s_waitcnt lgkmcnt(0)
	s_add_u32 s2, s16, s2
	s_addc_u32 s3, s17, s3
	s_load_dword s16, s[2:3], 0x0
	s_waitcnt lgkmcnt(0)
	s_ashr_i32 s17, s16, 31
	s_lshl_b64 s[10:11], s[16:17], 2
	s_add_u32 s2, s12, s10
	s_addc_u32 s3, s13, s11
	s_load_dword s33, s[2:3], 0x0
	s_load_dword s17, s[0:1], 0x48
	s_waitcnt lgkmcnt(0)
	s_cmp_lg_u32 s33, -1
	s_cbranch_scc0 .LBB10_146
; %bb.1:
	s_load_dwordx4 s[20:23], s[0:1], 0x10
	s_load_dwordx2 s[24:25], s[0:1], 0x20
	v_lshlrev_b32_e32 v8, 2, v0
	v_lshlrev_b32_e32 v7, 2, v6
	s_waitcnt lgkmcnt(0)
	s_add_u32 s2, s20, s10
	s_addc_u32 s3, s21, s11
	s_load_dword s2, s[2:3], 0x0
	s_waitcnt lgkmcnt(0)
	s_sub_i32 s50, s2, s17
	v_add3_u32 v2, v8, v6, s50
	v_cmp_ge_i32_e32 vcc, s33, v2
	s_and_saveexec_b64 s[2:3], vcc
	s_cbranch_execz .LBB10_4
; %bb.2:
	v_lshlrev_b32_e32 v1, 4, v0
	v_lshlrev_b32_e32 v3, 2, v6
	s_movk_i32 s4, 0x1200
	v_add3_u32 v1, v1, v3, s4
	s_mov_b64 s[4:5], 0
.LBB10_3:                               ; =>This Inner Loop Header: Depth=1
	v_ashrrev_i32_e32 v3, 31, v2
	v_lshl_add_u64 v[4:5], v[2:3], 2, s[22:23]
	global_load_dword v3, v[4:5], off
	v_add_u32_e32 v2, 64, v2
	v_cmp_lt_i32_e32 vcc, s33, v2
	s_or_b64 s[4:5], vcc, s[4:5]
	s_waitcnt vmcnt(0)
	v_subrev_u32_e32 v3, s17, v3
	ds_write_b32 v1, v3
	v_add_u32_e32 v1, 0x100, v1
	s_andn2_b64 exec, exec, s[4:5]
	s_cbranch_execnz .LBB10_3
.LBB10_4:
	s_or_b64 exec, exec, s[2:3]
	v_cmp_gt_u32_e32 vcc, 16, v6
	s_and_saveexec_b64 s[4:5], vcc
	s_cbranch_execz .LBB10_11
; %bb.5:
	v_sub_u32_e64 v1, 12, v6 clamp
	v_add_u32_e32 v1, 3, v1
	v_lshrrev_b32_e32 v2, 2, v1
	v_add_u32_e32 v1, 2, v2
	v_mul_u32_u24_e32 v4, 0x44, v0
	v_lshlrev_b32_e32 v5, 2, v6
	s_movk_i32 s2, 0xcc0
	s_mov_b32 s6, 0
	v_and_b32_e32 v3, 14, v1
	v_mov_b32_e32 v1, v2
	v_add3_u32 v4, v4, v5, s2
	s_mov_b32 s7, 1
	s_mov_b64 s[8:9], 0
	v_mov_b32_e32 v5, 0
	s_mov_b32 s26, s6
	s_branch .LBB10_7
.LBB10_6:                               ;   in Loop: Header=BB10_7 Depth=1
	s_or_b64 exec, exec, s[2:3]
	s_add_i32 s26, s26, 2
	v_cmp_eq_u32_e32 vcc, s26, v3
	s_or_b64 s[8:9], vcc, s[8:9]
	v_add_u32_e32 v4, 32, v4
	s_andn2_b64 exec, exec, s[8:9]
	s_cbranch_execz .LBB10_11
.LBB10_7:                               ; =>This Inner Loop Header: Depth=1
	s_mov_b32 s27, s26
	s_or_b64 s[2:3], s[26:27], s[6:7]
	v_cmp_le_u32_e32 vcc, s3, v1
	v_cmp_le_u32_e64 s[2:3], s2, v2
	s_and_saveexec_b64 s[28:29], s[2:3]
; %bb.8:                                ;   in Loop: Header=BB10_7 Depth=1
	ds_write_b32 v4, v5
; %bb.9:                                ;   in Loop: Header=BB10_7 Depth=1
	s_or_b64 exec, exec, s[28:29]
	s_and_saveexec_b64 s[2:3], vcc
	s_cbranch_execz .LBB10_6
; %bb.10:                               ;   in Loop: Header=BB10_7 Depth=1
	ds_write_b32 v4, v5 offset:16
	s_branch .LBB10_6
.LBB10_11:
	s_or_b64 exec, exec, s[4:5]
	s_load_dword s48, s[0:1], 0x8
	s_load_dword s49, s[0:1], 0x0
	s_cmp_ge_i32 s50, s33
	s_waitcnt lgkmcnt(0)
	v_cmp_gt_i32_e64 s[0:1], s48, v6
	v_xad_u32 v1, v6, -1, s48
	s_cbranch_scc1 .LBB10_100
; %bb.12:
	s_movk_i32 s51, 0x44
	v_mov_b32_e32 v3, 0x440
	v_mad_u32_u24 v10, v0, s51, v3
	v_or_b32_e32 v3, v6, v0
	v_cmp_ne_u32_e64 s[4:5], 0, v3
	v_lshrrev_b32_e32 v3, 2, v1
	v_add_u32_e32 v3, 1, v3
	s_cmp_lg_u32 s49, 0
	v_mov_b32_e32 v2, 0x880
	v_and_b32_e32 v12, 0x7ffffffc, v3
	v_lshlrev_b32_e32 v14, 2, v6
	s_mul_i32 s30, s48, s50
	s_cselect_b64 s[26:27], -1, 0
	v_mad_u32_u24 v9, v0, s51, v2
	s_cmp_gt_i32 s48, 0
	v_cmp_ne_u32_e64 s[8:9], v3, v12
	v_mad_u32_u24 v15, v0, s51, v14
	v_add_u32_e32 v3, s30, v0
	v_mad_u32_u24 v20, v6, s51, v2
	v_mov_b32_e32 v2, 0xcc0
	v_cmp_gt_i32_e64 s[2:3], s48, v0
	s_mul_i32 s52, s48, s48
	v_mul_lo_u32 v11, s48, v0
	s_cselect_b64 s[28:29], -1, 0
	v_cmp_lt_u32_e64 s[6:7], 11, v1
	v_lshl_add_u32 v13, v12, 2, v6
	v_add_u32_e32 v16, 0x440, v15
	v_mul_lo_u32 v18, s48, v3
	v_mul_lo_u32 v17, v6, s48
	s_lshl_b32 s53, s48, 2
	v_mul_u32_u24_e32 v19, 0x44, v6
	v_add_u32_e32 v21, 0xcc0, v15
	v_mad_u32_u24 v22, v0, s51, v2
	v_add_u32_e32 v23, 0x880, v15
	v_mov_b32_e32 v24, 0
	s_mov_b32 s30, s50
	s_branch .LBB10_14
.LBB10_13:                              ;   in Loop: Header=BB10_14 Depth=1
	s_or_b64 exec, exec, s[34:35]
	s_add_i32 s30, s30, 1
	s_cmp_ge_i32 s30, s33
	buffer_wbl2 sc1
	s_waitcnt vmcnt(0)
	buffer_inv sc1
	v_add_u32_e32 v18, s52, v18
	s_cselect_b64 s[34:35], -1, 0
	s_and_b64 vcc, exec, s[34:35]
	s_cbranch_vccnz .LBB10_100
.LBB10_14:                              ; =>This Loop Header: Depth=1
                                        ;     Child Loop BB10_18 Depth 2
                                        ;     Child Loop BB10_30 Depth 2
	;; [unrolled: 1-line block ×5, first 2 shown]
                                        ;       Child Loop BB10_60 Depth 3
                                        ;     Child Loop BB10_74 Depth 2
                                        ;       Child Loop BB10_79 Depth 3
                                        ;       Child Loop BB10_83 Depth 3
                                        ;       Child Loop BB10_89 Depth 3
                                        ;     Child Loop BB10_95 Depth 2
	s_ashr_i32 s31, s30, 31
	s_lshl_b64 s[34:35], s[30:31], 2
	s_add_u32 s34, s22, s34
	s_addc_u32 s35, s23, s35
	s_load_dword s54, s[34:35], 0x0
	s_waitcnt lgkmcnt(0)
	s_sub_i32 s36, s54, s17
	s_ashr_i32 s37, s36, 31
	s_lshl_b64 s[34:35], s[36:37], 2
	s_add_u32 s38, s12, s34
	s_addc_u32 s39, s13, s35
	s_load_dword s37, s[38:39], 0x0
	s_waitcnt lgkmcnt(0)
	s_cmp_eq_u32 s37, -1
	s_cbranch_scc1 .LBB10_99
; %bb.15:                               ;   in Loop: Header=BB10_14 Depth=1
	s_add_u32 s38, s20, s34
	s_addc_u32 s39, s21, s35
	s_load_dword s55, s[38:39], 0x0
	s_mul_i32 s31, s30, s48
	s_and_saveexec_b64 s[38:39], s[0:1]
	s_cbranch_execz .LBB10_28
; %bb.16:                               ;   in Loop: Header=BB10_14 Depth=1
	s_mov_b64 s[40:41], 0
	v_mov_b32_e32 v4, v16
	v_mov_b32_e32 v5, v6
	s_branch .LBB10_18
.LBB10_17:                              ;   in Loop: Header=BB10_18 Depth=2
	s_or_b64 exec, exec, s[44:45]
	v_add_u32_e32 v5, 4, v5
	v_cmp_le_i32_e32 vcc, s48, v5
	s_waitcnt vmcnt(0)
	ds_write_b32 v4, v3 offset:1088
	ds_write_b32 v4, v24
	s_or_b64 s[40:41], vcc, s[40:41]
	v_add_u32_e32 v4, 16, v4
	s_andn2_b64 exec, exec, s[40:41]
	s_cbranch_execz .LBB10_28
.LBB10_18:                              ;   Parent Loop BB10_14 Depth=1
                                        ; =>  This Inner Loop Header: Depth=2
	s_and_b64 vcc, exec, s[26:27]
	s_cbranch_vccz .LBB10_25
; %bb.19:                               ;   in Loop: Header=BB10_18 Depth=2
	s_mov_b64 s[44:45], 0
	s_mov_b64 s[42:43], 0
                                        ; implicit-def: $vgpr2
	s_and_saveexec_b64 s[46:47], s[2:3]
	s_xor_b64 s[46:47], exec, s[46:47]
; %bb.20:                               ;   in Loop: Header=BB10_18 Depth=2
	v_add_u32_e32 v2, s31, v5
	s_mov_b64 s[42:43], exec
	v_mad_u64_u32 v[2:3], s[56:57], v2, s48, v[0:1]
; %bb.21:                               ;   in Loop: Header=BB10_18 Depth=2
	s_or_b64 exec, exec, s[46:47]
	s_and_b64 vcc, exec, s[44:45]
	s_cbranch_vccz .LBB10_26
.LBB10_22:                              ;   in Loop: Header=BB10_18 Depth=2
                                        ; implicit-def: $vgpr2
	s_and_saveexec_b64 s[44:45], s[2:3]
; %bb.23:                               ;   in Loop: Header=BB10_18 Depth=2
	v_add_u32_e32 v2, v18, v5
	s_or_b64 s[42:43], s[42:43], exec
; %bb.24:                               ;   in Loop: Header=BB10_18 Depth=2
	s_or_b64 exec, exec, s[44:45]
	v_mov_b32_e32 v3, 0
	s_and_saveexec_b64 s[44:45], s[42:43]
	s_cbranch_execz .LBB10_17
	s_branch .LBB10_27
.LBB10_25:                              ;   in Loop: Header=BB10_18 Depth=2
	s_mov_b64 s[42:43], 0
                                        ; implicit-def: $vgpr2
	s_cbranch_execnz .LBB10_22
.LBB10_26:                              ;   in Loop: Header=BB10_18 Depth=2
	v_mov_b32_e32 v3, 0
	s_and_saveexec_b64 s[44:45], s[42:43]
	s_cbranch_execz .LBB10_17
.LBB10_27:                              ;   in Loop: Header=BB10_18 Depth=2
	v_ashrrev_i32_e32 v3, 31, v2
	v_lshl_add_u64 v[2:3], v[2:3], 2, s[24:25]
	global_load_dword v3, v[2:3], off
	s_branch .LBB10_17
.LBB10_28:                              ;   in Loop: Header=BB10_14 Depth=1
	s_or_b64 exec, exec, s[38:39]
	ds_read_b32 v2, v24 offset:4608
	s_waitcnt lgkmcnt(0)
	s_sub_i32 s38, s55, s17
	s_cmp_le_i32 s38, s37
	s_cselect_b64 s[40:41], -1, 0
	s_mov_b32 s44, 0
	v_cmp_ge_i32_e32 vcc, s36, v2
	s_and_b64 s[40:41], s[40:41], vcc
	s_andn2_b64 vcc, exec, s[40:41]
	s_cbranch_vccnz .LBB10_40
; %bb.29:                               ;   in Loop: Header=BB10_14 Depth=1
	s_mov_b32 s42, 0
	s_mov_b32 s43, 0
.LBB10_30:                              ;   Parent Loop BB10_14 Depth=1
                                        ; =>  This Inner Loop Header: Depth=2
	s_ashr_i32 s39, s38, 31
	s_lshl_b64 s[40:41], s[38:39], 2
	s_add_u32 s40, s22, s40
	s_addc_u32 s41, s23, s41
	s_load_dword s39, s[40:41], 0x0
	s_lshl_b32 s40, s43, 2
	v_mov_b32_e32 v2, s40
	ds_read_b32 v2, v2 offset:4608
	s_mov_b64 s[40:41], -1
	s_waitcnt lgkmcnt(0)
	s_sub_i32 s47, s39, s17
                                        ; implicit-def: $sgpr44
                                        ; implicit-def: $sgpr46
                                        ; implicit-def: $sgpr45
	v_cmp_ge_i32_e32 vcc, s47, v2
	v_readfirstlane_b32 s39, v2
	s_cbranch_vccz .LBB10_36
; %bb.31:                               ;   in Loop: Header=BB10_30 Depth=2
	s_cmp_le_i32 s47, s39
                                        ; implicit-def: $sgpr44
                                        ; implicit-def: $sgpr46
                                        ; implicit-def: $sgpr45
	s_cbranch_scc0 .LBB10_33
; %bb.32:                               ;   in Loop: Header=BB10_30 Depth=2
	s_add_i32 s40, s43, s50
	s_mul_i32 s40, s40, s52
	s_lshl_b32 s41, s42, 2
	v_mov_b32_e32 v2, s41
	v_mov_b32_e32 v3, s40
	s_mul_i32 s40, s38, s52
	v_mov_b32_e32 v4, s40
	v_add_u32_e32 v2, 0x1000, v2
	ds_write2_b32 v2, v4, v3 offset0:64 offset1:96
	s_add_i32 s45, s43, 1
	s_add_i32 s46, s38, 1
	;; [unrolled: 1-line block ×3, first 2 shown]
	s_mov_b64 s[40:41], 0
.LBB10_33:                              ;   in Loop: Header=BB10_30 Depth=2
	s_andn2_b64 vcc, exec, s[40:41]
	s_cbranch_vccnz .LBB10_35
; %bb.34:                               ;   in Loop: Header=BB10_30 Depth=2
	s_add_i32 s45, s43, 1
	s_mov_b32 s44, s42
	s_mov_b32 s46, s38
.LBB10_35:                              ;   in Loop: Header=BB10_30 Depth=2
	s_mov_b64 s[40:41], 0
.LBB10_36:                              ;   in Loop: Header=BB10_30 Depth=2
	s_andn2_b64 vcc, exec, s[40:41]
	s_cbranch_vccnz .LBB10_38
; %bb.37:                               ;   in Loop: Header=BB10_30 Depth=2
	s_add_i32 s46, s38, 1
	s_mov_b32 s45, s43
	s_mov_b32 s44, s42
.LBB10_38:                              ;   in Loop: Header=BB10_30 Depth=2
	s_cmp_le_i32 s46, s37
	s_cselect_b64 s[40:41], -1, 0
	s_cmp_le_i32 s39, s36
	s_cselect_b64 s[38:39], -1, 0
	s_and_b64 s[38:39], s[40:41], s[38:39]
	s_and_b64 vcc, exec, s[38:39]
	s_cbranch_vccz .LBB10_40
; %bb.39:                               ;   in Loop: Header=BB10_30 Depth=2
	s_mov_b32 s42, s44
	s_mov_b32 s38, s46
	;; [unrolled: 1-line block ×3, first 2 shown]
	s_branch .LBB10_30
.LBB10_40:                              ;   in Loop: Header=BB10_14 Depth=1
	s_add_u32 s34, s14, s34
	s_addc_u32 s35, s15, s35
	s_waitcnt lgkmcnt(0)
.LBB10_41:                              ;   Parent Loop BB10_14 Depth=1
                                        ; =>  This Inner Loop Header: Depth=2
	global_load_dword v2, v24, s[34:35] sc1
	s_waitcnt vmcnt(0)
	v_cmp_eq_u32_e32 vcc, 0, v2
	s_cbranch_vccnz .LBB10_41
; %bb.42:                               ;   in Loop: Header=BB10_14 Depth=1
	buffer_inv sc1
	s_and_saveexec_b64 s[34:35], s[0:1]
	s_cbranch_execz .LBB10_55
; %bb.43:                               ;   in Loop: Header=BB10_14 Depth=1
	s_mul_i32 s45, s37, s48
	v_add_u32_e32 v2, s45, v0
	v_mul_lo_u32 v4, v2, s48
	s_mov_b64 s[36:37], 0
	v_mov_b32_e32 v5, v15
	v_mov_b32_e32 v25, v6
	s_branch .LBB10_45
.LBB10_44:                              ;   in Loop: Header=BB10_45 Depth=2
	s_or_b64 exec, exec, s[40:41]
	v_add_u32_e32 v25, 4, v25
	v_cmp_le_i32_e32 vcc, s48, v25
	s_waitcnt vmcnt(0)
	ds_write_b32 v5, v3
	s_or_b64 s[36:37], vcc, s[36:37]
	v_add_u32_e32 v5, 16, v5
	s_andn2_b64 exec, exec, s[36:37]
	s_cbranch_execz .LBB10_55
.LBB10_45:                              ;   Parent Loop BB10_14 Depth=1
                                        ; =>  This Inner Loop Header: Depth=2
	s_and_b64 vcc, exec, s[26:27]
	s_cbranch_vccz .LBB10_52
; %bb.46:                               ;   in Loop: Header=BB10_45 Depth=2
	s_mov_b64 s[40:41], 0
	s_mov_b64 s[38:39], 0
                                        ; implicit-def: $vgpr2
	s_and_saveexec_b64 s[42:43], s[2:3]
	s_xor_b64 s[42:43], exec, s[42:43]
; %bb.47:                               ;   in Loop: Header=BB10_45 Depth=2
	v_add_u32_e32 v2, s45, v25
	s_mov_b64 s[38:39], exec
	v_mad_u64_u32 v[2:3], s[46:47], v2, s48, v[0:1]
; %bb.48:                               ;   in Loop: Header=BB10_45 Depth=2
	s_or_b64 exec, exec, s[42:43]
	s_and_b64 vcc, exec, s[40:41]
	s_cbranch_vccz .LBB10_53
.LBB10_49:                              ;   in Loop: Header=BB10_45 Depth=2
                                        ; implicit-def: $vgpr2
	s_and_saveexec_b64 s[40:41], s[2:3]
; %bb.50:                               ;   in Loop: Header=BB10_45 Depth=2
	v_add_u32_e32 v2, v4, v25
	s_or_b64 s[38:39], s[38:39], exec
; %bb.51:                               ;   in Loop: Header=BB10_45 Depth=2
	s_or_b64 exec, exec, s[40:41]
	v_mov_b32_e32 v3, 0
	s_and_saveexec_b64 s[40:41], s[38:39]
	s_cbranch_execz .LBB10_44
	s_branch .LBB10_54
.LBB10_52:                              ;   in Loop: Header=BB10_45 Depth=2
	s_mov_b64 s[38:39], 0
                                        ; implicit-def: $vgpr2
	s_cbranch_execnz .LBB10_49
.LBB10_53:                              ;   in Loop: Header=BB10_45 Depth=2
	v_mov_b32_e32 v3, 0
	s_and_saveexec_b64 s[40:41], s[38:39]
	s_cbranch_execz .LBB10_44
.LBB10_54:                              ;   in Loop: Header=BB10_45 Depth=2
	v_ashrrev_i32_e32 v3, 31, v2
	v_lshl_add_u64 v[2:3], v[2:3], 2, s[24:25]
	global_load_dword v3, v[2:3], off
	s_branch .LBB10_44
.LBB10_55:                              ;   in Loop: Header=BB10_14 Depth=1
	s_or_b64 exec, exec, s[34:35]
	s_cmp_lt_i32 s44, 2
	s_cbranch_scc1 .LBB10_71
; %bb.56:                               ;   in Loop: Header=BB10_14 Depth=1
	s_add_i32 s40, s44, -2
	s_mov_b32 s41, 0
	s_branch .LBB10_58
.LBB10_57:                              ;   in Loop: Header=BB10_58 Depth=2
	s_or_b64 exec, exec, s[34:35]
	s_add_i32 s34, s41, 1
	s_cmp_eq_u32 s41, s40
	s_mov_b32 s41, s34
	s_cbranch_scc1 .LBB10_71
.LBB10_58:                              ;   Parent Loop BB10_14 Depth=1
                                        ; =>  This Loop Header: Depth=2
                                        ;       Child Loop BB10_60 Depth 3
	s_and_saveexec_b64 s[34:35], s[0:1]
	s_cbranch_execz .LBB10_57
; %bb.59:                               ;   in Loop: Header=BB10_58 Depth=2
	s_lshl_b32 s36, s41, 2
	v_mov_b32_e32 v2, s36
	v_add_u32_e32 v2, 0x1000, v2
	ds_read2_b32 v[2:3], v2 offset0:64 offset1:96
	s_mov_b64 s[36:37], 0
	v_mov_b32_e32 v29, v6
	s_waitcnt lgkmcnt(0)
	v_add_u32_e32 v25, v3, v11
	v_add_u32_e32 v26, v0, v3
	;; [unrolled: 1-line block ×4, first 2 shown]
.LBB10_60:                              ;   Parent Loop BB10_14 Depth=1
                                        ;     Parent Loop BB10_58 Depth=2
                                        ; =>    This Inner Loop Header: Depth=3
	v_mov_b32_e32 v30, 0
	s_mov_b32 s42, 0
	v_mov_b32_e32 v2, v27
	v_mov_b32_e32 v4, v26
	s_and_b64 vcc, exec, s[26:27]
	s_cbranch_vccnz .LBB10_63
	s_branch .LBB10_62
.LBB10_61:                              ;   in Loop: Header=BB10_60 Depth=3
	v_mov_b32_e32 v30, v3
	s_and_b64 vcc, exec, s[26:27]
	s_cbranch_vccnz .LBB10_63
.LBB10_62:                              ;   in Loop: Header=BB10_60 Depth=3
                                        ; implicit-def: $vgpr3
	s_cbranch_execz .LBB10_69
	s_branch .LBB10_66
.LBB10_63:                              ;   in Loop: Header=BB10_60 Depth=3
	v_ashrrev_i32_e32 v3, 31, v2
	v_lshl_add_u64 v[32:33], v[2:3], 2, s[24:25]
	global_load_dword v3, v[32:33], off
	v_mov_b32_e32 v5, 0
	s_and_saveexec_b64 s[38:39], s[2:3]
	s_cbranch_execz .LBB10_65
; %bb.64:                               ;   in Loop: Header=BB10_60 Depth=3
	v_ashrrev_i32_e32 v5, 31, v4
	v_lshl_add_u64 v[32:33], v[4:5], 2, s[24:25]
	global_load_dword v5, v[32:33], off
.LBB10_65:                              ;   in Loop: Header=BB10_60 Depth=3
	s_or_b64 exec, exec, s[38:39]
	s_waitcnt vmcnt(0)
	v_fma_f32 v3, v3, v5, v30
	s_branch .LBB10_69
.LBB10_66:                              ;   in Loop: Header=BB10_60 Depth=3
	v_add_u32_e32 v32, s42, v28
	v_ashrrev_i32_e32 v33, 31, v32
	v_lshl_add_u64 v[32:33], v[32:33], 2, s[24:25]
	global_load_dword v3, v[32:33], off
	v_mov_b32_e32 v5, 0
	s_and_saveexec_b64 s[38:39], s[2:3]
	s_cbranch_execz .LBB10_68
; %bb.67:                               ;   in Loop: Header=BB10_60 Depth=3
	v_add_u32_e32 v32, s42, v25
	v_ashrrev_i32_e32 v33, 31, v32
	v_lshl_add_u64 v[32:33], v[32:33], 2, s[24:25]
	global_load_dword v5, v[32:33], off
.LBB10_68:                              ;   in Loop: Header=BB10_60 Depth=3
	s_or_b64 exec, exec, s[38:39]
	s_waitcnt vmcnt(0)
	v_fmac_f32_e32 v30, v3, v5
	v_mov_b32_e32 v3, v30
.LBB10_69:                              ;   in Loop: Header=BB10_60 Depth=3
	s_add_i32 s42, s42, 1
	v_add_u32_e32 v4, s48, v4
	s_cmp_eq_u32 s48, s42
	v_add_u32_e32 v2, s48, v2
	s_cbranch_scc0 .LBB10_61
; %bb.70:                               ;   in Loop: Header=BB10_60 Depth=3
	v_lshl_add_u32 v2, v29, 2, v10
	ds_read_b32 v4, v2
	v_add_u32_e32 v29, 4, v29
	v_cmp_le_i32_e32 vcc, s48, v29
	v_add_u32_e32 v27, 4, v27
	s_or_b64 s[36:37], vcc, s[36:37]
	s_waitcnt lgkmcnt(0)
	v_add_f32_e32 v3, v3, v4
	v_add_u32_e32 v28, s53, v28
	ds_write_b32 v2, v3
	s_andn2_b64 exec, exec, s[36:37]
	s_cbranch_execnz .LBB10_60
	s_branch .LBB10_57
.LBB10_71:                              ;   in Loop: Header=BB10_14 Depth=1
	s_andn2_b64 vcc, exec, s[28:29]
	s_waitcnt lgkmcnt(0)
	s_cbranch_vccnz .LBB10_90
; %bb.72:                               ;   in Loop: Header=BB10_14 Depth=1
	s_mov_b32 s42, 0
	s_movk_i32 s43, 0x880
	v_mov_b32_e32 v27, s54
	v_mov_b32_e32 v4, v20
	s_mov_b32 s44, 0
	s_branch .LBB10_74
.LBB10_73:                              ;   in Loop: Header=BB10_74 Depth=2
	s_or_b64 exec, exec, s[34:35]
	s_add_i32 s44, s44, 1
	s_addk_i32 s42, 0x44
	s_add_i32 s43, s43, 4
	s_cmp_eq_u32 s44, s48
	v_add_u32_e32 v4, 4, v4
	s_waitcnt lgkmcnt(0)
	s_cbranch_scc1 .LBB10_90
.LBB10_74:                              ;   Parent Loop BB10_14 Depth=1
                                        ; =>  This Loop Header: Depth=2
                                        ;       Child Loop BB10_79 Depth 3
                                        ;       Child Loop BB10_83 Depth 3
	;; [unrolled: 1-line block ×3, first 2 shown]
	s_lshl_b32 s34, s44, 2
	s_mul_i32 s35, s44, 0x44
	s_add_i32 s35, s35, s34
	v_mov_b32_e32 v2, s35
	ds_read_b32 v5, v2
	v_add_u32_e32 v3, s34, v9
	ds_read_b32 v2, v3
	s_waitcnt lgkmcnt(1)
	v_cmp_neq_f32_e32 vcc, 0, v5
	s_nop 1
	v_cndmask_b32_e32 v5, 1.0, v5, vcc
	s_nor_b64 s[36:37], vcc, s[4:5]
	s_and_saveexec_b64 s[34:35], s[36:37]
	s_cbranch_execz .LBB10_78
; %bb.75:                               ;   in Loop: Header=BB10_74 Depth=2
	v_mbcnt_lo_u32_b32 v5, exec_lo, 0
	v_mbcnt_hi_u32_b32 v5, exec_hi, v5
	v_cmp_eq_u32_e32 vcc, 0, v5
	s_and_saveexec_b64 s[36:37], vcc
	s_cbranch_execz .LBB10_77
; %bb.76:                               ;   in Loop: Header=BB10_74 Depth=2
	global_atomic_smin v24, v27, s[18:19]
.LBB10_77:                              ;   in Loop: Header=BB10_74 Depth=2
	s_or_b64 exec, exec, s[36:37]
	v_mov_b32_e32 v5, 1.0
.LBB10_78:                              ;   in Loop: Header=BB10_74 Depth=2
	s_or_b64 exec, exec, s[34:35]
	v_lshl_add_u32 v25, s44, 2, v10
	ds_read_b32 v25, v25
	s_cmp_eq_u32 s44, 0
	v_mov_b32_e32 v26, v9
	s_mov_b32 s34, s42
	s_mov_b32 s35, s44
	s_cbranch_scc1 .LBB10_80
.LBB10_79:                              ;   Parent Loop BB10_14 Depth=1
                                        ;     Parent Loop BB10_74 Depth=2
                                        ; =>    This Inner Loop Header: Depth=3
	v_mov_b32_e32 v28, s34
	ds_read_b32 v29, v26
	ds_read_b32 v28, v28
	s_add_i32 s35, s35, -1
	s_add_i32 s34, s34, 4
	v_add_u32_e32 v26, 4, v26
	s_cmp_eq_u32 s35, 0
	s_waitcnt lgkmcnt(0)
	v_fmac_f32_e32 v25, v28, v29
	s_cbranch_scc0 .LBB10_79
.LBB10_80:                              ;   in Loop: Header=BB10_74 Depth=2
	s_waitcnt lgkmcnt(0)
	v_sub_f32_e32 v2, v2, v25
	v_div_scale_f32 v25, s[34:35], v5, v5, v2
	v_rcp_f32_e32 v26, v25
	v_div_scale_f32 v28, vcc, v2, v5, v2
	v_fma_f32 v29, -v25, v26, 1.0
	v_fmac_f32_e32 v26, v29, v26
	v_mul_f32_e32 v29, v28, v26
	v_fma_f32 v30, -v25, v29, v28
	v_fmac_f32_e32 v29, v30, v26
	v_fma_f32 v25, -v25, v29, v28
	v_div_fmas_f32 v25, v25, v26, v29
	v_div_fixup_f32 v2, v25, v5, v2
	ds_write_b32 v3, v2
	s_waitcnt lgkmcnt(0)
	s_and_saveexec_b64 s[34:35], s[0:1]
	s_cbranch_execz .LBB10_73
; %bb.81:                               ;   in Loop: Header=BB10_74 Depth=2
	s_mov_b64 s[38:39], -1
	v_mov_b32_e32 v3, v6
	v_mov_b32_e32 v5, v14
	v_mov_b32_e32 v25, v19
	s_and_saveexec_b64 s[36:37], s[6:7]
	s_cbranch_execz .LBB10_87
; %bb.82:                               ;   in Loop: Header=BB10_74 Depth=2
	v_mov_b32_e32 v3, v2
	s_mov_b64 s[38:39], 0
	v_mov_b32_e32 v5, v12
	v_mov_b32_e32 v25, v21
	;; [unrolled: 1-line block ×3, first 2 shown]
.LBB10_83:                              ;   Parent Loop BB10_14 Depth=1
                                        ;     Parent Loop BB10_74 Depth=2
                                        ; =>    This Inner Loop Header: Depth=3
	ds_read2_b32 v[28:29], v26 offset1:68
	ds_read2_b32 v[30:31], v26 offset0:136 offset1:204
	ds_read2_b32 v[32:33], v25 offset1:4
	ds_read2_b32 v[34:35], v25 offset0:8 offset1:12
	v_add_u32_e32 v5, -4, v5
	v_cmp_eq_u32_e32 vcc, 0, v5
	v_add_u32_e32 v26, 0x440, v26
	s_waitcnt lgkmcnt(1)
	v_pk_fma_f32 v[28:29], v[2:3], v[28:29], v[32:33]
	s_waitcnt lgkmcnt(0)
	v_pk_fma_f32 v[30:31], v[2:3], v[30:31], v[34:35]
	ds_write2_b32 v25, v28, v29 offset1:4
	ds_write2_b32 v25, v30, v31 offset0:8 offset1:12
	s_or_b64 s[38:39], vcc, s[38:39]
	v_add_u32_e32 v25, 64, v25
	s_andn2_b64 exec, exec, s[38:39]
	s_cbranch_execnz .LBB10_83
; %bb.84:                               ;   in Loop: Header=BB10_74 Depth=2
	s_or_b64 exec, exec, s[38:39]
	s_mov_b64 s[38:39], 0
                                        ; implicit-def: $vgpr5
                                        ; implicit-def: $vgpr25
	s_and_saveexec_b64 s[40:41], s[8:9]
; %bb.85:                               ;   in Loop: Header=BB10_74 Depth=2
	s_mov_b64 s[38:39], exec
	v_lshlrev_b32_e32 v5, 2, v13
	v_mul_lo_u32 v25, v13, s51
; %bb.86:                               ;   in Loop: Header=BB10_74 Depth=2
	s_or_b64 exec, exec, s[40:41]
	s_orn2_b64 s[38:39], s[38:39], exec
	v_mov_b32_e32 v3, v13
.LBB10_87:                              ;   in Loop: Header=BB10_74 Depth=2
	s_or_b64 exec, exec, s[36:37]
	s_and_b64 exec, exec, s[38:39]
	s_cbranch_execz .LBB10_73
; %bb.88:                               ;   in Loop: Header=BB10_74 Depth=2
	v_add_u32_e32 v5, v22, v5
	v_add_u32_e32 v25, s43, v25
	s_mov_b64 s[36:37], 0
.LBB10_89:                              ;   Parent Loop BB10_14 Depth=1
                                        ;     Parent Loop BB10_74 Depth=2
                                        ; =>    This Inner Loop Header: Depth=3
	ds_read_b32 v26, v25
	ds_read_b32 v28, v5
	v_add_u32_e32 v3, 4, v3
	v_cmp_le_i32_e32 vcc, s48, v3
	s_or_b64 s[36:37], vcc, s[36:37]
	v_add_u32_e32 v25, 0x110, v25
	s_waitcnt lgkmcnt(0)
	v_fmac_f32_e32 v28, v2, v26
	ds_write_b32 v5, v28
	v_add_u32_e32 v5, 16, v5
	s_andn2_b64 exec, exec, s[36:37]
	s_cbranch_execnz .LBB10_89
	s_branch .LBB10_73
.LBB10_90:                              ;   in Loop: Header=BB10_14 Depth=1
	s_and_saveexec_b64 s[34:35], s[0:1]
	s_cbranch_execz .LBB10_13
; %bb.91:                               ;   in Loop: Header=BB10_14 Depth=1
	s_mov_b64 s[36:37], 0
	v_mov_b32_e32 v4, v23
	v_mov_b32_e32 v5, v6
	s_branch .LBB10_95
.LBB10_92:                              ;   in Loop: Header=BB10_95 Depth=2
	v_add_u32_e32 v2, v18, v5
.LBB10_93:                              ;   in Loop: Header=BB10_95 Depth=2
	v_ashrrev_i32_e32 v3, 31, v2
	v_lshl_add_u64 v[2:3], v[2:3], 2, s[24:25]
	s_waitcnt lgkmcnt(0)
	global_store_dword v[2:3], v25, off
.LBB10_94:                              ;   in Loop: Header=BB10_95 Depth=2
	s_or_b64 exec, exec, s[38:39]
	v_add_u32_e32 v5, 4, v5
	v_cmp_le_i32_e32 vcc, s48, v5
	s_or_b64 s[36:37], vcc, s[36:37]
	v_add_u32_e32 v4, 16, v4
	s_andn2_b64 exec, exec, s[36:37]
	s_cbranch_execz .LBB10_13
.LBB10_95:                              ;   Parent Loop BB10_14 Depth=1
                                        ; =>  This Inner Loop Header: Depth=2
	s_and_saveexec_b64 s[38:39], s[2:3]
	s_cbranch_execz .LBB10_94
; %bb.96:                               ;   in Loop: Header=BB10_95 Depth=2
	ds_read_b32 v25, v4
	s_and_b64 vcc, exec, s[26:27]
	s_cbranch_vccz .LBB10_98
; %bb.97:                               ;   in Loop: Header=BB10_95 Depth=2
	v_add_u32_e32 v2, s31, v5
	v_mad_u64_u32 v[2:3], s[40:41], v2, s48, v[0:1]
	s_cbranch_execnz .LBB10_93
	s_branch .LBB10_92
.LBB10_98:                              ;   in Loop: Header=BB10_95 Depth=2
                                        ; implicit-def: $vgpr2
	s_branch .LBB10_92
.LBB10_99:                              ;   in Loop: Header=BB10_14 Depth=1
                                        ; implicit-def: $sgpr30
                                        ; implicit-def: $vgpr18
	s_cbranch_execz .LBB10_14
.LBB10_100:
	v_cmp_gt_i32_e64 s[0:1], s48, v6
	s_and_saveexec_b64 s[4:5], s[0:1]
	s_cbranch_execz .LBB10_113
; %bb.101:
	s_mul_i32 s26, s33, s48
	v_add_u32_e32 v2, s26, v0
	s_cmp_lg_u32 s49, 0
	v_mul_lo_u32 v4, v2, s48
	v_mul_u32_u24_e32 v2, 0x44, v0
	v_lshlrev_b32_e32 v3, 2, v6
	s_movk_i32 s8, 0x880
	s_cselect_b64 s[6:7], -1, 0
	v_cmp_gt_i32_e64 s[2:3], s48, v0
	v_add3_u32 v5, v2, v3, s8
	s_mov_b64 s[8:9], 0
	v_mov_b32_e32 v9, v6
	s_branch .LBB10_103
.LBB10_102:                             ;   in Loop: Header=BB10_103 Depth=1
	s_or_b64 exec, exec, s[20:21]
	v_add_u32_e32 v9, 4, v9
	v_cmp_le_i32_e32 vcc, s48, v9
	s_waitcnt vmcnt(0)
	ds_write_b32 v5, v3
	s_or_b64 s[8:9], vcc, s[8:9]
	v_add_u32_e32 v5, 16, v5
	s_andn2_b64 exec, exec, s[8:9]
	s_cbranch_execz .LBB10_113
.LBB10_103:                             ; =>This Inner Loop Header: Depth=1
	s_and_b64 vcc, exec, s[6:7]
	s_cbranch_vccz .LBB10_110
; %bb.104:                              ;   in Loop: Header=BB10_103 Depth=1
	s_mov_b64 s[20:21], 0
	s_mov_b64 s[12:13], 0
                                        ; implicit-def: $vgpr2
	s_and_saveexec_b64 s[22:23], s[2:3]
	s_xor_b64 s[22:23], exec, s[22:23]
; %bb.105:                              ;   in Loop: Header=BB10_103 Depth=1
	v_add_u32_e32 v2, s26, v9
	s_mov_b64 s[12:13], exec
	v_mad_u64_u32 v[2:3], s[28:29], v2, s48, v[0:1]
; %bb.106:                              ;   in Loop: Header=BB10_103 Depth=1
	s_or_b64 exec, exec, s[22:23]
	s_and_b64 vcc, exec, s[20:21]
	s_cbranch_vccz .LBB10_111
.LBB10_107:                             ;   in Loop: Header=BB10_103 Depth=1
                                        ; implicit-def: $vgpr2
	s_and_saveexec_b64 s[20:21], s[2:3]
; %bb.108:                              ;   in Loop: Header=BB10_103 Depth=1
	v_add_u32_e32 v2, v4, v9
	s_or_b64 s[12:13], s[12:13], exec
; %bb.109:                              ;   in Loop: Header=BB10_103 Depth=1
	s_or_b64 exec, exec, s[20:21]
	v_mov_b32_e32 v3, 0
	s_and_saveexec_b64 s[20:21], s[12:13]
	s_cbranch_execz .LBB10_102
	s_branch .LBB10_112
.LBB10_110:                             ;   in Loop: Header=BB10_103 Depth=1
	s_mov_b64 s[12:13], 0
                                        ; implicit-def: $vgpr2
	s_cbranch_execnz .LBB10_107
.LBB10_111:                             ;   in Loop: Header=BB10_103 Depth=1
	v_mov_b32_e32 v3, 0
	s_and_saveexec_b64 s[20:21], s[12:13]
	s_cbranch_execz .LBB10_102
.LBB10_112:                             ;   in Loop: Header=BB10_103 Depth=1
	v_ashrrev_i32_e32 v3, 31, v2
	v_lshl_add_u64 v[2:3], v[2:3], 2, s[24:25]
	global_load_dword v3, v[2:3], off
	s_branch .LBB10_102
.LBB10_113:
	s_or_b64 exec, exec, s[4:5]
	s_cmp_lt_i32 s48, 1
	s_waitcnt lgkmcnt(0)
	s_cbranch_scc1 .LBB10_133
; %bb.114:
	v_lshrrev_b32_e32 v10, 2, v1
	v_or_b32_e32 v5, v6, v0
	v_add_u32_e32 v11, 1, v10
	s_movk_i32 s8, 0x44
	v_mov_b32_e32 v2, 0x880
	v_cmp_ne_u32_e64 s[2:3], 0, v5
	v_mov_b32_e32 v5, 0xcc0
	v_cmp_lt_u32_e64 s[4:5], 11, v1
	v_and_b32_e32 v1, 0x7ffffffc, v11
	v_mad_u32_u24 v4, v0, s8, v2
	v_mul_u32_u24_e32 v3, 0x44, v0
	s_add_i32 s9, s16, s17
	s_movk_i32 s12, 0xcc0
	v_mad_u32_u24 v5, v0, s8, v5
	v_lshl_add_u32 v10, v1, 2, v6
	s_movk_i32 s26, 0x880
	s_mov_b32 s27, 0
	v_add_u32_e32 v9, v4, v8
	v_add_u32_e32 v8, v5, v8
	v_cmp_ne_u32_e64 s[6:7], v11, v1
	v_mul_u32_u24_e32 v11, 0x44, v6
	v_mad_u32_u24 v12, v6, s8, v2
	v_add3_u32 v13, v3, v7, s12
	s_mov_b32 s28, 0xf800000
	v_mov_b32_e32 v14, 0x260
	v_mov_b32_e32 v15, 0
	;; [unrolled: 1-line block ×3, first 2 shown]
	v_lshlrev_b32_e32 v16, 2, v10
	v_mul_lo_u32 v17, v10, s8
	s_branch .LBB10_116
.LBB10_115:                             ;   in Loop: Header=BB10_116 Depth=1
	s_or_b64 exec, exec, s[8:9]
	s_add_i32 s27, s27, 1
	s_add_i32 s26, s26, 4
	s_cmp_eq_u32 s27, s48
	v_add_u32_e32 v12, 4, v12
	s_waitcnt lgkmcnt(0)
	s_cbranch_scc1 .LBB10_133
.LBB10_116:                             ; =>This Loop Header: Depth=1
                                        ;     Child Loop BB10_126 Depth 2
                                        ;     Child Loop BB10_132 Depth 2
	v_cmp_eq_u32_e32 vcc, s27, v0
	s_and_saveexec_b64 s[12:13], vcc
	s_cbranch_execz .LBB10_118
; %bb.117:                              ;   in Loop: Header=BB10_116 Depth=1
	ds_read_b32 v2, v9
	ds_read_b32 v3, v8
	s_waitcnt lgkmcnt(0)
	v_sub_f32_e32 v2, v2, v3
	v_cmp_gt_f32_e32 vcc, 0, v2
	s_nop 1
	v_cndmask_b32_e64 v2, v2, -v2, vcc
	v_mul_f32_e32 v3, 0x4f800000, v2
	v_cmp_gt_f32_e32 vcc, s28, v2
	s_nop 1
	v_cndmask_b32_e32 v2, v2, v3, vcc
	v_sqrt_f32_e32 v3, v2
	s_nop 0
	v_add_u32_e32 v18, -1, v3
	v_add_u32_e32 v19, 1, v3
	v_fma_f32 v20, -v18, v3, v2
	v_fma_f32 v22, -v19, v3, v2
	v_cmp_ge_f32_e64 s[8:9], 0, v20
	s_nop 1
	v_cndmask_b32_e64 v3, v3, v18, s[8:9]
	v_cmp_lt_f32_e64 s[8:9], 0, v22
	s_nop 1
	v_cndmask_b32_e64 v3, v3, v19, s[8:9]
	v_mul_f32_e32 v18, 0x37800000, v3
	v_cndmask_b32_e32 v3, v3, v18, vcc
	v_cmp_class_f32_e32 vcc, v2, v14
	s_nop 1
	v_cndmask_b32_e32 v2, v3, v2, vcc
	ds_write_b32 v9, v2
.LBB10_118:                             ;   in Loop: Header=BB10_116 Depth=1
	s_or_b64 exec, exec, s[12:13]
	s_lshl_b32 s8, s27, 2
	s_mul_i32 s9, s27, 0x44
	s_add_i32 s9, s9, s8
	v_mov_b32_e32 v2, s9
	s_waitcnt lgkmcnt(0)
	ds_read_b32 v18, v2 offset:2176
	v_add_u32_e32 v3, s8, v4
	ds_read_b32 v2, v3
	s_waitcnt lgkmcnt(1)
	v_cmp_neq_f32_e32 vcc, 0, v18
	s_nop 1
	v_cndmask_b32_e32 v18, 1.0, v18, vcc
	s_nor_b64 s[12:13], vcc, s[2:3]
	s_and_saveexec_b64 s[8:9], s[12:13]
	s_cbranch_execz .LBB10_122
; %bb.119:                              ;   in Loop: Header=BB10_116 Depth=1
	v_mbcnt_lo_u32_b32 v18, exec_lo, 0
	v_mbcnt_hi_u32_b32 v18, exec_hi, v18
	v_cmp_eq_u32_e32 vcc, 0, v18
	s_and_saveexec_b64 s[12:13], vcc
	s_cbranch_execz .LBB10_121
; %bb.120:                              ;   in Loop: Header=BB10_116 Depth=1
	global_atomic_smin v15, v21, s[18:19]
.LBB10_121:                             ;   in Loop: Header=BB10_116 Depth=1
	s_or_b64 exec, exec, s[12:13]
	v_mov_b32_e32 v18, 1.0
.LBB10_122:                             ;   in Loop: Header=BB10_116 Depth=1
	s_or_b64 exec, exec, s[8:9]
	v_cmp_lt_u32_e32 vcc, s27, v0
	s_and_saveexec_b64 s[8:9], vcc
	s_cbranch_execz .LBB10_115
; %bb.123:                              ;   in Loop: Header=BB10_116 Depth=1
	v_lshl_add_u32 v19, s27, 2, v5
	ds_read_b32 v19, v19
	s_waitcnt lgkmcnt(0)
	v_sub_f32_e32 v2, v2, v19
	v_div_scale_f32 v19, s[12:13], v18, v18, v2
	v_rcp_f32_e32 v20, v19
	v_div_scale_f32 v22, vcc, v2, v18, v2
	v_fma_f32 v23, -v19, v20, 1.0
	v_fmac_f32_e32 v20, v23, v20
	v_mul_f32_e32 v23, v22, v20
	v_fma_f32 v24, -v19, v23, v22
	v_fmac_f32_e32 v23, v24, v20
	v_fma_f32 v19, -v19, v23, v22
	v_div_fmas_f32 v19, v19, v20, v23
	v_div_fixup_f32 v2, v19, v18, v2
	ds_write_b32 v3, v2
	s_waitcnt lgkmcnt(0)
	s_and_b64 exec, exec, s[0:1]
	s_cbranch_execz .LBB10_115
; %bb.124:                              ;   in Loop: Header=BB10_116 Depth=1
	s_mov_b64 s[20:21], -1
	v_mov_b32_e32 v3, v6
	v_mov_b32_e32 v18, v7
	;; [unrolled: 1-line block ×3, first 2 shown]
	s_and_saveexec_b64 s[12:13], s[4:5]
	s_cbranch_execz .LBB10_130
; %bb.125:                              ;   in Loop: Header=BB10_116 Depth=1
	v_mov_b32_e32 v3, v2
	s_mov_b64 s[20:21], 0
	v_mov_b32_e32 v18, v1
	v_mov_b32_e32 v19, v13
	;; [unrolled: 1-line block ×3, first 2 shown]
.LBB10_126:                             ;   Parent Loop BB10_116 Depth=1
                                        ; =>  This Inner Loop Header: Depth=2
	ds_read2_b32 v[22:23], v20 offset1:68
	ds_read2_b32 v[24:25], v20 offset0:136 offset1:204
	ds_read2_b32 v[26:27], v19 offset1:4
	ds_read2_b32 v[28:29], v19 offset0:8 offset1:12
	v_add_u32_e32 v18, -4, v18
	v_cmp_eq_u32_e32 vcc, 0, v18
	v_add_u32_e32 v20, 0x440, v20
	s_waitcnt lgkmcnt(1)
	v_pk_fma_f32 v[22:23], v[2:3], v[22:23], v[26:27]
	s_waitcnt lgkmcnt(0)
	v_pk_fma_f32 v[24:25], v[2:3], v[24:25], v[28:29]
	ds_write2_b32 v19, v22, v23 offset1:4
	ds_write2_b32 v19, v24, v25 offset0:8 offset1:12
	s_or_b64 s[20:21], vcc, s[20:21]
	v_add_u32_e32 v19, 64, v19
	s_andn2_b64 exec, exec, s[20:21]
	s_cbranch_execnz .LBB10_126
; %bb.127:                              ;   in Loop: Header=BB10_116 Depth=1
	s_or_b64 exec, exec, s[20:21]
	s_mov_b64 s[20:21], 0
	s_and_saveexec_b64 s[22:23], s[6:7]
; %bb.128:                              ;   in Loop: Header=BB10_116 Depth=1
	s_mov_b64 s[20:21], exec
; %bb.129:                              ;   in Loop: Header=BB10_116 Depth=1
	s_or_b64 exec, exec, s[22:23]
	s_orn2_b64 s[20:21], s[20:21], exec
	v_mov_b32_e32 v3, v10
	v_mov_b32_e32 v18, v16
	;; [unrolled: 1-line block ×3, first 2 shown]
.LBB10_130:                             ;   in Loop: Header=BB10_116 Depth=1
	s_or_b64 exec, exec, s[12:13]
	s_and_b64 exec, exec, s[20:21]
	s_cbranch_execz .LBB10_115
; %bb.131:                              ;   in Loop: Header=BB10_116 Depth=1
	v_add_u32_e32 v18, v5, v18
	v_add_u32_e32 v19, s26, v19
	s_mov_b64 s[12:13], 0
.LBB10_132:                             ;   Parent Loop BB10_116 Depth=1
                                        ; =>  This Inner Loop Header: Depth=2
	ds_read_b32 v20, v19
	ds_read_b32 v22, v18
	v_add_u32_e32 v3, 4, v3
	v_cmp_le_i32_e32 vcc, s48, v3
	s_or_b64 s[12:13], vcc, s[12:13]
	v_add_u32_e32 v19, 0x110, v19
	s_waitcnt lgkmcnt(0)
	v_fmac_f32_e32 v22, v2, v20
	ds_write_b32 v18, v22
	v_add_u32_e32 v18, 16, v18
	s_andn2_b64 exec, exec, s[12:13]
	s_cbranch_execnz .LBB10_132
	s_branch .LBB10_115
.LBB10_133:
	s_and_saveexec_b64 s[2:3], s[0:1]
	s_cbranch_execz .LBB10_142
; %bb.134:
	s_mul_i32 s33, s33, s48
	s_cmp_lg_u32 s49, 0
	v_add_u32_e32 v1, s33, v0
	v_mul_u32_u24_e32 v2, 0x44, v0
	s_movk_i32 s6, 0x880
	v_cmp_gt_i32_e64 s[0:1], s48, v0
	s_cselect_b64 s[4:5], -1, 0
	v_mul_lo_u32 v1, v1, s48
	v_add3_u32 v4, v2, v7, s6
	s_mov_b64 s[6:7], 0
	v_mov_b32_e32 v5, v6
	s_branch .LBB10_138
.LBB10_135:                             ;   in Loop: Header=BB10_138 Depth=1
	v_add_u32_e32 v2, v1, v5
.LBB10_136:                             ;   in Loop: Header=BB10_138 Depth=1
	v_ashrrev_i32_e32 v3, 31, v2
	v_lshl_add_u64 v[2:3], v[2:3], 2, s[24:25]
	s_waitcnt lgkmcnt(0)
	global_store_dword v[2:3], v7, off
.LBB10_137:                             ;   in Loop: Header=BB10_138 Depth=1
	s_or_b64 exec, exec, s[8:9]
	v_add_u32_e32 v5, 4, v5
	v_cmp_le_i32_e32 vcc, s48, v5
	s_or_b64 s[6:7], vcc, s[6:7]
	v_add_u32_e32 v4, 16, v4
	s_andn2_b64 exec, exec, s[6:7]
	s_cbranch_execz .LBB10_142
.LBB10_138:                             ; =>This Inner Loop Header: Depth=1
	s_and_saveexec_b64 s[8:9], s[0:1]
	s_cbranch_execz .LBB10_137
; %bb.139:                              ;   in Loop: Header=BB10_138 Depth=1
	ds_read_b32 v7, v4
	s_and_b64 vcc, exec, s[4:5]
	s_cbranch_vccz .LBB10_141
; %bb.140:                              ;   in Loop: Header=BB10_138 Depth=1
	v_add_u32_e32 v2, s33, v5
	v_mad_u64_u32 v[2:3], s[12:13], v2, s48, v[0:1]
	s_cbranch_execnz .LBB10_136
	s_branch .LBB10_135
.LBB10_141:                             ;   in Loop: Header=BB10_138 Depth=1
                                        ; implicit-def: $vgpr2
	s_branch .LBB10_135
.LBB10_142:
	s_or_b64 exec, exec, s[2:3]
	v_or_b32_e32 v1, v6, v0
	v_cmp_eq_u32_e32 vcc, 0, v1
	s_and_saveexec_b64 s[0:1], vcc
	s_cbranch_execz .LBB10_144
; %bb.143:
	s_add_u32 s2, s14, s10
	s_addc_u32 s3, s15, s11
	v_mov_b32_e32 v1, 0
	v_mov_b32_e32 v2, 1
	buffer_wbl2 sc1
	s_waitcnt vmcnt(0)
	global_store_dword v1, v2, s[2:3] sc1
.LBB10_144:
	s_or_b64 exec, exec, s[0:1]
.LBB10_145:
	s_endpgm
.LBB10_146:
	s_cbranch_execz .LBB10_145
; %bb.147:
	v_or_b32_e32 v0, v6, v0
	v_cmp_eq_u32_e32 vcc, 0, v0
	s_and_saveexec_b64 s[0:1], vcc
	s_cbranch_execz .LBB10_145
; %bb.148:
	v_mbcnt_lo_u32_b32 v0, exec_lo, 0
	v_mbcnt_hi_u32_b32 v0, exec_hi, v0
	v_cmp_eq_u32_e32 vcc, 0, v0
	s_and_saveexec_b64 s[0:1], vcc
	s_cbranch_execz .LBB10_150
; %bb.149:
	s_add_i32 s2, s16, s17
	v_mov_b32_e32 v0, 0
	v_mov_b32_e32 v1, s2
	global_atomic_smin v0, v1, s[18:19]
.LBB10_150:
	s_or_b64 exec, exec, s[0:1]
	s_add_u32 s0, s14, s10
	s_addc_u32 s1, s15, s11
	v_mov_b32_e32 v0, 0
	v_mov_b32_e32 v1, 1
	buffer_wbl2 sc1
	s_waitcnt vmcnt(0)
	global_store_dword v0, v1, s[0:1] sc1
	s_endpgm
	.section	.rodata,"a",@progbits
	.p2align	6, 0x0
	.amdhsa_kernel _ZN9rocsparseL18bsric0_9_16_kernelILi64ELi32ELi16EfEEv20rocsparse_direction_iiPKiS3_PT2_S3_PiS3_S6_21rocsparse_index_base_
		.amdhsa_group_segment_fixed_size 4736
		.amdhsa_private_segment_fixed_size 0
		.amdhsa_kernarg_size 76
		.amdhsa_user_sgpr_count 2
		.amdhsa_user_sgpr_dispatch_ptr 0
		.amdhsa_user_sgpr_queue_ptr 0
		.amdhsa_user_sgpr_kernarg_segment_ptr 1
		.amdhsa_user_sgpr_dispatch_id 0
		.amdhsa_user_sgpr_kernarg_preload_length 0
		.amdhsa_user_sgpr_kernarg_preload_offset 0
		.amdhsa_user_sgpr_private_segment_size 0
		.amdhsa_uses_dynamic_stack 0
		.amdhsa_enable_private_segment 0
		.amdhsa_system_sgpr_workgroup_id_x 1
		.amdhsa_system_sgpr_workgroup_id_y 0
		.amdhsa_system_sgpr_workgroup_id_z 0
		.amdhsa_system_sgpr_workgroup_info 0
		.amdhsa_system_vgpr_workitem_id 1
		.amdhsa_next_free_vgpr 36
		.amdhsa_next_free_sgpr 58
		.amdhsa_accum_offset 36
		.amdhsa_reserve_vcc 1
		.amdhsa_float_round_mode_32 0
		.amdhsa_float_round_mode_16_64 0
		.amdhsa_float_denorm_mode_32 3
		.amdhsa_float_denorm_mode_16_64 3
		.amdhsa_dx10_clamp 1
		.amdhsa_ieee_mode 1
		.amdhsa_fp16_overflow 0
		.amdhsa_tg_split 0
		.amdhsa_exception_fp_ieee_invalid_op 0
		.amdhsa_exception_fp_denorm_src 0
		.amdhsa_exception_fp_ieee_div_zero 0
		.amdhsa_exception_fp_ieee_overflow 0
		.amdhsa_exception_fp_ieee_underflow 0
		.amdhsa_exception_fp_ieee_inexact 0
		.amdhsa_exception_int_div_zero 0
	.end_amdhsa_kernel
	.section	.text._ZN9rocsparseL18bsric0_9_16_kernelILi64ELi32ELi16EfEEv20rocsparse_direction_iiPKiS3_PT2_S3_PiS3_S6_21rocsparse_index_base_,"axG",@progbits,_ZN9rocsparseL18bsric0_9_16_kernelILi64ELi32ELi16EfEEv20rocsparse_direction_iiPKiS3_PT2_S3_PiS3_S6_21rocsparse_index_base_,comdat
.Lfunc_end10:
	.size	_ZN9rocsparseL18bsric0_9_16_kernelILi64ELi32ELi16EfEEv20rocsparse_direction_iiPKiS3_PT2_S3_PiS3_S6_21rocsparse_index_base_, .Lfunc_end10-_ZN9rocsparseL18bsric0_9_16_kernelILi64ELi32ELi16EfEEv20rocsparse_direction_iiPKiS3_PT2_S3_PiS3_S6_21rocsparse_index_base_
                                        ; -- End function
	.set _ZN9rocsparseL18bsric0_9_16_kernelILi64ELi32ELi16EfEEv20rocsparse_direction_iiPKiS3_PT2_S3_PiS3_S6_21rocsparse_index_base_.num_vgpr, 36
	.set _ZN9rocsparseL18bsric0_9_16_kernelILi64ELi32ELi16EfEEv20rocsparse_direction_iiPKiS3_PT2_S3_PiS3_S6_21rocsparse_index_base_.num_agpr, 0
	.set _ZN9rocsparseL18bsric0_9_16_kernelILi64ELi32ELi16EfEEv20rocsparse_direction_iiPKiS3_PT2_S3_PiS3_S6_21rocsparse_index_base_.numbered_sgpr, 58
	.set _ZN9rocsparseL18bsric0_9_16_kernelILi64ELi32ELi16EfEEv20rocsparse_direction_iiPKiS3_PT2_S3_PiS3_S6_21rocsparse_index_base_.num_named_barrier, 0
	.set _ZN9rocsparseL18bsric0_9_16_kernelILi64ELi32ELi16EfEEv20rocsparse_direction_iiPKiS3_PT2_S3_PiS3_S6_21rocsparse_index_base_.private_seg_size, 0
	.set _ZN9rocsparseL18bsric0_9_16_kernelILi64ELi32ELi16EfEEv20rocsparse_direction_iiPKiS3_PT2_S3_PiS3_S6_21rocsparse_index_base_.uses_vcc, 1
	.set _ZN9rocsparseL18bsric0_9_16_kernelILi64ELi32ELi16EfEEv20rocsparse_direction_iiPKiS3_PT2_S3_PiS3_S6_21rocsparse_index_base_.uses_flat_scratch, 0
	.set _ZN9rocsparseL18bsric0_9_16_kernelILi64ELi32ELi16EfEEv20rocsparse_direction_iiPKiS3_PT2_S3_PiS3_S6_21rocsparse_index_base_.has_dyn_sized_stack, 0
	.set _ZN9rocsparseL18bsric0_9_16_kernelILi64ELi32ELi16EfEEv20rocsparse_direction_iiPKiS3_PT2_S3_PiS3_S6_21rocsparse_index_base_.has_recursion, 0
	.set _ZN9rocsparseL18bsric0_9_16_kernelILi64ELi32ELi16EfEEv20rocsparse_direction_iiPKiS3_PT2_S3_PiS3_S6_21rocsparse_index_base_.has_indirect_call, 0
	.section	.AMDGPU.csdata,"",@progbits
; Kernel info:
; codeLenInByte = 4276
; TotalNumSgprs: 64
; NumVgprs: 36
; NumAgprs: 0
; TotalNumVgprs: 36
; ScratchSize: 0
; MemoryBound: 0
; FloatMode: 240
; IeeeMode: 1
; LDSByteSize: 4736 bytes/workgroup (compile time only)
; SGPRBlocks: 7
; VGPRBlocks: 4
; NumSGPRsForWavesPerEU: 64
; NumVGPRsForWavesPerEU: 36
; AccumOffset: 36
; Occupancy: 8
; WaveLimiterHint : 1
; COMPUTE_PGM_RSRC2:SCRATCH_EN: 0
; COMPUTE_PGM_RSRC2:USER_SGPR: 2
; COMPUTE_PGM_RSRC2:TRAP_HANDLER: 0
; COMPUTE_PGM_RSRC2:TGID_X_EN: 1
; COMPUTE_PGM_RSRC2:TGID_Y_EN: 0
; COMPUTE_PGM_RSRC2:TGID_Z_EN: 0
; COMPUTE_PGM_RSRC2:TIDIG_COMP_CNT: 1
; COMPUTE_PGM_RSRC3_GFX90A:ACCUM_OFFSET: 8
; COMPUTE_PGM_RSRC3_GFX90A:TG_SPLIT: 0
	.section	.text._ZN9rocsparseL19bsric0_17_32_kernelILi64ELi32ELi32EfEEv20rocsparse_direction_iiPKiS3_PT2_S3_PiS3_S6_21rocsparse_index_base_,"axG",@progbits,_ZN9rocsparseL19bsric0_17_32_kernelILi64ELi32ELi32EfEEv20rocsparse_direction_iiPKiS3_PT2_S3_PiS3_S6_21rocsparse_index_base_,comdat
	.globl	_ZN9rocsparseL19bsric0_17_32_kernelILi64ELi32ELi32EfEEv20rocsparse_direction_iiPKiS3_PT2_S3_PiS3_S6_21rocsparse_index_base_ ; -- Begin function _ZN9rocsparseL19bsric0_17_32_kernelILi64ELi32ELi32EfEEv20rocsparse_direction_iiPKiS3_PT2_S3_PiS3_S6_21rocsparse_index_base_
	.p2align	8
	.type	_ZN9rocsparseL19bsric0_17_32_kernelILi64ELi32ELi32EfEEv20rocsparse_direction_iiPKiS3_PT2_S3_PiS3_S6_21rocsparse_index_base_,@function
_ZN9rocsparseL19bsric0_17_32_kernelILi64ELi32ELi32EfEEv20rocsparse_direction_iiPKiS3_PT2_S3_PiS3_S6_21rocsparse_index_base_: ; @_ZN9rocsparseL19bsric0_17_32_kernelILi64ELi32ELi32EfEEv20rocsparse_direction_iiPKiS3_PT2_S3_PiS3_S6_21rocsparse_index_base_
; %bb.0:
	s_load_dwordx8 s[12:19], s[0:1], 0x28
	s_mov_b32 s3, 0
	s_lshl_b64 s[2:3], s[2:3], 2
	v_and_b32_e32 v1, 0x3ff, v0
	v_bfe_u32 v0, v0, 10, 10
	s_waitcnt lgkmcnt(0)
	s_add_u32 s2, s16, s2
	s_addc_u32 s3, s17, s3
	s_load_dword s16, s[2:3], 0x0
	s_waitcnt lgkmcnt(0)
	s_ashr_i32 s17, s16, 31
	s_lshl_b64 s[10:11], s[16:17], 2
	s_add_u32 s2, s12, s10
	s_addc_u32 s3, s13, s11
	s_load_dword s33, s[2:3], 0x0
	s_load_dword s17, s[0:1], 0x48
	s_waitcnt lgkmcnt(0)
	s_cmp_lg_u32 s33, -1
	s_cbranch_scc0 .LBB11_132
; %bb.1:
	s_load_dwordx4 s[20:23], s[0:1], 0x10
	s_load_dwordx2 s[24:25], s[0:1], 0x20
	v_lshlrev_b32_e32 v2, 1, v0
	v_lshlrev_b32_e32 v6, 2, v1
	s_waitcnt lgkmcnt(0)
	s_add_u32 s2, s20, s10
	s_addc_u32 s3, s21, s11
	s_load_dword s2, s[2:3], 0x0
	s_waitcnt lgkmcnt(0)
	s_sub_i32 s52, s2, s17
	v_add3_u32 v2, v2, v1, s52
	v_cmp_ge_i32_e32 vcc, s33, v2
	s_and_saveexec_b64 s[2:3], vcc
	s_cbranch_execz .LBB11_4
; %bb.2:
	v_lshlrev_b32_e32 v3, 3, v0
	v_lshlrev_b32_e32 v4, 2, v1
	s_movk_i32 s4, 0x3280
	v_add3_u32 v4, v3, v4, s4
	s_mov_b64 s[4:5], 0
.LBB11_3:                               ; =>This Inner Loop Header: Depth=1
	v_ashrrev_i32_e32 v3, 31, v2
	v_lshl_add_u64 v[8:9], v[2:3], 2, s[22:23]
	global_load_dword v3, v[8:9], off
	v_add_u32_e32 v2, 64, v2
	v_cmp_lt_i32_e32 vcc, s33, v2
	s_or_b64 s[4:5], vcc, s[4:5]
	s_waitcnt vmcnt(0)
	v_subrev_u32_e32 v3, s17, v3
	ds_write_b32 v4, v3
	v_add_u32_e32 v4, 0x100, v4
	s_andn2_b64 exec, exec, s[4:5]
	s_cbranch_execnz .LBB11_3
.LBB11_4:
	s_or_b64 exec, exec, s[2:3]
	v_cmp_gt_u32_e32 vcc, 32, v1
	s_and_saveexec_b64 s[2:3], vcc
	s_cbranch_execz .LBB11_7
; %bb.5:
	v_mul_u32_u24_e32 v3, 0x84, v0
	v_lshlrev_b32_e32 v4, 2, v1
	s_movk_i32 s4, 0x2100
	v_add_u32_e32 v2, -2, v1
	v_add3_u32 v3, v3, v4, s4
	s_mov_b64 s[4:5], 0
	v_mov_b32_e32 v4, 0
.LBB11_6:                               ; =>This Inner Loop Header: Depth=1
	v_add_u32_e32 v2, 2, v2
	v_cmp_lt_u32_e32 vcc, 29, v2
	ds_write_b32 v3, v4
	s_or_b64 s[4:5], vcc, s[4:5]
	v_add_u32_e32 v3, 8, v3
	s_andn2_b64 exec, exec, s[4:5]
	s_cbranch_execnz .LBB11_6
.LBB11_7:
	s_or_b64 exec, exec, s[2:3]
	s_load_dword s50, s[0:1], 0x8
	s_load_dword s51, s[0:1], 0x0
	s_cmp_ge_i32 s52, s33
	s_waitcnt lgkmcnt(0)
	v_cmp_gt_i32_e64 s[0:1], s50, v1
	v_xad_u32 v7, v1, -1, s50
	s_cbranch_scc1 .LBB11_86
; %bb.8:
	v_or_b32_e32 v3, v1, v0
	v_cmp_ne_u32_e64 s[4:5], 0, v3
	v_lshrrev_b32_e32 v3, 1, v7
	s_cmp_eq_u32 s51, 0
	v_add_u32_e32 v3, 1, v3
	s_cselect_b64 s[26:27], -1, 0
	s_cmp_lg_u32 s51, 0
	s_movk_i32 s34, 0x84
	v_mov_b32_e32 v2, 0x1080
	v_and_b32_e32 v11, -4, v3
	v_lshlrev_b32_e32 v13, 2, v1
	s_mul_i32 s35, s50, s52
	s_cselect_b64 s[28:29], -1, 0
	v_mad_u32_u24 v9, v0, s34, v2
	s_cmp_gt_i32 s50, 0
	v_lshl_add_u32 v12, v11, 1, v1
	v_cmp_ne_u32_e64 s[8:9], v3, v11
	v_mad_u32_u24 v14, v0, s34, v13
	v_add_u32_e32 v3, s35, v0
	v_mad_u32_u24 v18, v1, s34, v2
	v_mov_b32_e32 v2, 0x2100
	s_mul_i32 s53, s50, s50
	v_cmp_gt_i32_e64 s[2:3], s50, v0
	v_mul_u32_u24_e32 v8, 0x84, v0
	v_mul_lo_u32 v10, s50, v0
	s_cselect_b64 s[30:31], -1, 0
	v_cmp_lt_u32_e64 s[6:7], 5, v7
	v_mul_lo_u32 v16, s50, v3
	v_mul_lo_u32 v15, v1, s50
	s_lshl_b32 s54, s50, 1
	v_mul_u32_u24_e32 v17, 0x84, v1
	v_add_u32_e32 v19, 0x2100, v14
	v_mad_u32_u24 v20, v0, s34, v2
	v_add_u32_e32 v21, 0x1080, v14
	v_mov_b32_e32 v22, 0
	v_lshlrev_b32_e32 v23, 2, v12
	v_mul_lo_u32 v24, v12, s34
	s_mov_b32 s34, s52
	s_branch .LBB11_10
.LBB11_9:                               ;   in Loop: Header=BB11_10 Depth=1
	s_or_b64 exec, exec, s[36:37]
	s_add_i32 s34, s34, 1
	s_cmp_ge_i32 s34, s33
	buffer_wbl2 sc1
	s_waitcnt vmcnt(0)
	buffer_inv sc1
	v_add_u32_e32 v16, s53, v16
	s_cselect_b64 s[36:37], -1, 0
	s_and_b64 vcc, exec, s[36:37]
	s_cbranch_vccnz .LBB11_86
.LBB11_10:                              ; =>This Loop Header: Depth=1
                                        ;     Child Loop BB11_14 Depth 2
                                        ;     Child Loop BB11_26 Depth 2
	;; [unrolled: 1-line block ×4, first 2 shown]
                                        ;       Child Loop BB11_43 Depth 3
                                        ;         Child Loop BB11_48 Depth 4
                                        ;     Child Loop BB11_57 Depth 2
                                        ;       Child Loop BB11_64 Depth 3
                                        ;       Child Loop BB11_69 Depth 3
	;; [unrolled: 1-line block ×3, first 2 shown]
                                        ;     Child Loop BB11_80 Depth 2
	s_ashr_i32 s35, s34, 31
	s_lshl_b64 s[36:37], s[34:35], 2
	s_add_u32 s36, s22, s36
	s_addc_u32 s37, s23, s37
	s_load_dword s55, s[36:37], 0x0
	s_waitcnt lgkmcnt(0)
	s_sub_i32 s38, s55, s17
	s_ashr_i32 s39, s38, 31
	s_lshl_b64 s[36:37], s[38:39], 2
	s_add_u32 s40, s12, s36
	s_addc_u32 s41, s13, s37
	s_load_dword s56, s[40:41], 0x0
	s_waitcnt lgkmcnt(0)
	s_cmp_eq_u32 s56, -1
	s_cbranch_scc1 .LBB11_85
; %bb.11:                               ;   in Loop: Header=BB11_10 Depth=1
	s_add_u32 s40, s20, s36
	s_addc_u32 s41, s21, s37
	s_load_dword s39, s[40:41], 0x0
	s_mul_i32 s35, s34, s50
	s_and_saveexec_b64 s[40:41], s[0:1]
	s_cbranch_execz .LBB11_24
; %bb.12:                               ;   in Loop: Header=BB11_10 Depth=1
	s_mov_b64 s[42:43], 0
	v_mov_b32_e32 v4, v14
	v_mov_b32_e32 v5, v1
	s_branch .LBB11_14
.LBB11_13:                              ;   in Loop: Header=BB11_14 Depth=2
	s_or_b64 exec, exec, s[46:47]
	v_add_u32_e32 v5, 2, v5
	v_cmp_le_i32_e32 vcc, s50, v5
	s_waitcnt vmcnt(0)
	ds_write_b32 v4, v3 offset:4224
	ds_write_b32 v4, v22
	s_or_b64 s[42:43], vcc, s[42:43]
	v_add_u32_e32 v4, 8, v4
	s_andn2_b64 exec, exec, s[42:43]
	s_cbranch_execz .LBB11_24
.LBB11_14:                              ;   Parent Loop BB11_10 Depth=1
                                        ; =>  This Inner Loop Header: Depth=2
	s_mov_b64 s[46:47], -1
	s_and_b64 vcc, exec, s[28:29]
	s_mov_b64 s[44:45], 0
                                        ; implicit-def: $vgpr2
	s_cbranch_vccz .LBB11_19
; %bb.15:                               ;   in Loop: Header=BB11_14 Depth=2
	s_mov_b64 s[46:47], 0
                                        ; implicit-def: $vgpr2
	s_and_saveexec_b64 s[48:49], s[2:3]
	s_xor_b64 s[48:49], exec, s[48:49]
; %bb.16:                               ;   in Loop: Header=BB11_14 Depth=2
	v_add_u32_e32 v2, s35, v5
	s_mov_b64 s[44:45], exec
	v_mad_u64_u32 v[2:3], s[58:59], v2, s50, v[0:1]
; %bb.17:                               ;   in Loop: Header=BB11_14 Depth=2
	s_or_b64 exec, exec, s[48:49]
	s_and_b64 vcc, exec, s[46:47]
	s_cbranch_vccnz .LBB11_20
.LBB11_18:                              ;   in Loop: Header=BB11_14 Depth=2
	v_mov_b32_e32 v3, 0
	s_and_saveexec_b64 s[46:47], s[44:45]
	s_cbranch_execz .LBB11_13
	s_branch .LBB11_23
.LBB11_19:                              ;   in Loop: Header=BB11_14 Depth=2
	s_and_b64 vcc, exec, s[46:47]
	s_cbranch_vccz .LBB11_18
.LBB11_20:                              ;   in Loop: Header=BB11_14 Depth=2
                                        ; implicit-def: $vgpr2
	s_and_saveexec_b64 s[46:47], s[2:3]
; %bb.21:                               ;   in Loop: Header=BB11_14 Depth=2
	v_add_u32_e32 v2, v16, v5
	s_or_b64 s[44:45], s[44:45], exec
; %bb.22:                               ;   in Loop: Header=BB11_14 Depth=2
	s_or_b64 exec, exec, s[46:47]
	v_mov_b32_e32 v3, 0
	s_and_saveexec_b64 s[46:47], s[44:45]
	s_cbranch_execz .LBB11_13
.LBB11_23:                              ;   in Loop: Header=BB11_14 Depth=2
	v_ashrrev_i32_e32 v3, 31, v2
	v_lshl_add_u64 v[2:3], v[2:3], 2, s[24:25]
	global_load_dword v3, v[2:3], off
	s_branch .LBB11_13
.LBB11_24:                              ;   in Loop: Header=BB11_10 Depth=1
	s_or_b64 exec, exec, s[40:41]
	ds_read_b32 v2, v22 offset:12928
	s_waitcnt lgkmcnt(0)
	s_sub_i32 s40, s39, s17
	s_cmp_le_i32 s40, s56
	s_cselect_b64 s[42:43], -1, 0
	s_mov_b32 s41, 0
	v_cmp_ge_i32_e32 vcc, s38, v2
	s_and_b64 s[42:43], s[42:43], vcc
	s_andn2_b64 vcc, exec, s[42:43]
	s_cbranch_vccnz .LBB11_36
; %bb.25:                               ;   in Loop: Header=BB11_10 Depth=1
	s_mov_b32 s39, 0
	s_mov_b32 s44, 0
.LBB11_26:                              ;   Parent Loop BB11_10 Depth=1
                                        ; =>  This Inner Loop Header: Depth=2
	s_ashr_i32 s41, s40, 31
	s_lshl_b64 s[42:43], s[40:41], 2
	s_add_u32 s42, s22, s42
	s_addc_u32 s43, s23, s43
	s_load_dword s41, s[42:43], 0x0
	s_lshl_b32 s42, s44, 2
	v_mov_b32_e32 v2, s42
	ds_read_b32 v2, v2 offset:12928
	s_mov_b64 s[42:43], -1
	s_waitcnt lgkmcnt(0)
	s_sub_i32 s48, s41, s17
                                        ; implicit-def: $sgpr41
                                        ; implicit-def: $sgpr47
                                        ; implicit-def: $sgpr46
	v_cmp_ge_i32_e32 vcc, s48, v2
	v_readfirstlane_b32 s45, v2
	s_cbranch_vccz .LBB11_32
; %bb.27:                               ;   in Loop: Header=BB11_26 Depth=2
	s_cmp_le_i32 s48, s45
                                        ; implicit-def: $sgpr41
                                        ; implicit-def: $sgpr47
                                        ; implicit-def: $sgpr46
	s_cbranch_scc0 .LBB11_29
; %bb.28:                               ;   in Loop: Header=BB11_26 Depth=2
	s_add_i32 s41, s44, s52
	s_mul_i32 s41, s41, s53
	s_lshl_b32 s42, s39, 2
	v_mov_b32_e32 v2, s42
	v_mov_b32_e32 v3, s41
	s_mul_i32 s41, s40, s53
	v_mov_b32_e32 v4, s41
	v_add_u32_e32 v2, 0x3000, v2
	ds_write2_b32 v2, v4, v3 offset0:96 offset1:128
	s_add_i32 s46, s44, 1
	s_add_i32 s47, s40, 1
	;; [unrolled: 1-line block ×3, first 2 shown]
	s_mov_b64 s[42:43], 0
.LBB11_29:                              ;   in Loop: Header=BB11_26 Depth=2
	s_andn2_b64 vcc, exec, s[42:43]
	s_cbranch_vccnz .LBB11_31
; %bb.30:                               ;   in Loop: Header=BB11_26 Depth=2
	s_add_i32 s46, s44, 1
	s_mov_b32 s41, s39
	s_mov_b32 s47, s40
.LBB11_31:                              ;   in Loop: Header=BB11_26 Depth=2
	s_mov_b64 s[42:43], 0
.LBB11_32:                              ;   in Loop: Header=BB11_26 Depth=2
	s_andn2_b64 vcc, exec, s[42:43]
	s_cbranch_vccnz .LBB11_34
; %bb.33:                               ;   in Loop: Header=BB11_26 Depth=2
	s_add_i32 s47, s40, 1
	s_mov_b32 s46, s44
	s_mov_b32 s41, s39
.LBB11_34:                              ;   in Loop: Header=BB11_26 Depth=2
	s_cmp_le_i32 s47, s56
	s_cselect_b64 s[42:43], -1, 0
	s_cmp_le_i32 s45, s38
	s_cselect_b64 s[44:45], -1, 0
	s_and_b64 s[42:43], s[42:43], s[44:45]
	s_and_b64 vcc, exec, s[42:43]
	s_cbranch_vccz .LBB11_36
; %bb.35:                               ;   in Loop: Header=BB11_26 Depth=2
	s_mov_b32 s39, s41
	s_mov_b32 s40, s47
	;; [unrolled: 1-line block ×3, first 2 shown]
	s_branch .LBB11_26
.LBB11_36:                              ;   in Loop: Header=BB11_10 Depth=1
	s_add_u32 s36, s14, s36
	s_addc_u32 s37, s15, s37
	s_waitcnt lgkmcnt(0)
.LBB11_37:                              ;   Parent Loop BB11_10 Depth=1
                                        ; =>  This Inner Loop Header: Depth=2
	global_load_dword v2, v22, s[36:37] sc1
	s_waitcnt vmcnt(0)
	v_cmp_eq_u32_e32 vcc, 0, v2
	s_cbranch_vccnz .LBB11_37
; %bb.38:                               ;   in Loop: Header=BB11_10 Depth=1
	s_cmp_lt_i32 s41, 2
	buffer_inv sc1
	s_cbranch_scc1 .LBB11_54
; %bb.39:                               ;   in Loop: Header=BB11_10 Depth=1
	s_add_i32 s42, s41, -2
	s_mov_b32 s43, 0
	s_branch .LBB11_41
.LBB11_40:                              ;   in Loop: Header=BB11_41 Depth=2
	s_or_b64 exec, exec, s[36:37]
	s_add_i32 s36, s43, 1
	s_cmp_eq_u32 s43, s42
	s_mov_b32 s43, s36
	s_cbranch_scc1 .LBB11_54
.LBB11_41:                              ;   Parent Loop BB11_10 Depth=1
                                        ; =>  This Loop Header: Depth=2
                                        ;       Child Loop BB11_43 Depth 3
                                        ;         Child Loop BB11_48 Depth 4
	s_and_saveexec_b64 s[36:37], s[0:1]
	s_cbranch_execz .LBB11_40
; %bb.42:                               ;   in Loop: Header=BB11_41 Depth=2
	s_lshl_b32 s38, s43, 2
	v_mov_b32_e32 v2, s38
	v_add_u32_e32 v2, 0x3000, v2
	ds_read2_b32 v[2:3], v2 offset0:96 offset1:128
	s_mov_b64 s[38:39], 0
	v_mov_b32_e32 v29, v1
	s_waitcnt lgkmcnt(0)
	v_add_u32_e32 v25, v3, v10
	v_add_u32_e32 v26, v0, v3
	v_add_u32_e32 v27, v1, v2
	v_add_u32_e32 v28, v15, v2
.LBB11_43:                              ;   Parent Loop BB11_10 Depth=1
                                        ;     Parent Loop BB11_41 Depth=2
                                        ; =>    This Loop Header: Depth=3
                                        ;         Child Loop BB11_48 Depth 4
	v_mov_b32_e32 v30, 0
	s_mov_b32 s44, 0
	v_mov_b32_e32 v2, v27
	v_mov_b32_e32 v4, v26
	s_mov_b64 s[40:41], -1
	s_and_b64 vcc, exec, s[28:29]
                                        ; implicit-def: $vgpr3
	s_cbranch_vccz .LBB11_48
	s_branch .LBB11_45
.LBB11_44:                              ;   in Loop: Header=BB11_48 Depth=4
	v_mov_b32_e32 v30, v3
	s_mov_b64 s[40:41], -1
	s_and_b64 vcc, exec, s[28:29]
                                        ; implicit-def: $vgpr3
	s_cbranch_vccz .LBB11_48
.LBB11_45:                              ;   in Loop: Header=BB11_43 Depth=3
	v_ashrrev_i32_e32 v3, 31, v2
	v_lshl_add_u64 v[32:33], v[2:3], 2, s[24:25]
	global_load_dword v3, v[32:33], off
	v_mov_b32_e32 v5, 0
	s_and_saveexec_b64 s[40:41], s[2:3]
	s_cbranch_execz .LBB11_47
; %bb.46:                               ;   in Loop: Header=BB11_43 Depth=3
	v_ashrrev_i32_e32 v5, 31, v4
	v_lshl_add_u64 v[32:33], v[4:5], 2, s[24:25]
	global_load_dword v5, v[32:33], off
.LBB11_47:                              ;   in Loop: Header=BB11_43 Depth=3
	s_or_b64 exec, exec, s[40:41]
	s_waitcnt vmcnt(0)
	v_fma_f32 v3, v3, v5, v30
	s_mov_b64 s[40:41], 0
.LBB11_48:                              ;   Parent Loop BB11_10 Depth=1
                                        ;     Parent Loop BB11_41 Depth=2
                                        ;       Parent Loop BB11_43 Depth=3
                                        ; =>      This Inner Loop Header: Depth=4
	s_and_b64 vcc, exec, s[40:41]
	s_cbranch_vccz .LBB11_52
; %bb.49:                               ;   in Loop: Header=BB11_48 Depth=4
	v_add_u32_e32 v32, s44, v28
	v_ashrrev_i32_e32 v33, 31, v32
	v_lshl_add_u64 v[32:33], v[32:33], 2, s[24:25]
	global_load_dword v3, v[32:33], off
	v_mov_b32_e32 v5, 0
	s_and_saveexec_b64 s[40:41], s[2:3]
	s_cbranch_execz .LBB11_51
; %bb.50:                               ;   in Loop: Header=BB11_48 Depth=4
	v_add_u32_e32 v32, s44, v25
	v_ashrrev_i32_e32 v33, 31, v32
	v_lshl_add_u64 v[32:33], v[32:33], 2, s[24:25]
	global_load_dword v5, v[32:33], off
.LBB11_51:                              ;   in Loop: Header=BB11_48 Depth=4
	s_or_b64 exec, exec, s[40:41]
	s_waitcnt vmcnt(0)
	v_fmac_f32_e32 v30, v3, v5
	v_mov_b32_e32 v3, v30
.LBB11_52:                              ;   in Loop: Header=BB11_48 Depth=4
	s_add_i32 s44, s44, 1
	v_add_u32_e32 v4, s50, v4
	s_cmp_eq_u32 s50, s44
	v_add_u32_e32 v2, s50, v2
	s_cbranch_scc0 .LBB11_44
; %bb.53:                               ;   in Loop: Header=BB11_43 Depth=3
	v_lshl_add_u32 v2, v29, 2, v8
	ds_read_b32 v4, v2
	v_add_u32_e32 v29, 2, v29
	v_cmp_le_i32_e32 vcc, s50, v29
	v_add_u32_e32 v27, 2, v27
	s_or_b64 s[38:39], vcc, s[38:39]
	s_waitcnt lgkmcnt(0)
	v_add_f32_e32 v3, v3, v4
	v_add_u32_e32 v28, s54, v28
	ds_write_b32 v2, v3
	s_andn2_b64 exec, exec, s[38:39]
	s_cbranch_execnz .LBB11_43
	s_branch .LBB11_40
.LBB11_54:                              ;   in Loop: Header=BB11_10 Depth=1
	s_andn2_b64 vcc, exec, s[30:31]
	s_waitcnt lgkmcnt(0)
	s_cbranch_vccnz .LBB11_76
; %bb.55:                               ;   in Loop: Header=BB11_10 Depth=1
	s_mul_i32 s44, s53, s56
	s_mov_b32 s45, 0
	s_movk_i32 s46, 0x1080
	v_mov_b32_e32 v27, s55
	v_mov_b32_e32 v4, v18
	s_mov_b32 s47, s44
	s_branch .LBB11_57
.LBB11_56:                              ;   in Loop: Header=BB11_57 Depth=2
	s_or_b64 exec, exec, s[36:37]
	s_add_i32 s45, s45, 1
	s_add_i32 s47, s47, 1
	;; [unrolled: 1-line block ×3, first 2 shown]
	s_cmp_eq_u32 s45, s50
	v_add_u32_e32 v4, 4, v4
	s_waitcnt lgkmcnt(0)
	s_cbranch_scc1 .LBB11_76
.LBB11_57:                              ;   Parent Loop BB11_10 Depth=1
                                        ; =>  This Loop Header: Depth=2
                                        ;       Child Loop BB11_64 Depth 3
                                        ;       Child Loop BB11_69 Depth 3
	;; [unrolled: 1-line block ×3, first 2 shown]
	s_mul_i32 s40, s45, s50
	s_add_i32 s40, s40, s44
	s_add_i32 s36, s40, s45
	s_ashr_i32 s37, s36, 31
	s_lshl_b64 s[36:37], s[36:37], 2
	s_add_u32 s36, s24, s36
	s_addc_u32 s37, s25, s37
	global_load_dword v5, v22, s[36:37]
	v_lshl_add_u32 v3, s45, 2, v9
	ds_read_b32 v2, v3
	s_waitcnt vmcnt(0)
	v_cmp_neq_f32_e32 vcc, 0, v5
	s_nop 1
	v_cndmask_b32_e32 v5, 1.0, v5, vcc
	s_nor_b64 s[38:39], vcc, s[4:5]
	s_and_saveexec_b64 s[36:37], s[38:39]
	s_cbranch_execz .LBB11_61
; %bb.58:                               ;   in Loop: Header=BB11_57 Depth=2
	v_mbcnt_lo_u32_b32 v5, exec_lo, 0
	v_mbcnt_hi_u32_b32 v5, exec_hi, v5
	v_cmp_eq_u32_e32 vcc, 0, v5
	s_and_saveexec_b64 s[38:39], vcc
	s_cbranch_execz .LBB11_60
; %bb.59:                               ;   in Loop: Header=BB11_57 Depth=2
	global_atomic_smin v22, v27, s[18:19]
.LBB11_60:                              ;   in Loop: Header=BB11_57 Depth=2
	s_or_b64 exec, exec, s[38:39]
	v_mov_b32_e32 v5, 1.0
.LBB11_61:                              ;   in Loop: Header=BB11_57 Depth=2
	s_or_b64 exec, exec, s[36:37]
	v_lshl_add_u32 v25, s45, 2, v8
	ds_read_b32 v25, v25
	s_cmp_eq_u32 s45, 0
	s_cbranch_scc1 .LBB11_66
; %bb.62:                               ;   in Loop: Header=BB11_57 Depth=2
	s_mov_b32 s38, 0
	s_mov_b32 s39, s45
	;; [unrolled: 1-line block ×3, first 2 shown]
	v_mov_b32_e32 v26, v9
	s_branch .LBB11_64
.LBB11_63:                              ;   in Loop: Header=BB11_64 Depth=3
	s_ashr_i32 s37, s36, 31
	s_lshl_b64 s[36:37], s[36:37], 2
	s_add_u32 s36, s24, s36
	s_addc_u32 s37, s25, s37
	global_load_dword v28, v22, s[36:37]
	ds_read_b32 v29, v26
	s_add_i32 s38, s38, 1
	s_add_i32 s41, s41, s50
	s_add_i32 s39, s39, -1
	s_cmp_eq_u32 s39, 0
	v_add_u32_e32 v26, 4, v26
	s_waitcnt vmcnt(0) lgkmcnt(0)
	v_fmac_f32_e32 v25, v28, v29
	s_cbranch_scc1 .LBB11_66
.LBB11_64:                              ;   Parent Loop BB11_10 Depth=1
                                        ;     Parent Loop BB11_57 Depth=2
                                        ; =>    This Inner Loop Header: Depth=3
	s_andn2_b64 vcc, exec, s[26:27]
	s_mov_b32 s36, s41
	s_cbranch_vccnz .LBB11_63
; %bb.65:                               ;   in Loop: Header=BB11_64 Depth=3
	s_add_i32 s36, s38, s40
	s_branch .LBB11_63
.LBB11_66:                              ;   in Loop: Header=BB11_57 Depth=2
	s_waitcnt lgkmcnt(0)
	v_sub_f32_e32 v2, v2, v25
	v_div_scale_f32 v25, s[36:37], v5, v5, v2
	v_rcp_f32_e32 v26, v25
	v_div_scale_f32 v28, vcc, v2, v5, v2
	v_fma_f32 v29, -v25, v26, 1.0
	v_fmac_f32_e32 v26, v29, v26
	v_mul_f32_e32 v29, v28, v26
	v_fma_f32 v30, -v25, v29, v28
	v_fmac_f32_e32 v29, v30, v26
	v_fma_f32 v25, -v25, v29, v28
	v_div_fmas_f32 v25, v25, v26, v29
	v_div_fixup_f32 v2, v25, v5, v2
	ds_write_b32 v3, v2
	s_waitcnt lgkmcnt(0)
	s_and_saveexec_b64 s[36:37], s[0:1]
	s_cbranch_execz .LBB11_56
; %bb.67:                               ;   in Loop: Header=BB11_57 Depth=2
	s_mov_b64 s[40:41], -1
	v_mov_b32_e32 v3, v1
	v_mov_b32_e32 v5, v13
	;; [unrolled: 1-line block ×3, first 2 shown]
	s_and_saveexec_b64 s[38:39], s[6:7]
	s_cbranch_execz .LBB11_73
; %bb.68:                               ;   in Loop: Header=BB11_57 Depth=2
	v_mov_b32_e32 v3, v2
	s_mov_b64 s[40:41], 0
	v_mov_b32_e32 v5, v11
	v_mov_b32_e32 v25, v19
	;; [unrolled: 1-line block ×3, first 2 shown]
.LBB11_69:                              ;   Parent Loop BB11_10 Depth=1
                                        ;     Parent Loop BB11_57 Depth=2
                                        ; =>    This Inner Loop Header: Depth=3
	ds_read2_b32 v[28:29], v26 offset1:66
	ds_read2_b32 v[30:31], v26 offset0:132 offset1:198
	ds_read2_b32 v[32:33], v25 offset1:2
	ds_read2_b32 v[34:35], v25 offset0:4 offset1:6
	v_add_u32_e32 v5, -4, v5
	v_cmp_eq_u32_e32 vcc, 0, v5
	v_add_u32_e32 v26, 0x420, v26
	s_waitcnt lgkmcnt(1)
	v_pk_fma_f32 v[28:29], v[2:3], v[28:29], v[32:33]
	s_waitcnt lgkmcnt(0)
	v_pk_fma_f32 v[30:31], v[2:3], v[30:31], v[34:35]
	ds_write2_b32 v25, v28, v29 offset1:2
	ds_write2_b32 v25, v30, v31 offset0:4 offset1:6
	s_or_b64 s[40:41], vcc, s[40:41]
	v_add_u32_e32 v25, 32, v25
	s_andn2_b64 exec, exec, s[40:41]
	s_cbranch_execnz .LBB11_69
; %bb.70:                               ;   in Loop: Header=BB11_57 Depth=2
	s_or_b64 exec, exec, s[40:41]
	s_mov_b64 s[40:41], 0
	s_and_saveexec_b64 s[42:43], s[8:9]
; %bb.71:                               ;   in Loop: Header=BB11_57 Depth=2
	s_mov_b64 s[40:41], exec
; %bb.72:                               ;   in Loop: Header=BB11_57 Depth=2
	s_or_b64 exec, exec, s[42:43]
	s_orn2_b64 s[40:41], s[40:41], exec
	v_mov_b32_e32 v3, v12
	v_mov_b32_e32 v5, v23
	;; [unrolled: 1-line block ×3, first 2 shown]
.LBB11_73:                              ;   in Loop: Header=BB11_57 Depth=2
	s_or_b64 exec, exec, s[38:39]
	s_and_b64 exec, exec, s[40:41]
	s_cbranch_execz .LBB11_56
; %bb.74:                               ;   in Loop: Header=BB11_57 Depth=2
	v_add_u32_e32 v5, v20, v5
	v_add_u32_e32 v25, s46, v25
	s_mov_b64 s[38:39], 0
.LBB11_75:                              ;   Parent Loop BB11_10 Depth=1
                                        ;     Parent Loop BB11_57 Depth=2
                                        ; =>    This Inner Loop Header: Depth=3
	ds_read_b32 v26, v25
	ds_read_b32 v28, v5
	v_add_u32_e32 v3, 2, v3
	v_cmp_le_i32_e32 vcc, s50, v3
	s_or_b64 s[38:39], vcc, s[38:39]
	v_add_u32_e32 v25, 0x108, v25
	s_waitcnt lgkmcnt(0)
	v_fmac_f32_e32 v28, v2, v26
	ds_write_b32 v5, v28
	v_add_u32_e32 v5, 8, v5
	s_andn2_b64 exec, exec, s[38:39]
	s_cbranch_execnz .LBB11_75
	s_branch .LBB11_56
.LBB11_76:                              ;   in Loop: Header=BB11_10 Depth=1
	s_and_saveexec_b64 s[36:37], s[0:1]
	s_cbranch_execz .LBB11_9
; %bb.77:                               ;   in Loop: Header=BB11_10 Depth=1
	s_mov_b64 s[38:39], 0
	v_mov_b32_e32 v4, v21
	v_mov_b32_e32 v5, v1
	s_branch .LBB11_80
.LBB11_78:                              ;   in Loop: Header=BB11_80 Depth=2
	v_ashrrev_i32_e32 v3, 31, v2
	v_lshl_add_u64 v[2:3], v[2:3], 2, s[24:25]
	s_waitcnt lgkmcnt(0)
	global_store_dword v[2:3], v25, off
.LBB11_79:                              ;   in Loop: Header=BB11_80 Depth=2
	s_or_b64 exec, exec, s[40:41]
	v_add_u32_e32 v5, 2, v5
	v_cmp_le_i32_e32 vcc, s50, v5
	s_or_b64 s[38:39], vcc, s[38:39]
	v_add_u32_e32 v4, 8, v4
	s_andn2_b64 exec, exec, s[38:39]
	s_cbranch_execz .LBB11_9
.LBB11_80:                              ;   Parent Loop BB11_10 Depth=1
                                        ; =>  This Inner Loop Header: Depth=2
	s_and_saveexec_b64 s[40:41], s[2:3]
	s_cbranch_execz .LBB11_79
; %bb.81:                               ;   in Loop: Header=BB11_80 Depth=2
	ds_read_b32 v25, v4
	s_mov_b64 s[42:43], -1
	s_and_b64 vcc, exec, s[28:29]
                                        ; implicit-def: $vgpr2
	s_cbranch_vccz .LBB11_83
; %bb.82:                               ;   in Loop: Header=BB11_80 Depth=2
	v_add_u32_e32 v2, s35, v5
	v_mad_u64_u32 v[2:3], s[42:43], v2, s50, v[0:1]
	s_mov_b64 s[42:43], 0
.LBB11_83:                              ;   in Loop: Header=BB11_80 Depth=2
	s_andn2_b64 vcc, exec, s[42:43]
	s_cbranch_vccnz .LBB11_78
; %bb.84:                               ;   in Loop: Header=BB11_80 Depth=2
	v_add_u32_e32 v2, v16, v5
	s_branch .LBB11_78
.LBB11_85:                              ;   in Loop: Header=BB11_10 Depth=1
                                        ; implicit-def: $sgpr34
                                        ; implicit-def: $vgpr16
	s_cbranch_execz .LBB11_10
.LBB11_86:
	v_cmp_gt_i32_e64 s[0:1], s50, v1
	s_and_saveexec_b64 s[4:5], s[0:1]
	s_cbranch_execz .LBB11_99
; %bb.87:
	s_mul_i32 s26, s33, s50
	v_add_u32_e32 v2, s26, v0
	s_cmp_lg_u32 s51, 0
	v_mul_lo_u32 v4, v2, s50
	v_mul_u32_u24_e32 v2, 0x84, v0
	v_lshlrev_b32_e32 v3, 2, v1
	s_movk_i32 s8, 0x1080
	s_cselect_b64 s[6:7], -1, 0
	v_cmp_gt_i32_e64 s[2:3], s50, v0
	v_add3_u32 v5, v2, v3, s8
	s_mov_b64 s[8:9], 0
	v_mov_b32_e32 v8, v1
	s_branch .LBB11_89
.LBB11_88:                              ;   in Loop: Header=BB11_89 Depth=1
	s_or_b64 exec, exec, s[20:21]
	v_add_u32_e32 v8, 2, v8
	v_cmp_le_i32_e32 vcc, s50, v8
	s_waitcnt vmcnt(0)
	ds_write_b32 v5, v3
	s_or_b64 s[8:9], vcc, s[8:9]
	v_add_u32_e32 v5, 8, v5
	s_andn2_b64 exec, exec, s[8:9]
	s_cbranch_execz .LBB11_99
.LBB11_89:                              ; =>This Inner Loop Header: Depth=1
	s_and_b64 vcc, exec, s[6:7]
	s_cbranch_vccz .LBB11_96
; %bb.90:                               ;   in Loop: Header=BB11_89 Depth=1
	s_mov_b64 s[20:21], 0
	s_mov_b64 s[12:13], 0
                                        ; implicit-def: $vgpr2
	s_and_saveexec_b64 s[22:23], s[2:3]
	s_xor_b64 s[22:23], exec, s[22:23]
; %bb.91:                               ;   in Loop: Header=BB11_89 Depth=1
	v_add_u32_e32 v2, s26, v8
	s_mov_b64 s[12:13], exec
	v_mad_u64_u32 v[2:3], s[28:29], v2, s50, v[0:1]
; %bb.92:                               ;   in Loop: Header=BB11_89 Depth=1
	s_or_b64 exec, exec, s[22:23]
	s_and_b64 vcc, exec, s[20:21]
	s_cbranch_vccz .LBB11_97
.LBB11_93:                              ;   in Loop: Header=BB11_89 Depth=1
                                        ; implicit-def: $vgpr2
	s_and_saveexec_b64 s[20:21], s[2:3]
; %bb.94:                               ;   in Loop: Header=BB11_89 Depth=1
	v_add_u32_e32 v2, v4, v8
	s_or_b64 s[12:13], s[12:13], exec
; %bb.95:                               ;   in Loop: Header=BB11_89 Depth=1
	s_or_b64 exec, exec, s[20:21]
	v_mov_b32_e32 v3, 0
	s_and_saveexec_b64 s[20:21], s[12:13]
	s_cbranch_execz .LBB11_88
	s_branch .LBB11_98
.LBB11_96:                              ;   in Loop: Header=BB11_89 Depth=1
	s_mov_b64 s[12:13], 0
                                        ; implicit-def: $vgpr2
	s_cbranch_execnz .LBB11_93
.LBB11_97:                              ;   in Loop: Header=BB11_89 Depth=1
	v_mov_b32_e32 v3, 0
	s_and_saveexec_b64 s[20:21], s[12:13]
	s_cbranch_execz .LBB11_88
.LBB11_98:                              ;   in Loop: Header=BB11_89 Depth=1
	v_ashrrev_i32_e32 v3, 31, v2
	v_lshl_add_u64 v[2:3], v[2:3], 2, s[24:25]
	global_load_dword v3, v[2:3], off
	s_branch .LBB11_88
.LBB11_99:
	s_or_b64 exec, exec, s[4:5]
	s_cmp_lt_i32 s50, 1
	s_waitcnt lgkmcnt(0)
	s_cbranch_scc1 .LBB11_119
; %bb.100:
	v_lshrrev_b32_e32 v10, 1, v7
	v_or_b32_e32 v5, v1, v0
	v_add_u32_e32 v11, 1, v10
	s_movk_i32 s8, 0x84
	v_mov_b32_e32 v2, 0x1080
	v_cmp_ne_u32_e64 s[2:3], 0, v5
	v_mov_b32_e32 v5, 0x2100
	v_cmp_lt_u32_e64 s[4:5], 5, v7
	v_and_b32_e32 v7, -4, v11
	v_mad_u32_u24 v4, v0, s8, v2
	v_mul_u32_u24_e32 v3, 0x84, v0
	s_add_i32 s9, s16, s17
	s_movk_i32 s12, 0x2100
	v_mad_u32_u24 v5, v0, s8, v5
	v_lshlrev_b32_e32 v9, 2, v0
	v_lshl_add_u32 v10, v7, 1, v1
	s_movk_i32 s26, 0x1080
	s_mov_b32 s27, 0
	v_add_u32_e32 v8, v4, v9
	v_add_u32_e32 v9, v5, v9
	v_cmp_ne_u32_e64 s[6:7], v11, v7
	v_mul_u32_u24_e32 v11, 0x84, v1
	v_mad_u32_u24 v12, v1, s8, v2
	v_add3_u32 v13, v3, v6, s12
	s_mov_b32 s28, 0xf800000
	v_mov_b32_e32 v14, 0x260
	v_mov_b32_e32 v15, 0
	;; [unrolled: 1-line block ×3, first 2 shown]
	v_lshlrev_b32_e32 v16, 2, v10
	v_mul_lo_u32 v17, v10, s8
	s_branch .LBB11_102
.LBB11_101:                             ;   in Loop: Header=BB11_102 Depth=1
	s_or_b64 exec, exec, s[8:9]
	s_add_i32 s27, s27, 1
	s_add_i32 s26, s26, 4
	s_cmp_eq_u32 s27, s50
	v_add_u32_e32 v12, 4, v12
	s_waitcnt lgkmcnt(0)
	s_cbranch_scc1 .LBB11_119
.LBB11_102:                             ; =>This Loop Header: Depth=1
                                        ;     Child Loop BB11_112 Depth 2
                                        ;     Child Loop BB11_118 Depth 2
	v_cmp_eq_u32_e32 vcc, s27, v0
	s_and_saveexec_b64 s[12:13], vcc
	s_cbranch_execz .LBB11_104
; %bb.103:                              ;   in Loop: Header=BB11_102 Depth=1
	ds_read_b32 v2, v8
	ds_read_b32 v3, v9
	s_waitcnt lgkmcnt(0)
	v_sub_f32_e32 v2, v2, v3
	v_cmp_gt_f32_e32 vcc, 0, v2
	s_nop 1
	v_cndmask_b32_e64 v2, v2, -v2, vcc
	v_mul_f32_e32 v3, 0x4f800000, v2
	v_cmp_gt_f32_e32 vcc, s28, v2
	s_nop 1
	v_cndmask_b32_e32 v2, v2, v3, vcc
	v_sqrt_f32_e32 v3, v2
	s_nop 0
	v_add_u32_e32 v18, -1, v3
	v_add_u32_e32 v19, 1, v3
	v_fma_f32 v20, -v18, v3, v2
	v_fma_f32 v22, -v19, v3, v2
	v_cmp_ge_f32_e64 s[8:9], 0, v20
	s_nop 1
	v_cndmask_b32_e64 v3, v3, v18, s[8:9]
	v_cmp_lt_f32_e64 s[8:9], 0, v22
	s_nop 1
	v_cndmask_b32_e64 v3, v3, v19, s[8:9]
	v_mul_f32_e32 v18, 0x37800000, v3
	v_cndmask_b32_e32 v3, v3, v18, vcc
	v_cmp_class_f32_e32 vcc, v2, v14
	s_nop 1
	v_cndmask_b32_e32 v2, v3, v2, vcc
	ds_write_b32 v8, v2
.LBB11_104:                             ;   in Loop: Header=BB11_102 Depth=1
	s_or_b64 exec, exec, s[12:13]
	s_lshl_b32 s8, s27, 2
	s_mul_i32 s9, s27, 0x84
	s_add_i32 s9, s9, s8
	v_mov_b32_e32 v2, s9
	s_waitcnt lgkmcnt(0)
	ds_read_b32 v18, v2 offset:4224
	v_add_u32_e32 v3, s8, v4
	ds_read_b32 v2, v3
	s_waitcnt lgkmcnt(1)
	v_cmp_neq_f32_e32 vcc, 0, v18
	s_nop 1
	v_cndmask_b32_e32 v18, 1.0, v18, vcc
	s_nor_b64 s[12:13], vcc, s[2:3]
	s_and_saveexec_b64 s[8:9], s[12:13]
	s_cbranch_execz .LBB11_108
; %bb.105:                              ;   in Loop: Header=BB11_102 Depth=1
	v_mbcnt_lo_u32_b32 v18, exec_lo, 0
	v_mbcnt_hi_u32_b32 v18, exec_hi, v18
	v_cmp_eq_u32_e32 vcc, 0, v18
	s_and_saveexec_b64 s[12:13], vcc
	s_cbranch_execz .LBB11_107
; %bb.106:                              ;   in Loop: Header=BB11_102 Depth=1
	global_atomic_smin v15, v21, s[18:19]
.LBB11_107:                             ;   in Loop: Header=BB11_102 Depth=1
	s_or_b64 exec, exec, s[12:13]
	v_mov_b32_e32 v18, 1.0
.LBB11_108:                             ;   in Loop: Header=BB11_102 Depth=1
	s_or_b64 exec, exec, s[8:9]
	v_cmp_lt_u32_e32 vcc, s27, v0
	s_and_saveexec_b64 s[8:9], vcc
	s_cbranch_execz .LBB11_101
; %bb.109:                              ;   in Loop: Header=BB11_102 Depth=1
	v_lshl_add_u32 v19, s27, 2, v5
	ds_read_b32 v19, v19
	s_waitcnt lgkmcnt(0)
	v_sub_f32_e32 v2, v2, v19
	v_div_scale_f32 v19, s[12:13], v18, v18, v2
	v_rcp_f32_e32 v20, v19
	v_div_scale_f32 v22, vcc, v2, v18, v2
	v_fma_f32 v23, -v19, v20, 1.0
	v_fmac_f32_e32 v20, v23, v20
	v_mul_f32_e32 v23, v22, v20
	v_fma_f32 v24, -v19, v23, v22
	v_fmac_f32_e32 v23, v24, v20
	v_fma_f32 v19, -v19, v23, v22
	v_div_fmas_f32 v19, v19, v20, v23
	v_div_fixup_f32 v2, v19, v18, v2
	ds_write_b32 v3, v2
	s_waitcnt lgkmcnt(0)
	s_and_b64 exec, exec, s[0:1]
	s_cbranch_execz .LBB11_101
; %bb.110:                              ;   in Loop: Header=BB11_102 Depth=1
	s_mov_b64 s[20:21], -1
	v_mov_b32_e32 v3, v1
	v_mov_b32_e32 v18, v6
	;; [unrolled: 1-line block ×3, first 2 shown]
	s_and_saveexec_b64 s[12:13], s[4:5]
	s_cbranch_execz .LBB11_116
; %bb.111:                              ;   in Loop: Header=BB11_102 Depth=1
	v_mov_b32_e32 v3, v2
	s_mov_b64 s[20:21], 0
	v_mov_b32_e32 v18, v7
	v_mov_b32_e32 v19, v13
	;; [unrolled: 1-line block ×3, first 2 shown]
.LBB11_112:                             ;   Parent Loop BB11_102 Depth=1
                                        ; =>  This Inner Loop Header: Depth=2
	ds_read2_b32 v[22:23], v20 offset1:66
	ds_read2_b32 v[24:25], v20 offset0:132 offset1:198
	ds_read2_b32 v[26:27], v19 offset1:2
	ds_read2_b32 v[28:29], v19 offset0:4 offset1:6
	v_add_u32_e32 v18, -4, v18
	v_cmp_eq_u32_e32 vcc, 0, v18
	v_add_u32_e32 v20, 0x420, v20
	s_waitcnt lgkmcnt(1)
	v_pk_fma_f32 v[22:23], v[2:3], v[22:23], v[26:27]
	s_waitcnt lgkmcnt(0)
	v_pk_fma_f32 v[24:25], v[2:3], v[24:25], v[28:29]
	ds_write2_b32 v19, v22, v23 offset1:2
	ds_write2_b32 v19, v24, v25 offset0:4 offset1:6
	s_or_b64 s[20:21], vcc, s[20:21]
	v_add_u32_e32 v19, 32, v19
	s_andn2_b64 exec, exec, s[20:21]
	s_cbranch_execnz .LBB11_112
; %bb.113:                              ;   in Loop: Header=BB11_102 Depth=1
	s_or_b64 exec, exec, s[20:21]
	s_mov_b64 s[20:21], 0
	s_and_saveexec_b64 s[22:23], s[6:7]
; %bb.114:                              ;   in Loop: Header=BB11_102 Depth=1
	s_mov_b64 s[20:21], exec
; %bb.115:                              ;   in Loop: Header=BB11_102 Depth=1
	s_or_b64 exec, exec, s[22:23]
	s_orn2_b64 s[20:21], s[20:21], exec
	v_mov_b32_e32 v3, v10
	v_mov_b32_e32 v18, v16
	;; [unrolled: 1-line block ×3, first 2 shown]
.LBB11_116:                             ;   in Loop: Header=BB11_102 Depth=1
	s_or_b64 exec, exec, s[12:13]
	s_and_b64 exec, exec, s[20:21]
	s_cbranch_execz .LBB11_101
; %bb.117:                              ;   in Loop: Header=BB11_102 Depth=1
	v_add_u32_e32 v18, v5, v18
	v_add_u32_e32 v19, s26, v19
	s_mov_b64 s[12:13], 0
.LBB11_118:                             ;   Parent Loop BB11_102 Depth=1
                                        ; =>  This Inner Loop Header: Depth=2
	ds_read_b32 v20, v19
	ds_read_b32 v22, v18
	v_add_u32_e32 v3, 2, v3
	v_cmp_le_i32_e32 vcc, s50, v3
	s_or_b64 s[12:13], vcc, s[12:13]
	v_add_u32_e32 v19, 0x108, v19
	s_waitcnt lgkmcnt(0)
	v_fmac_f32_e32 v22, v2, v20
	ds_write_b32 v18, v22
	v_add_u32_e32 v18, 8, v18
	s_andn2_b64 exec, exec, s[12:13]
	s_cbranch_execnz .LBB11_118
	s_branch .LBB11_101
.LBB11_119:
	s_and_saveexec_b64 s[2:3], s[0:1]
	s_cbranch_execz .LBB11_128
; %bb.120:
	s_mul_i32 s33, s33, s50
	v_add_u32_e32 v2, s33, v0
	s_cmp_lg_u32 s51, 0
	v_mul_lo_u32 v4, v2, s50
	v_mul_u32_u24_e32 v2, 0x84, v0
	s_movk_i32 s6, 0x1080
	v_cmp_gt_i32_e64 s[0:1], s50, v0
	s_cselect_b64 s[4:5], -1, 0
	v_add3_u32 v5, v2, v6, s6
	s_mov_b64 s[6:7], 0
	v_mov_b32_e32 v6, v1
	s_branch .LBB11_124
.LBB11_121:                             ;   in Loop: Header=BB11_124 Depth=1
	v_add_u32_e32 v2, v4, v6
.LBB11_122:                             ;   in Loop: Header=BB11_124 Depth=1
	v_ashrrev_i32_e32 v3, 31, v2
	v_lshl_add_u64 v[2:3], v[2:3], 2, s[24:25]
	s_waitcnt lgkmcnt(0)
	global_store_dword v[2:3], v7, off
.LBB11_123:                             ;   in Loop: Header=BB11_124 Depth=1
	s_or_b64 exec, exec, s[8:9]
	v_add_u32_e32 v6, 2, v6
	v_cmp_le_i32_e32 vcc, s50, v6
	s_or_b64 s[6:7], vcc, s[6:7]
	v_add_u32_e32 v5, 8, v5
	s_andn2_b64 exec, exec, s[6:7]
	s_cbranch_execz .LBB11_128
.LBB11_124:                             ; =>This Inner Loop Header: Depth=1
	s_and_saveexec_b64 s[8:9], s[0:1]
	s_cbranch_execz .LBB11_123
; %bb.125:                              ;   in Loop: Header=BB11_124 Depth=1
	ds_read_b32 v7, v5
	s_and_b64 vcc, exec, s[4:5]
	s_cbranch_vccz .LBB11_127
; %bb.126:                              ;   in Loop: Header=BB11_124 Depth=1
	v_add_u32_e32 v2, s33, v6
	v_mad_u64_u32 v[2:3], s[12:13], v2, s50, v[0:1]
	s_cbranch_execnz .LBB11_122
	s_branch .LBB11_121
.LBB11_127:                             ;   in Loop: Header=BB11_124 Depth=1
                                        ; implicit-def: $vgpr2
	s_branch .LBB11_121
.LBB11_128:
	s_or_b64 exec, exec, s[2:3]
	v_or_b32_e32 v2, v1, v0
	v_cmp_eq_u32_e32 vcc, 0, v2
	s_and_saveexec_b64 s[0:1], vcc
	s_cbranch_execz .LBB11_130
; %bb.129:
	s_add_u32 s2, s14, s10
	s_addc_u32 s3, s15, s11
	v_mov_b32_e32 v2, 0
	v_mov_b32_e32 v3, 1
	buffer_wbl2 sc1
	s_waitcnt vmcnt(0)
	global_store_dword v2, v3, s[2:3] sc1
.LBB11_130:
	s_or_b64 exec, exec, s[0:1]
.LBB11_131:
	s_endpgm
.LBB11_132:
	s_cbranch_execz .LBB11_131
; %bb.133:
	v_or_b32_e32 v0, v1, v0
	v_cmp_eq_u32_e32 vcc, 0, v0
	s_and_saveexec_b64 s[0:1], vcc
	s_cbranch_execz .LBB11_131
; %bb.134:
	v_mbcnt_lo_u32_b32 v0, exec_lo, 0
	v_mbcnt_hi_u32_b32 v0, exec_hi, v0
	v_cmp_eq_u32_e32 vcc, 0, v0
	s_and_saveexec_b64 s[0:1], vcc
	s_cbranch_execz .LBB11_136
; %bb.135:
	s_add_i32 s2, s16, s17
	v_mov_b32_e32 v0, 0
	v_mov_b32_e32 v1, s2
	global_atomic_smin v0, v1, s[18:19]
.LBB11_136:
	s_or_b64 exec, exec, s[0:1]
	s_add_u32 s0, s14, s10
	s_addc_u32 s1, s15, s11
	v_mov_b32_e32 v0, 0
	v_mov_b32_e32 v1, 1
	buffer_wbl2 sc1
	s_waitcnt vmcnt(0)
	global_store_dword v0, v1, s[0:1] sc1
	s_endpgm
	.section	.rodata,"a",@progbits
	.p2align	6, 0x0
	.amdhsa_kernel _ZN9rocsparseL19bsric0_17_32_kernelILi64ELi32ELi32EfEEv20rocsparse_direction_iiPKiS3_PT2_S3_PiS3_S6_21rocsparse_index_base_
		.amdhsa_group_segment_fixed_size 13056
		.amdhsa_private_segment_fixed_size 0
		.amdhsa_kernarg_size 76
		.amdhsa_user_sgpr_count 2
		.amdhsa_user_sgpr_dispatch_ptr 0
		.amdhsa_user_sgpr_queue_ptr 0
		.amdhsa_user_sgpr_kernarg_segment_ptr 1
		.amdhsa_user_sgpr_dispatch_id 0
		.amdhsa_user_sgpr_kernarg_preload_length 0
		.amdhsa_user_sgpr_kernarg_preload_offset 0
		.amdhsa_user_sgpr_private_segment_size 0
		.amdhsa_uses_dynamic_stack 0
		.amdhsa_enable_private_segment 0
		.amdhsa_system_sgpr_workgroup_id_x 1
		.amdhsa_system_sgpr_workgroup_id_y 0
		.amdhsa_system_sgpr_workgroup_id_z 0
		.amdhsa_system_sgpr_workgroup_info 0
		.amdhsa_system_vgpr_workitem_id 1
		.amdhsa_next_free_vgpr 129
		.amdhsa_next_free_sgpr 96
		.amdhsa_accum_offset 36
		.amdhsa_reserve_vcc 1
		.amdhsa_float_round_mode_32 0
		.amdhsa_float_round_mode_16_64 0
		.amdhsa_float_denorm_mode_32 3
		.amdhsa_float_denorm_mode_16_64 3
		.amdhsa_dx10_clamp 1
		.amdhsa_ieee_mode 1
		.amdhsa_fp16_overflow 0
		.amdhsa_tg_split 0
		.amdhsa_exception_fp_ieee_invalid_op 0
		.amdhsa_exception_fp_denorm_src 0
		.amdhsa_exception_fp_ieee_div_zero 0
		.amdhsa_exception_fp_ieee_overflow 0
		.amdhsa_exception_fp_ieee_underflow 0
		.amdhsa_exception_fp_ieee_inexact 0
		.amdhsa_exception_int_div_zero 0
	.end_amdhsa_kernel
	.section	.text._ZN9rocsparseL19bsric0_17_32_kernelILi64ELi32ELi32EfEEv20rocsparse_direction_iiPKiS3_PT2_S3_PiS3_S6_21rocsparse_index_base_,"axG",@progbits,_ZN9rocsparseL19bsric0_17_32_kernelILi64ELi32ELi32EfEEv20rocsparse_direction_iiPKiS3_PT2_S3_PiS3_S6_21rocsparse_index_base_,comdat
.Lfunc_end11:
	.size	_ZN9rocsparseL19bsric0_17_32_kernelILi64ELi32ELi32EfEEv20rocsparse_direction_iiPKiS3_PT2_S3_PiS3_S6_21rocsparse_index_base_, .Lfunc_end11-_ZN9rocsparseL19bsric0_17_32_kernelILi64ELi32ELi32EfEEv20rocsparse_direction_iiPKiS3_PT2_S3_PiS3_S6_21rocsparse_index_base_
                                        ; -- End function
	.set _ZN9rocsparseL19bsric0_17_32_kernelILi64ELi32ELi32EfEEv20rocsparse_direction_iiPKiS3_PT2_S3_PiS3_S6_21rocsparse_index_base_.num_vgpr, 36
	.set _ZN9rocsparseL19bsric0_17_32_kernelILi64ELi32ELi32EfEEv20rocsparse_direction_iiPKiS3_PT2_S3_PiS3_S6_21rocsparse_index_base_.num_agpr, 0
	.set _ZN9rocsparseL19bsric0_17_32_kernelILi64ELi32ELi32EfEEv20rocsparse_direction_iiPKiS3_PT2_S3_PiS3_S6_21rocsparse_index_base_.numbered_sgpr, 60
	.set _ZN9rocsparseL19bsric0_17_32_kernelILi64ELi32ELi32EfEEv20rocsparse_direction_iiPKiS3_PT2_S3_PiS3_S6_21rocsparse_index_base_.num_named_barrier, 0
	.set _ZN9rocsparseL19bsric0_17_32_kernelILi64ELi32ELi32EfEEv20rocsparse_direction_iiPKiS3_PT2_S3_PiS3_S6_21rocsparse_index_base_.private_seg_size, 0
	.set _ZN9rocsparseL19bsric0_17_32_kernelILi64ELi32ELi32EfEEv20rocsparse_direction_iiPKiS3_PT2_S3_PiS3_S6_21rocsparse_index_base_.uses_vcc, 1
	.set _ZN9rocsparseL19bsric0_17_32_kernelILi64ELi32ELi32EfEEv20rocsparse_direction_iiPKiS3_PT2_S3_PiS3_S6_21rocsparse_index_base_.uses_flat_scratch, 0
	.set _ZN9rocsparseL19bsric0_17_32_kernelILi64ELi32ELi32EfEEv20rocsparse_direction_iiPKiS3_PT2_S3_PiS3_S6_21rocsparse_index_base_.has_dyn_sized_stack, 0
	.set _ZN9rocsparseL19bsric0_17_32_kernelILi64ELi32ELi32EfEEv20rocsparse_direction_iiPKiS3_PT2_S3_PiS3_S6_21rocsparse_index_base_.has_recursion, 0
	.set _ZN9rocsparseL19bsric0_17_32_kernelILi64ELi32ELi32EfEEv20rocsparse_direction_iiPKiS3_PT2_S3_PiS3_S6_21rocsparse_index_base_.has_indirect_call, 0
	.section	.AMDGPU.csdata,"",@progbits
; Kernel info:
; codeLenInByte = 4048
; TotalNumSgprs: 66
; NumVgprs: 36
; NumAgprs: 0
; TotalNumVgprs: 36
; ScratchSize: 0
; MemoryBound: 0
; FloatMode: 240
; IeeeMode: 1
; LDSByteSize: 13056 bytes/workgroup (compile time only)
; SGPRBlocks: 12
; VGPRBlocks: 16
; NumSGPRsForWavesPerEU: 102
; NumVGPRsForWavesPerEU: 129
; AccumOffset: 36
; Occupancy: 3
; WaveLimiterHint : 1
; COMPUTE_PGM_RSRC2:SCRATCH_EN: 0
; COMPUTE_PGM_RSRC2:USER_SGPR: 2
; COMPUTE_PGM_RSRC2:TRAP_HANDLER: 0
; COMPUTE_PGM_RSRC2:TGID_X_EN: 1
; COMPUTE_PGM_RSRC2:TGID_Y_EN: 0
; COMPUTE_PGM_RSRC2:TGID_Z_EN: 0
; COMPUTE_PGM_RSRC2:TIDIG_COMP_CNT: 1
; COMPUTE_PGM_RSRC3_GFX90A:ACCUM_OFFSET: 8
; COMPUTE_PGM_RSRC3_GFX90A:TG_SPLIT: 0
	.section	.text._ZN9rocsparseL23bsric0_binsearch_kernelILj64ELj64ELb0EfEEv20rocsparse_direction_iiPKiS3_PT2_S3_PiS3_S6_21rocsparse_index_base_,"axG",@progbits,_ZN9rocsparseL23bsric0_binsearch_kernelILj64ELj64ELb0EfEEv20rocsparse_direction_iiPKiS3_PT2_S3_PiS3_S6_21rocsparse_index_base_,comdat
	.globl	_ZN9rocsparseL23bsric0_binsearch_kernelILj64ELj64ELb0EfEEv20rocsparse_direction_iiPKiS3_PT2_S3_PiS3_S6_21rocsparse_index_base_ ; -- Begin function _ZN9rocsparseL23bsric0_binsearch_kernelILj64ELj64ELb0EfEEv20rocsparse_direction_iiPKiS3_PT2_S3_PiS3_S6_21rocsparse_index_base_
	.p2align	8
	.type	_ZN9rocsparseL23bsric0_binsearch_kernelILj64ELj64ELb0EfEEv20rocsparse_direction_iiPKiS3_PT2_S3_PiS3_S6_21rocsparse_index_base_,@function
_ZN9rocsparseL23bsric0_binsearch_kernelILj64ELj64ELb0EfEEv20rocsparse_direction_iiPKiS3_PT2_S3_PiS3_S6_21rocsparse_index_base_: ; @_ZN9rocsparseL23bsric0_binsearch_kernelILj64ELj64ELb0EfEEv20rocsparse_direction_iiPKiS3_PT2_S3_PiS3_S6_21rocsparse_index_base_
; %bb.0:
	s_load_dwordx8 s[16:23], s[0:1], 0x28
	s_ashr_i32 s3, s2, 31
	s_lshl_b64 s[2:3], s[2:3], 2
	v_mov_b32_e32 v1, 0
	s_load_dword s33, s[0:1], 0x48
	s_waitcnt lgkmcnt(0)
	s_add_u32 s2, s20, s2
	s_addc_u32 s3, s21, s3
	global_load_dword v2, v1, s[2:3]
	s_waitcnt vmcnt(0)
	v_ashrrev_i32_e32 v3, 31, v2
	v_lshlrev_b64 v[4:5], 2, v[2:3]
	v_lshl_add_u64 v[4:5], s[16:17], 0, v[4:5]
	global_load_dword v1, v[4:5], off
	s_waitcnt vmcnt(0)
	v_readfirstlane_b32 s2, v1
	s_cmp_lg_u32 s2, -1
	s_cselect_b64 s[2:3], -1, 0
	s_and_saveexec_b64 s[4:5], s[2:3]
	s_xor_b64 s[14:15], exec, s[4:5]
	s_cbranch_execz .LBB12_69
; %bb.1:
	s_load_dword s50, s[0:1], 0x8
	s_waitcnt lgkmcnt(0)
	v_cmp_gt_i32_e32 vcc, s50, v0
	s_and_saveexec_b64 s[20:21], vcc
	s_cbranch_execz .LBB12_66
; %bb.2:
	s_load_dwordx4 s[24:27], s[0:1], 0x10
	s_load_dword s4, s[0:1], 0x0
	s_load_dwordx2 s[28:29], s[0:1], 0x20
	s_mul_i32 s51, s50, s50
	v_cmp_ne_u32_e64 s[0:1], 0, v0
	s_waitcnt lgkmcnt(0)
	v_lshl_add_u64 v[4:5], v[2:3], 2, s[24:25]
	global_load_dwordx2 v[4:5], v[4:5], off
	s_cmp_eq_u32 s4, 0
	s_cselect_b64 s[2:3], -1, 0
	s_cmp_lg_u32 s4, 0
	v_add_u32_e32 v18, s33, v2
	s_mov_b64 s[30:31], 0
	v_mov_b32_e32 v19, 0
	s_mov_b32 s52, 0xf800000
	v_mov_b32_e32 v20, 0x260
	v_mul_lo_u32 v21, v1, s51
	s_cselect_b64 s[34:35], -1, 0
	s_waitcnt vmcnt(0)
	v_subrev_u32_e32 v22, s33, v4
	v_xad_u32 v23, s33, -1, v5
	v_add_u32_e32 v4, v23, v22
	v_ashrrev_i32_e32 v4, 1, v4
	v_mul_lo_u32 v24, s51, v22
	v_ashrrev_i32_e32 v5, 31, v4
	v_cmp_lt_i32_e64 s[4:5], v22, v1
	v_cmp_ge_i32_e64 s[6:7], v22, v1
	v_cmp_lt_i32_e64 s[8:9], v22, v23
	v_add_u32_e32 v25, v24, v0
	v_lshl_add_u64 v[6:7], v[4:5], 2, s[26:27]
	v_mov_b32_e32 v5, v0
	s_branch .LBB12_4
.LBB12_3:                               ;   in Loop: Header=BB12_4 Depth=1
	v_add_u32_e32 v5, 64, v5
	v_cmp_le_i32_e32 vcc, s50, v5
	s_or_b64 s[30:31], vcc, s[30:31]
	v_add_u32_e32 v25, 64, v25
	s_andn2_b64 exec, exec, s[30:31]
	s_cbranch_execz .LBB12_66
.LBB12_4:                               ; =>This Loop Header: Depth=1
                                        ;     Child Loop BB12_9 Depth 2
                                        ;       Child Loop BB12_12 Depth 3
                                        ;       Child Loop BB12_16 Depth 3
                                        ;         Child Loop BB12_18 Depth 4
                                        ;         Child Loop BB12_25 Depth 4
                                        ;           Child Loop BB12_27 Depth 5
                                        ;           Child Loop BB12_33 Depth 5
                                        ;     Child Loop BB12_40 Depth 2
                                        ;       Child Loop BB12_44 Depth 3
                                        ;       Child Loop BB12_52 Depth 3
                                        ;         Child Loop BB12_54 Depth 4
                                        ;       Child Loop BB12_62 Depth 3
	v_mul_lo_u32 v26, v5, s50
	s_and_saveexec_b64 s[10:11], s[6:7]
	s_xor_b64 s[10:11], exec, s[10:11]
; %bb.5:                                ;   in Loop: Header=BB12_4 Depth=1
	v_mul_lo_u32 v26, v5, s50
; %bb.6:                                ;   in Loop: Header=BB12_4 Depth=1
	s_or_saveexec_b64 s[36:37], s[10:11]
	v_mov_b32_e32 v27, 0
	s_xor_b64 exec, exec, s[36:37]
	s_cbranch_execz .LBB12_37
; %bb.7:                                ;   in Loop: Header=BB12_4 Depth=1
	v_mov_b32_e32 v27, 0
	s_mov_b64 s[38:39], 0
	v_mov_b32_e32 v8, v22
	s_branch .LBB12_9
.LBB12_8:                               ;   in Loop: Header=BB12_9 Depth=2
	s_or_b64 exec, exec, s[40:41]
	v_add_u32_e32 v8, 1, v8
	v_cmp_ge_i32_e32 vcc, v8, v1
	s_xor_b64 s[10:11], s[10:11], -1
	s_or_b64 s[10:11], s[10:11], vcc
	s_and_b64 s[10:11], exec, s[10:11]
	s_or_b64 s[38:39], s[10:11], s[38:39]
	s_andn2_b64 exec, exec, s[38:39]
	s_cbranch_execz .LBB12_36
.LBB12_9:                               ;   Parent Loop BB12_4 Depth=1
                                        ; =>  This Loop Header: Depth=2
                                        ;       Child Loop BB12_12 Depth 3
                                        ;       Child Loop BB12_16 Depth 3
                                        ;         Child Loop BB12_18 Depth 4
                                        ;         Child Loop BB12_25 Depth 4
                                        ;           Child Loop BB12_27 Depth 5
                                        ;           Child Loop BB12_33 Depth 5
	v_ashrrev_i32_e32 v9, 31, v8
	v_lshl_add_u64 v[10:11], v[8:9], 2, s[26:27]
	global_load_dword v9, v[10:11], off
	s_waitcnt vmcnt(0)
	v_subrev_u32_e32 v10, s33, v9
	v_ashrrev_i32_e32 v11, 31, v10
	v_lshl_add_u64 v[12:13], v[10:11], 2, s[16:17]
	global_load_dword v28, v[12:13], off
	s_waitcnt vmcnt(0)
	v_cmp_ne_u32_e64 s[10:11], -1, v28
	s_and_saveexec_b64 s[40:41], s[10:11]
	s_cbranch_execz .LBB12_8
; %bb.10:                               ;   in Loop: Header=BB12_9 Depth=2
	v_lshlrev_b64 v[12:13], 2, v[10:11]
	v_lshl_add_u64 v[14:15], s[24:25], 0, v[12:13]
	v_lshl_add_u64 v[12:13], s[18:19], 0, v[12:13]
	global_load_dword v11, v[14:15], off
	s_nop 0
	global_load_dword v14, v[12:13], off sc1
	s_waitcnt vmcnt(0)
	v_cmp_eq_u32_e32 vcc, 0, v14
	s_and_saveexec_b64 s[12:13], vcc
	s_cbranch_execz .LBB12_13
; %bb.11:                               ;   in Loop: Header=BB12_9 Depth=2
	s_mov_b64 s[42:43], 0
.LBB12_12:                              ;   Parent Loop BB12_4 Depth=1
                                        ;     Parent Loop BB12_9 Depth=2
                                        ; =>    This Inner Loop Header: Depth=3
	global_load_dword v14, v[12:13], off sc1
	s_waitcnt vmcnt(0)
	v_cmp_ne_u32_e32 vcc, 0, v14
	s_or_b64 s[42:43], vcc, s[42:43]
	s_andn2_b64 exec, exec, s[42:43]
	s_cbranch_execnz .LBB12_12
.LBB12_13:                              ;   in Loop: Header=BB12_9 Depth=2
	s_or_b64 exec, exec, s[12:13]
	v_subrev_u32_e32 v29, s33, v11
	v_mul_lo_u32 v30, v10, s50
	v_mul_lo_u32 v10, v8, s51
	v_mul_lo_u32 v31, v28, s51
	v_add_u32_e32 v32, v10, v5
	v_add_u32_e32 v33, v10, v26
	v_cmp_le_i32_e64 s[12:13], v29, v28
	v_mul_lo_u32 v34, s51, v29
	s_mov_b32 s53, 0
	buffer_inv sc1
	s_branch .LBB12_16
.LBB12_14:                              ;   in Loop: Header=BB12_16 Depth=3
	s_or_b64 exec, exec, s[44:45]
.LBB12_15:                              ;   in Loop: Header=BB12_16 Depth=3
	s_or_b64 exec, exec, s[42:43]
	s_waitcnt vmcnt(0)
	v_sub_f32_e32 v12, v36, v37
	v_div_scale_f32 v13, s[42:43], v35, v35, v12
	v_rcp_f32_e32 v14, v13
	v_div_scale_f32 v15, vcc, v12, v35, v12
	s_add_i32 s53, s53, 1
	v_fma_f32 v16, -v13, v14, 1.0
	v_fmac_f32_e32 v14, v16, v14
	v_mul_f32_e32 v16, v15, v14
	v_fma_f32 v17, -v13, v16, v15
	v_fmac_f32_e32 v16, v17, v14
	v_fma_f32 v13, -v13, v16, v15
	v_div_fmas_f32 v13, v13, v14, v16
	v_div_fixup_f32 v12, v13, v35, v12
	v_fmac_f32_e32 v27, v12, v12
	s_cmp_eq_u32 s53, s50
	v_add_u32_e32 v34, 1, v34
	global_store_dword v[10:11], v12, off
	s_cbranch_scc1 .LBB12_8
.LBB12_16:                              ;   Parent Loop BB12_4 Depth=1
                                        ;     Parent Loop BB12_9 Depth=2
                                        ; =>    This Loop Header: Depth=3
                                        ;         Child Loop BB12_18 Depth 4
                                        ;         Child Loop BB12_25 Depth 4
                                        ;           Child Loop BB12_27 Depth 5
                                        ;           Child Loop BB12_33 Depth 5
	s_mul_i32 s54, s53, s50
	s_add_i32 s42, s54, s53
	v_add_u32_e32 v10, s42, v31
	v_ashrrev_i32_e32 v11, 31, v10
	v_lshl_add_u64 v[10:11], v[10:11], 2, s[28:29]
	global_load_dword v10, v[10:11], off
	s_waitcnt vmcnt(0)
	v_cmp_neq_f32_e32 vcc, 0, v10
	s_nop 1
	v_cndmask_b32_e32 v35, 1.0, v10, vcc
	s_nor_b64 s[44:45], vcc, s[0:1]
	s_and_saveexec_b64 s[42:43], s[44:45]
	s_cbranch_execz .LBB12_22
; %bb.17:                               ;   in Loop: Header=BB12_16 Depth=3
	s_mov_b64 s[44:45], exec
	s_brev_b32 s46, -2
.LBB12_18:                              ;   Parent Loop BB12_4 Depth=1
                                        ;     Parent Loop BB12_9 Depth=2
                                        ;       Parent Loop BB12_16 Depth=3
                                        ; =>      This Inner Loop Header: Depth=4
	s_ff1_i32_b64 s47, s[44:45]
	v_readlane_b32 s55, v9, s47
	s_lshl_b64 s[48:49], 1, s47
	s_min_i32 s46, s46, s55
	s_andn2_b64 s[44:45], s[44:45], s[48:49]
	s_cmp_lg_u64 s[44:45], 0
	s_cbranch_scc1 .LBB12_18
; %bb.19:                               ;   in Loop: Header=BB12_16 Depth=3
	v_mbcnt_lo_u32_b32 v10, exec_lo, 0
	v_mbcnt_hi_u32_b32 v10, exec_hi, v10
	v_cmp_eq_u32_e32 vcc, 0, v10
	s_and_saveexec_b64 s[44:45], vcc
	s_xor_b64 s[44:45], exec, s[44:45]
	s_cbranch_execz .LBB12_21
; %bb.20:                               ;   in Loop: Header=BB12_16 Depth=3
	v_mov_b32_e32 v10, s46
	global_atomic_smin v19, v10, s[22:23]
.LBB12_21:                              ;   in Loop: Header=BB12_16 Depth=3
	s_or_b64 exec, exec, s[44:45]
	v_mov_b32_e32 v35, 1.0
.LBB12_22:                              ;   in Loop: Header=BB12_16 Depth=3
	s_or_b64 exec, exec, s[42:43]
	v_add_u32_e32 v10, s54, v32
	v_add_u32_e32 v11, s53, v33
	v_cndmask_b32_e64 v10, v10, v11, s[2:3]
	v_ashrrev_i32_e32 v11, 31, v10
	v_lshl_add_u64 v[10:11], v[10:11], 2, s[28:29]
	global_load_dword v36, v[10:11], off
	v_mov_b32_e32 v37, 0
	s_and_saveexec_b64 s[42:43], s[12:13]
	s_cbranch_execz .LBB12_15
; %bb.23:                               ;   in Loop: Header=BB12_16 Depth=3
	global_load_dword v38, v[6:7], off
	v_add_u32_e32 v39, s53, v30
	v_mov_b32_e32 v37, 0
	s_mov_b64 s[44:45], 0
	v_mov_b32_e32 v40, v34
	v_mov_b32_e32 v12, v29
	s_branch .LBB12_25
.LBB12_24:                              ;   in Loop: Header=BB12_25 Depth=4
	s_or_b64 exec, exec, s[46:47]
	v_add_u32_e32 v13, 1, v12
	v_cmp_ge_i32_e32 vcc, v12, v28
	v_add_u32_e32 v40, s51, v40
	s_or_b64 s[44:45], vcc, s[44:45]
	v_mov_b32_e32 v12, v13
	s_andn2_b64 exec, exec, s[44:45]
	s_cbranch_execz .LBB12_14
.LBB12_25:                              ;   Parent Loop BB12_4 Depth=1
                                        ;     Parent Loop BB12_9 Depth=2
                                        ;       Parent Loop BB12_16 Depth=3
                                        ; =>      This Loop Header: Depth=4
                                        ;           Child Loop BB12_27 Depth 5
                                        ;           Child Loop BB12_33 Depth 5
	v_ashrrev_i32_e32 v13, 31, v12
	v_lshl_add_u64 v[14:15], v[12:13], 2, s[26:27]
	global_load_dword v13, v[14:15], off
	s_waitcnt vmcnt(1)
	v_mov_b32_e32 v15, v38
	v_mov_b32_e32 v14, v4
	s_and_saveexec_b64 s[46:47], s[8:9]
	s_cbranch_execz .LBB12_29
; %bb.26:                               ;   in Loop: Header=BB12_25 Depth=4
	s_mov_b64 s[48:49], 0
	v_mov_b32_e32 v15, v38
	v_mov_b32_e32 v14, v4
	;; [unrolled: 1-line block ×4, first 2 shown]
.LBB12_27:                              ;   Parent Loop BB12_4 Depth=1
                                        ;     Parent Loop BB12_9 Depth=2
                                        ;       Parent Loop BB12_16 Depth=3
                                        ;         Parent Loop BB12_25 Depth=4
                                        ; =>        This Inner Loop Header: Depth=5
	v_add_u32_e32 v41, 1, v14
	s_waitcnt vmcnt(0)
	v_cmp_lt_i32_e32 vcc, v15, v13
	s_nop 1
	v_cndmask_b32_e32 v17, v17, v41, vcc
	v_cndmask_b32_e32 v16, v14, v16, vcc
	v_add_u32_e32 v14, v16, v17
	v_ashrrev_i32_e32 v14, 1, v14
	v_ashrrev_i32_e32 v15, 31, v14
	v_lshl_add_u64 v[42:43], v[14:15], 2, s[26:27]
	global_load_dword v15, v[42:43], off
	v_cmp_ge_i32_e32 vcc, v17, v16
	s_or_b64 s[48:49], vcc, s[48:49]
	s_andn2_b64 exec, exec, s[48:49]
	s_cbranch_execnz .LBB12_27
; %bb.28:                               ;   in Loop: Header=BB12_25 Depth=4
	s_or_b64 exec, exec, s[48:49]
.LBB12_29:                              ;   in Loop: Header=BB12_25 Depth=4
	s_or_b64 exec, exec, s[46:47]
	s_waitcnt vmcnt(0)
	v_cmp_eq_u32_e32 vcc, v15, v13
	s_and_saveexec_b64 s[46:47], vcc
	s_cbranch_execz .LBB12_24
; %bb.30:                               ;   in Loop: Header=BB12_25 Depth=4
	v_subrev_u32_e32 v13, s33, v13
	v_mul_lo_u32 v15, v12, s51
	v_mul_lo_u32 v14, v14, s51
	;; [unrolled: 1-line block ×3, first 2 shown]
	v_add_u32_e32 v41, s54, v15
	v_add_u32_e32 v42, v14, v26
	;; [unrolled: 1-line block ×3, first 2 shown]
	s_mov_b32 s55, 0
	v_mov_b32_e32 v44, v40
	s_branch .LBB12_33
.LBB12_31:                              ;   in Loop: Header=BB12_33 Depth=5
	v_ashrrev_i32_e32 v17, 31, v16
	v_ashrrev_i32_e32 v15, 31, v14
	v_lshl_add_u64 v[16:17], v[16:17], 2, s[28:29]
	v_lshl_add_u64 v[14:15], v[14:15], 2, s[28:29]
	global_load_dword v16, v[16:17], off
	s_nop 0
	global_load_dword v14, v[14:15], off
	s_waitcnt vmcnt(0)
	v_fmac_f32_e32 v37, v16, v14
.LBB12_32:                              ;   in Loop: Header=BB12_33 Depth=5
	s_or_b64 exec, exec, s[48:49]
	s_add_i32 s55, s55, 1
	v_add_u32_e32 v43, s50, v43
	s_cmp_lg_u32 s50, s55
	v_add_u32_e32 v44, s50, v44
	s_cbranch_scc0 .LBB12_24
.LBB12_33:                              ;   Parent Loop BB12_4 Depth=1
                                        ;     Parent Loop BB12_9 Depth=2
                                        ;       Parent Loop BB12_16 Depth=3
                                        ;         Parent Loop BB12_25 Depth=4
                                        ; =>        This Inner Loop Header: Depth=5
	v_add_u32_e32 v14, s55, v13
	v_cmp_lt_i32_e32 vcc, v14, v39
	s_and_saveexec_b64 s[48:49], vcc
	s_cbranch_execz .LBB12_32
; %bb.34:                               ;   in Loop: Header=BB12_33 Depth=5
	s_andn2_b64 vcc, exec, s[2:3]
	v_mov_b32_e32 v14, v43
	v_mov_b32_e32 v16, v44
	s_cbranch_vccnz .LBB12_31
; %bb.35:                               ;   in Loop: Header=BB12_33 Depth=5
	v_add_u32_e32 v16, s55, v41
	v_add_u32_e32 v14, s55, v42
	s_branch .LBB12_31
.LBB12_36:                              ;   in Loop: Header=BB12_4 Depth=1
	s_or_b64 exec, exec, s[38:39]
.LBB12_37:                              ;   in Loop: Header=BB12_4 Depth=1
	s_or_b64 exec, exec, s[36:37]
	v_add_u32_e32 v14, v26, v21
	s_mov_b32 s40, 0
	v_mov_b32_e32 v15, v24
	s_branch .LBB12_40
.LBB12_38:                              ;   in Loop: Header=BB12_40 Depth=2
	s_waitcnt vmcnt(0)
	v_sub_f32_e32 v10, v28, v29
	v_div_scale_f32 v11, s[12:13], v17, v17, v10
	v_rcp_f32_e32 v12, v11
	v_div_scale_f32 v13, vcc, v10, v17, v10
	v_fma_f32 v16, -v11, v12, 1.0
	v_fmac_f32_e32 v12, v16, v12
	v_mul_f32_e32 v16, v13, v12
	v_fma_f32 v28, -v11, v16, v13
	v_fmac_f32_e32 v16, v28, v12
	v_fma_f32 v11, -v11, v16, v13
	v_div_fmas_f32 v11, v11, v12, v16
	v_div_fixup_f32 v10, v11, v17, v10
	v_fmac_f32_e32 v27, v10, v10
	global_store_dword v[8:9], v10, off
.LBB12_39:                              ;   in Loop: Header=BB12_40 Depth=2
	s_or_b64 exec, exec, s[10:11]
	s_add_i32 s40, s40, 1
	s_cmp_eq_u32 s40, s50
	v_add_u32_e32 v15, 1, v15
	buffer_wbl2 sc1
	s_waitcnt vmcnt(0)
	buffer_inv sc1
	s_cbranch_scc1 .LBB12_3
.LBB12_40:                              ;   Parent Loop BB12_4 Depth=1
                                        ; =>  This Loop Header: Depth=2
                                        ;       Child Loop BB12_44 Depth 3
                                        ;       Child Loop BB12_52 Depth 3
                                        ;         Child Loop BB12_54 Depth 4
                                        ;       Child Loop BB12_62 Depth 3
	s_mul_i32 s41, s40, s50
	v_add_u32_e32 v16, s41, v21
	v_add_u32_e32 v8, s40, v16
	v_ashrrev_i32_e32 v9, 31, v8
	v_cmp_eq_u32_e32 vcc, s40, v5
	v_lshl_add_u64 v[8:9], v[8:9], 2, s[28:29]
	s_and_saveexec_b64 s[12:13], vcc
	s_cbranch_execz .LBB12_42
; %bb.41:                               ;   in Loop: Header=BB12_40 Depth=2
	global_load_dword v10, v[8:9], off
	s_waitcnt vmcnt(0)
	v_sub_f32_e32 v10, v10, v27
	v_cmp_gt_f32_e32 vcc, 0, v10
	s_nop 1
	v_cndmask_b32_e64 v10, v10, -v10, vcc
	v_mul_f32_e32 v11, 0x4f800000, v10
	v_cmp_gt_f32_e32 vcc, s52, v10
	s_nop 1
	v_cndmask_b32_e32 v10, v10, v11, vcc
	v_sqrt_f32_e32 v11, v10
	s_nop 0
	v_add_u32_e32 v12, -1, v11
	v_add_u32_e32 v13, 1, v11
	v_fma_f32 v17, -v12, v11, v10
	v_fma_f32 v28, -v13, v11, v10
	v_cmp_ge_f32_e64 s[10:11], 0, v17
	s_nop 1
	v_cndmask_b32_e64 v11, v11, v12, s[10:11]
	v_cmp_lt_f32_e64 s[10:11], 0, v28
	s_nop 1
	v_cndmask_b32_e64 v11, v11, v13, s[10:11]
	v_mul_f32_e32 v12, 0x37800000, v11
	v_cndmask_b32_e32 v11, v11, v12, vcc
	v_cmp_class_f32_e32 vcc, v10, v20
	s_nop 1
	v_cndmask_b32_e32 v10, v11, v10, vcc
	global_store_dword v[8:9], v10, off
.LBB12_42:                              ;   in Loop: Header=BB12_40 Depth=2
	s_or_b64 exec, exec, s[12:13]
	buffer_wbl2 sc1
	s_waitcnt vmcnt(0)
	buffer_inv sc1
	global_load_dword v8, v[8:9], off
	s_waitcnt vmcnt(0)
	v_cmp_neq_f32_e32 vcc, 0, v8
	s_nop 1
	v_cndmask_b32_e32 v17, 1.0, v8, vcc
	s_nor_b64 s[12:13], vcc, s[0:1]
	s_and_saveexec_b64 s[10:11], s[12:13]
	s_cbranch_execz .LBB12_48
; %bb.43:                               ;   in Loop: Header=BB12_40 Depth=2
	s_mov_b64 s[12:13], exec
	s_brev_b32 s36, -2
.LBB12_44:                              ;   Parent Loop BB12_4 Depth=1
                                        ;     Parent Loop BB12_40 Depth=2
                                        ; =>    This Inner Loop Header: Depth=3
	s_ff1_i32_b64 s37, s[12:13]
	v_readlane_b32 s42, v18, s37
	s_lshl_b64 s[38:39], 1, s37
	s_min_i32 s36, s36, s42
	s_andn2_b64 s[12:13], s[12:13], s[38:39]
	s_cmp_lg_u64 s[12:13], 0
	s_cbranch_scc1 .LBB12_44
; %bb.45:                               ;   in Loop: Header=BB12_40 Depth=2
	v_mbcnt_lo_u32_b32 v8, exec_lo, 0
	v_mbcnt_hi_u32_b32 v8, exec_hi, v8
	v_cmp_eq_u32_e32 vcc, 0, v8
	s_and_saveexec_b64 s[12:13], vcc
	s_xor_b64 s[12:13], exec, s[12:13]
	s_cbranch_execz .LBB12_47
; %bb.46:                               ;   in Loop: Header=BB12_40 Depth=2
	v_mov_b32_e32 v8, s36
	global_atomic_smin v19, v8, s[22:23]
.LBB12_47:                              ;   in Loop: Header=BB12_40 Depth=2
	s_or_b64 exec, exec, s[12:13]
	v_mov_b32_e32 v17, 1.0
.LBB12_48:                              ;   in Loop: Header=BB12_40 Depth=2
	s_or_b64 exec, exec, s[10:11]
	v_cmp_lt_i32_e32 vcc, s40, v5
	s_and_saveexec_b64 s[10:11], vcc
	s_cbranch_execz .LBB12_39
; %bb.49:                               ;   in Loop: Header=BB12_40 Depth=2
	v_add_u32_e32 v8, v16, v5
	v_add_u32_e32 v9, s40, v14
	v_cndmask_b32_e64 v8, v8, v9, s[2:3]
	v_ashrrev_i32_e32 v9, 31, v8
	v_lshl_add_u64 v[8:9], v[8:9], 2, s[28:29]
	global_load_dword v28, v[8:9], off
	v_mov_b32_e32 v29, 0
	s_and_saveexec_b64 s[12:13], s[4:5]
	s_cbranch_execz .LBB12_59
; %bb.50:                               ;   in Loop: Header=BB12_40 Depth=2
	v_mov_b32_e32 v29, 0
	s_mov_b64 s[36:37], 0
	v_mov_b32_e32 v30, v15
	v_mov_b32_e32 v31, v25
	;; [unrolled: 1-line block ×3, first 2 shown]
	s_branch .LBB12_52
.LBB12_51:                              ;   in Loop: Header=BB12_52 Depth=3
	v_add_u32_e32 v32, 1, v32
	v_cmp_ge_i32_e32 vcc, v32, v1
	v_add_u32_e32 v31, s51, v31
	s_or_b64 s[36:37], vcc, s[36:37]
	v_add_u32_e32 v30, s51, v30
	s_andn2_b64 exec, exec, s[36:37]
	s_cbranch_execz .LBB12_58
.LBB12_52:                              ;   Parent Loop BB12_4 Depth=1
                                        ;     Parent Loop BB12_40 Depth=2
                                        ; =>    This Loop Header: Depth=3
                                        ;         Child Loop BB12_54 Depth 4
	v_mul_lo_u32 v10, v32, s51
	v_add_u32_e32 v33, s41, v10
	v_add_u32_e32 v34, v10, v26
	s_mov_b32 s42, 0
	s_mov_b32 s43, s50
	;; [unrolled: 1-line block ×3, first 2 shown]
	s_branch .LBB12_54
.LBB12_53:                              ;   in Loop: Header=BB12_54 Depth=4
	v_ashrrev_i32_e32 v13, 31, v12
	v_lshl_add_u64 v[12:13], v[12:13], 2, s[28:29]
	v_ashrrev_i32_e32 v11, 31, v10
	v_lshl_add_u64 v[10:11], v[10:11], 2, s[28:29]
	global_load_dword v35, v[12:13], off
	global_load_dword v36, v[10:11], off
	s_add_i32 s44, s44, 1
	s_add_i32 s42, s42, s50
	s_add_i32 s43, s43, -1
	s_cmp_eq_u32 s43, 0
	s_waitcnt vmcnt(0)
	v_fmac_f32_e32 v29, v35, v36
	s_cbranch_scc1 .LBB12_51
.LBB12_54:                              ;   Parent Loop BB12_4 Depth=1
                                        ;     Parent Loop BB12_40 Depth=2
                                        ;       Parent Loop BB12_52 Depth=3
                                        ; =>      This Inner Loop Header: Depth=4
	s_mov_b64 s[38:39], -1
	s_and_b64 vcc, exec, s[34:35]
                                        ; implicit-def: $vgpr12
                                        ; implicit-def: $vgpr10
	s_cbranch_vccz .LBB12_56
; %bb.55:                               ;   in Loop: Header=BB12_54 Depth=4
	v_add_u32_e32 v12, s42, v30
	v_add_u32_e32 v10, s42, v31
	s_mov_b64 s[38:39], 0
.LBB12_56:                              ;   in Loop: Header=BB12_54 Depth=4
	s_andn2_b64 vcc, exec, s[38:39]
	s_cbranch_vccnz .LBB12_53
; %bb.57:                               ;   in Loop: Header=BB12_54 Depth=4
	v_add_u32_e32 v12, s44, v33
	v_add_u32_e32 v10, s44, v34
	s_branch .LBB12_53
.LBB12_58:                              ;   in Loop: Header=BB12_40 Depth=2
	s_or_b64 exec, exec, s[36:37]
.LBB12_59:                              ;   in Loop: Header=BB12_40 Depth=2
	s_or_b64 exec, exec, s[12:13]
	s_cmp_eq_u32 s40, 0
	s_cbranch_scc1 .LBB12_38
; %bb.60:                               ;   in Loop: Header=BB12_40 Depth=2
	s_mov_b32 s36, 0
	v_mov_b32_e32 v30, v21
	s_branch .LBB12_62
.LBB12_61:                              ;   in Loop: Header=BB12_62 Depth=3
	v_ashrrev_i32_e32 v13, 31, v12
	v_lshl_add_u64 v[12:13], v[12:13], 2, s[28:29]
	v_ashrrev_i32_e32 v11, 31, v10
	v_lshl_add_u64 v[10:11], v[10:11], 2, s[28:29]
	global_load_dword v31, v[12:13], off
	global_load_dword v32, v[10:11], off
	s_add_i32 s36, s36, 1
	s_cmp_eq_u32 s40, s36
	v_add_u32_e32 v30, s50, v30
	s_waitcnt vmcnt(0)
	v_fmac_f32_e32 v29, v31, v32
	s_cbranch_scc1 .LBB12_38
.LBB12_62:                              ;   Parent Loop BB12_4 Depth=1
                                        ;     Parent Loop BB12_40 Depth=2
                                        ; =>    This Inner Loop Header: Depth=3
	s_mov_b64 s[12:13], -1
	s_and_b64 vcc, exec, s[34:35]
                                        ; implicit-def: $vgpr12
                                        ; implicit-def: $vgpr10
	s_cbranch_vccz .LBB12_64
; %bb.63:                               ;   in Loop: Header=BB12_62 Depth=3
	v_add_u32_e32 v12, s40, v30
	v_add_u32_e32 v10, v5, v30
	s_mov_b64 s[12:13], 0
.LBB12_64:                              ;   in Loop: Header=BB12_62 Depth=3
	s_andn2_b64 vcc, exec, s[12:13]
	s_cbranch_vccnz .LBB12_61
; %bb.65:                               ;   in Loop: Header=BB12_62 Depth=3
	v_add_u32_e32 v12, s36, v16
	v_add_u32_e32 v10, s36, v14
	s_branch .LBB12_61
.LBB12_66:
	s_or_b64 exec, exec, s[20:21]
	v_cmp_eq_u32_e32 vcc, 63, v0
	s_and_saveexec_b64 s[0:1], vcc
	s_cbranch_execz .LBB12_68
; %bb.67:
	v_lshl_add_u64 v[0:1], v[2:3], 2, s[18:19]
	v_mov_b32_e32 v2, 1
	buffer_wbl2 sc1
	global_store_dword v[0:1], v2, off sc1
.LBB12_68:
	s_or_b64 exec, exec, s[0:1]
                                        ; implicit-def: $vgpr0
                                        ; implicit-def: $vgpr2_vgpr3
.LBB12_69:
	s_andn2_saveexec_b64 s[0:1], s[14:15]
	s_cbranch_execz .LBB12_76
; %bb.70:
	v_cmp_eq_u32_e32 vcc, 63, v0
	s_and_saveexec_b64 s[0:1], vcc
	s_cbranch_execz .LBB12_76
; %bb.71:
	s_mov_b64 s[0:1], exec
	v_add_u32_e32 v0, s33, v2
	s_brev_b32 s2, -2
.LBB12_72:                              ; =>This Inner Loop Header: Depth=1
	s_ff1_i32_b64 s3, s[0:1]
	v_readlane_b32 s6, v0, s3
	s_lshl_b64 s[4:5], 1, s3
	s_min_i32 s2, s2, s6
	s_andn2_b64 s[0:1], s[0:1], s[4:5]
	s_cmp_lg_u64 s[0:1], 0
	s_cbranch_scc1 .LBB12_72
; %bb.73:
	v_mbcnt_lo_u32_b32 v0, exec_lo, 0
	v_mbcnt_hi_u32_b32 v0, exec_hi, v0
	v_cmp_eq_u32_e32 vcc, 0, v0
	s_and_saveexec_b64 s[0:1], vcc
	s_xor_b64 s[0:1], exec, s[0:1]
	s_cbranch_execz .LBB12_75
; %bb.74:
	v_mov_b32_e32 v0, 0
	v_mov_b32_e32 v1, s2
	global_atomic_smin v0, v1, s[22:23]
.LBB12_75:
	s_or_b64 exec, exec, s[0:1]
	v_lshl_add_u64 v[0:1], v[2:3], 2, s[18:19]
	v_mov_b32_e32 v2, 1
	buffer_wbl2 sc1
	s_waitcnt vmcnt(0)
	global_store_dword v[0:1], v2, off sc1
.LBB12_76:
	s_endpgm
	.section	.rodata,"a",@progbits
	.p2align	6, 0x0
	.amdhsa_kernel _ZN9rocsparseL23bsric0_binsearch_kernelILj64ELj64ELb0EfEEv20rocsparse_direction_iiPKiS3_PT2_S3_PiS3_S6_21rocsparse_index_base_
		.amdhsa_group_segment_fixed_size 0
		.amdhsa_private_segment_fixed_size 0
		.amdhsa_kernarg_size 76
		.amdhsa_user_sgpr_count 2
		.amdhsa_user_sgpr_dispatch_ptr 0
		.amdhsa_user_sgpr_queue_ptr 0
		.amdhsa_user_sgpr_kernarg_segment_ptr 1
		.amdhsa_user_sgpr_dispatch_id 0
		.amdhsa_user_sgpr_kernarg_preload_length 0
		.amdhsa_user_sgpr_kernarg_preload_offset 0
		.amdhsa_user_sgpr_private_segment_size 0
		.amdhsa_uses_dynamic_stack 0
		.amdhsa_enable_private_segment 0
		.amdhsa_system_sgpr_workgroup_id_x 1
		.amdhsa_system_sgpr_workgroup_id_y 0
		.amdhsa_system_sgpr_workgroup_id_z 0
		.amdhsa_system_sgpr_workgroup_info 0
		.amdhsa_system_vgpr_workitem_id 0
		.amdhsa_next_free_vgpr 45
		.amdhsa_next_free_sgpr 56
		.amdhsa_accum_offset 48
		.amdhsa_reserve_vcc 1
		.amdhsa_float_round_mode_32 0
		.amdhsa_float_round_mode_16_64 0
		.amdhsa_float_denorm_mode_32 3
		.amdhsa_float_denorm_mode_16_64 3
		.amdhsa_dx10_clamp 1
		.amdhsa_ieee_mode 1
		.amdhsa_fp16_overflow 0
		.amdhsa_tg_split 0
		.amdhsa_exception_fp_ieee_invalid_op 0
		.amdhsa_exception_fp_denorm_src 0
		.amdhsa_exception_fp_ieee_div_zero 0
		.amdhsa_exception_fp_ieee_overflow 0
		.amdhsa_exception_fp_ieee_underflow 0
		.amdhsa_exception_fp_ieee_inexact 0
		.amdhsa_exception_int_div_zero 0
	.end_amdhsa_kernel
	.section	.text._ZN9rocsparseL23bsric0_binsearch_kernelILj64ELj64ELb0EfEEv20rocsparse_direction_iiPKiS3_PT2_S3_PiS3_S6_21rocsparse_index_base_,"axG",@progbits,_ZN9rocsparseL23bsric0_binsearch_kernelILj64ELj64ELb0EfEEv20rocsparse_direction_iiPKiS3_PT2_S3_PiS3_S6_21rocsparse_index_base_,comdat
.Lfunc_end12:
	.size	_ZN9rocsparseL23bsric0_binsearch_kernelILj64ELj64ELb0EfEEv20rocsparse_direction_iiPKiS3_PT2_S3_PiS3_S6_21rocsparse_index_base_, .Lfunc_end12-_ZN9rocsparseL23bsric0_binsearch_kernelILj64ELj64ELb0EfEEv20rocsparse_direction_iiPKiS3_PT2_S3_PiS3_S6_21rocsparse_index_base_
                                        ; -- End function
	.set _ZN9rocsparseL23bsric0_binsearch_kernelILj64ELj64ELb0EfEEv20rocsparse_direction_iiPKiS3_PT2_S3_PiS3_S6_21rocsparse_index_base_.num_vgpr, 45
	.set _ZN9rocsparseL23bsric0_binsearch_kernelILj64ELj64ELb0EfEEv20rocsparse_direction_iiPKiS3_PT2_S3_PiS3_S6_21rocsparse_index_base_.num_agpr, 0
	.set _ZN9rocsparseL23bsric0_binsearch_kernelILj64ELj64ELb0EfEEv20rocsparse_direction_iiPKiS3_PT2_S3_PiS3_S6_21rocsparse_index_base_.numbered_sgpr, 56
	.set _ZN9rocsparseL23bsric0_binsearch_kernelILj64ELj64ELb0EfEEv20rocsparse_direction_iiPKiS3_PT2_S3_PiS3_S6_21rocsparse_index_base_.num_named_barrier, 0
	.set _ZN9rocsparseL23bsric0_binsearch_kernelILj64ELj64ELb0EfEEv20rocsparse_direction_iiPKiS3_PT2_S3_PiS3_S6_21rocsparse_index_base_.private_seg_size, 0
	.set _ZN9rocsparseL23bsric0_binsearch_kernelILj64ELj64ELb0EfEEv20rocsparse_direction_iiPKiS3_PT2_S3_PiS3_S6_21rocsparse_index_base_.uses_vcc, 1
	.set _ZN9rocsparseL23bsric0_binsearch_kernelILj64ELj64ELb0EfEEv20rocsparse_direction_iiPKiS3_PT2_S3_PiS3_S6_21rocsparse_index_base_.uses_flat_scratch, 0
	.set _ZN9rocsparseL23bsric0_binsearch_kernelILj64ELj64ELb0EfEEv20rocsparse_direction_iiPKiS3_PT2_S3_PiS3_S6_21rocsparse_index_base_.has_dyn_sized_stack, 0
	.set _ZN9rocsparseL23bsric0_binsearch_kernelILj64ELj64ELb0EfEEv20rocsparse_direction_iiPKiS3_PT2_S3_PiS3_S6_21rocsparse_index_base_.has_recursion, 0
	.set _ZN9rocsparseL23bsric0_binsearch_kernelILj64ELj64ELb0EfEEv20rocsparse_direction_iiPKiS3_PT2_S3_PiS3_S6_21rocsparse_index_base_.has_indirect_call, 0
	.section	.AMDGPU.csdata,"",@progbits
; Kernel info:
; codeLenInByte = 2472
; TotalNumSgprs: 62
; NumVgprs: 45
; NumAgprs: 0
; TotalNumVgprs: 45
; ScratchSize: 0
; MemoryBound: 0
; FloatMode: 240
; IeeeMode: 1
; LDSByteSize: 0 bytes/workgroup (compile time only)
; SGPRBlocks: 7
; VGPRBlocks: 5
; NumSGPRsForWavesPerEU: 62
; NumVGPRsForWavesPerEU: 45
; AccumOffset: 48
; Occupancy: 8
; WaveLimiterHint : 1
; COMPUTE_PGM_RSRC2:SCRATCH_EN: 0
; COMPUTE_PGM_RSRC2:USER_SGPR: 2
; COMPUTE_PGM_RSRC2:TRAP_HANDLER: 0
; COMPUTE_PGM_RSRC2:TGID_X_EN: 1
; COMPUTE_PGM_RSRC2:TGID_Y_EN: 0
; COMPUTE_PGM_RSRC2:TGID_Z_EN: 0
; COMPUTE_PGM_RSRC2:TIDIG_COMP_CNT: 0
; COMPUTE_PGM_RSRC3_GFX90A:ACCUM_OFFSET: 11
; COMPUTE_PGM_RSRC3_GFX90A:TG_SPLIT: 0
	.section	.text._ZN9rocsparseL17bsric0_2_8_kernelILi64ELi64ELi8EfEEv20rocsparse_direction_iiPKiS3_PT2_S3_PiS3_S6_21rocsparse_index_base_,"axG",@progbits,_ZN9rocsparseL17bsric0_2_8_kernelILi64ELi64ELi8EfEEv20rocsparse_direction_iiPKiS3_PT2_S3_PiS3_S6_21rocsparse_index_base_,comdat
	.globl	_ZN9rocsparseL17bsric0_2_8_kernelILi64ELi64ELi8EfEEv20rocsparse_direction_iiPKiS3_PT2_S3_PiS3_S6_21rocsparse_index_base_ ; -- Begin function _ZN9rocsparseL17bsric0_2_8_kernelILi64ELi64ELi8EfEEv20rocsparse_direction_iiPKiS3_PT2_S3_PiS3_S6_21rocsparse_index_base_
	.p2align	8
	.type	_ZN9rocsparseL17bsric0_2_8_kernelILi64ELi64ELi8EfEEv20rocsparse_direction_iiPKiS3_PT2_S3_PiS3_S6_21rocsparse_index_base_,@function
_ZN9rocsparseL17bsric0_2_8_kernelILi64ELi64ELi8EfEEv20rocsparse_direction_iiPKiS3_PT2_S3_PiS3_S6_21rocsparse_index_base_: ; @_ZN9rocsparseL17bsric0_2_8_kernelILi64ELi64ELi8EfEEv20rocsparse_direction_iiPKiS3_PT2_S3_PiS3_S6_21rocsparse_index_base_
; %bb.0:
	s_load_dwordx8 s[8:15], s[0:1], 0x28
	s_mov_b32 s3, 0
	s_lshl_b64 s[2:3], s[2:3], 2
	v_and_b32_e32 v6, 0x3ff, v0
	v_bfe_u32 v7, v0, 10, 10
	s_waitcnt lgkmcnt(0)
	s_add_u32 s2, s12, s2
	s_addc_u32 s3, s13, s3
	s_load_dword s12, s[2:3], 0x0
	s_waitcnt lgkmcnt(0)
	s_ashr_i32 s13, s12, 31
	s_lshl_b64 s[6:7], s[12:13], 2
	s_add_u32 s2, s8, s6
	s_addc_u32 s3, s9, s7
	s_load_dword s33, s[2:3], 0x0
	s_load_dword s13, s[0:1], 0x48
	s_waitcnt lgkmcnt(0)
	s_cmp_lg_u32 s33, -1
	s_cbranch_scc0 .LBB13_89
; %bb.1:
	s_load_dwordx4 s[16:19], s[0:1], 0x10
	s_load_dwordx2 s[20:21], s[0:1], 0x20
	v_lshlrev_b32_e32 v1, 3, v7
	v_add_u32_e32 v2, v1, v6
	s_waitcnt lgkmcnt(0)
	s_add_u32 s2, s16, s6
	s_addc_u32 s3, s17, s7
	s_load_dword s26, s[2:3], 0x0
	s_waitcnt lgkmcnt(0)
	s_sub_i32 s40, s26, s13
	v_add_u32_e32 v0, s40, v2
	v_cmp_ge_i32_e32 vcc, s33, v0
	s_and_saveexec_b64 s[2:3], vcc
	s_cbranch_execz .LBB13_14
; %bb.2:
	v_add_u32_e32 v2, s26, v2
	v_subrev_u32_e32 v2, s13, v2
	v_add_u32_e32 v2, 64, v2
	s_add_i32 s4, s33, 1
	v_max_i32_e32 v2, s4, v2
	v_not_b32_e32 v3, v6
	v_add3_u32 v2, s13, v2, v3
	v_add_u32_e32 v1, s26, v1
	v_sub_u32_e32 v1, v2, v1
	v_cmp_lt_u32_e32 vcc, 63, v1
	s_mov_b64 s[22:23], -1
	s_and_saveexec_b64 s[4:5], vcc
	s_cbranch_execz .LBB13_11
; %bb.3:
	v_lshrrev_b32_e32 v4, 6, v1
	v_add_u32_e32 v2, -1, v4
	v_add_u32_e32 v1, 64, v0
	v_lshrrev_b32_e32 v3, 1, v2
	v_add_u32_e32 v5, 1, v3
	v_cmp_lt_u32_e32 vcc, 13, v2
	v_mov_b64_e32 v[2:3], v[0:1]
	s_and_saveexec_b64 s[22:23], vcc
	s_cbranch_execz .LBB13_7
; %bb.4:
	v_and_b32_e32 v8, -8, v5
	s_mov_b64 s[24:25], 0
	v_mov_b64_e32 v[2:3], v[0:1]
.LBB13_5:                               ; =>This Inner Loop Header: Depth=1
	v_ashrrev_i32_e32 v13, 31, v2
	v_mov_b32_e32 v12, v2
	v_ashrrev_i32_e32 v11, 31, v3
	v_mov_b32_e32 v10, v3
	v_add_u32_e32 v14, 0x80, v2
	v_add_u32_e32 v16, 0x80, v3
	v_lshl_add_u64 v[12:13], v[12:13], 2, s[18:19]
	v_add_u32_e32 v18, 0x100, v2
	v_add_u32_e32 v20, 0x100, v3
	;; [unrolled: 1-line block ×12, first 2 shown]
	v_lshl_add_u64 v[10:11], v[10:11], 2, s[18:19]
	v_ashrrev_i32_e32 v17, 31, v16
	v_ashrrev_i32_e32 v15, 31, v14
	global_load_dword v1, v[12:13], off
	global_load_dword v9, v[10:11], off
	v_ashrrev_i32_e32 v21, 31, v20
	v_ashrrev_i32_e32 v19, 31, v18
	;; [unrolled: 1-line block ×12, first 2 shown]
	v_lshl_add_u64 v[10:11], v[14:15], 2, s[18:19]
	v_lshl_add_u64 v[12:13], v[16:17], 2, s[18:19]
	v_lshl_add_u64 v[42:43], v[18:19], 2, s[18:19]
	v_lshl_add_u64 v[44:45], v[20:21], 2, s[18:19]
	v_lshl_add_u64 v[46:47], v[22:23], 2, s[18:19]
	v_lshl_add_u64 v[48:49], v[24:25], 2, s[18:19]
	v_lshl_add_u64 v[50:51], v[26:27], 2, s[18:19]
	v_lshl_add_u64 v[52:53], v[28:29], 2, s[18:19]
	v_lshl_add_u64 v[54:55], v[30:31], 2, s[18:19]
	v_lshl_add_u64 v[56:57], v[32:33], 2, s[18:19]
	v_lshl_add_u64 v[58:59], v[34:35], 2, s[18:19]
	v_lshl_add_u64 v[60:61], v[36:37], 2, s[18:19]
	v_lshl_add_u64 v[62:63], v[38:39], 2, s[18:19]
	global_load_dword v15, v[12:13], off
	v_lshl_add_u64 v[12:13], v[40:41], 2, s[18:19]
	global_load_dword v17, v[10:11], off
	global_load_dword v19, v[44:45], off
	;; [unrolled: 1-line block ×13, first 2 shown]
	v_subrev_u32_e32 v11, s40, v2
	v_add_u32_e32 v8, -8, v8
	v_subrev_u32_e32 v10, s40, v3
	v_lshlrev_b32_e32 v11, 2, v11
	v_subrev_u32_e32 v13, s40, v14
	v_cmp_eq_u32_e32 vcc, 0, v8
	v_add_u32_e32 v3, 0x400, v3
	v_add_u32_e32 v2, 0x400, v2
	v_lshlrev_b32_e32 v10, 2, v10
	v_subrev_u32_e32 v12, s40, v16
	v_subrev_u32_e32 v14, s40, v20
	;; [unrolled: 1-line block ×13, first 2 shown]
	v_lshlrev_b32_e32 v13, 2, v13
	s_or_b64 s[24:25], vcc, s[24:25]
	v_lshlrev_b32_e32 v12, 2, v12
	v_lshlrev_b32_e32 v16, 2, v16
	;; [unrolled: 1-line block ×13, first 2 shown]
	s_waitcnt vmcnt(15)
	v_subrev_u32_e32 v1, s13, v1
	s_waitcnt vmcnt(14)
	v_subrev_u32_e32 v9, s13, v9
	ds_write_b32 v11, v1 offset:1664
	ds_write_b32 v10, v9 offset:1664
	s_waitcnt vmcnt(12)
	v_subrev_u32_e32 v9, s13, v17
	s_waitcnt vmcnt(11)
	v_subrev_u32_e32 v10, s13, v19
	;; [unrolled: 2-line block ×8, first 2 shown]
	v_subrev_u32_e32 v1, s13, v15
	v_subrev_u32_e32 v15, s13, v23
	;; [unrolled: 1-line block ×3, first 2 shown]
	s_waitcnt vmcnt(2)
	v_subrev_u32_e32 v29, s13, v37
	s_waitcnt vmcnt(1)
	v_subrev_u32_e32 v31, s13, v39
	;; [unrolled: 2-line block ×3, first 2 shown]
	ds_write_b32 v13, v9 offset:1664
	ds_write_b32 v12, v1 offset:1664
	;; [unrolled: 1-line block ×14, first 2 shown]
	s_andn2_b64 exec, exec, s[24:25]
	s_cbranch_execnz .LBB13_5
; %bb.6:
	s_or_b64 exec, exec, s[24:25]
.LBB13_7:
	s_or_b64 exec, exec, s[22:23]
	v_and_b32_e32 v1, 7, v5
	v_cmp_ne_u32_e32 vcc, 0, v1
	s_and_saveexec_b64 s[22:23], vcc
	s_cbranch_execz .LBB13_10
; %bb.8:
	s_mov_b64 s[24:25], 0
.LBB13_9:                               ; =>This Inner Loop Header: Depth=1
	v_ashrrev_i32_e32 v9, 31, v3
	v_mov_b32_e32 v8, v3
	v_ashrrev_i32_e32 v11, 31, v2
	v_mov_b32_e32 v10, v2
	v_lshl_add_u64 v[8:9], v[8:9], 2, s[18:19]
	v_lshl_add_u64 v[10:11], v[10:11], 2, s[18:19]
	global_load_dword v5, v[8:9], off
	global_load_dword v12, v[10:11], off
	v_add_u32_e32 v1, -1, v1
	v_subrev_u32_e32 v9, s40, v2
	v_cmp_eq_u32_e32 vcc, 0, v1
	v_subrev_u32_e32 v8, s40, v3
	v_add_u32_e32 v3, 0x80, v3
	v_add_u32_e32 v2, 0x80, v2
	v_lshlrev_b32_e32 v9, 2, v9
	s_or_b64 s[24:25], vcc, s[24:25]
	v_lshlrev_b32_e32 v8, 2, v8
	s_waitcnt vmcnt(1)
	v_subrev_u32_e32 v5, s13, v5
	s_waitcnt vmcnt(0)
	v_subrev_u32_e32 v10, s13, v12
	ds_write_b32 v9, v10 offset:1664
	ds_write_b32 v8, v5 offset:1664
	s_andn2_b64 exec, exec, s[24:25]
	s_cbranch_execnz .LBB13_9
.LBB13_10:
	s_or_b64 exec, exec, s[22:23]
	v_add_u32_e32 v1, 1, v4
	v_and_b32_e32 v2, 0x7fffffe, v1
	v_cmp_ne_u32_e32 vcc, v1, v2
	v_lshl_add_u32 v0, v2, 6, v0
	s_orn2_b64 s[22:23], vcc, exec
.LBB13_11:
	s_or_b64 exec, exec, s[4:5]
	s_and_b64 exec, exec, s[22:23]
	s_cbranch_execz .LBB13_14
; %bb.12:
	v_add_u32_e32 v1, s13, v0
	v_subrev_u32_e32 v1, s26, v1
	v_mov_b32_e32 v2, 0x680
	v_lshl_add_u32 v4, v1, 2, v2
	v_ashrrev_i32_e32 v1, 31, v0
	v_lshl_add_u64 v[2:3], v[0:1], 2, s[18:19]
	s_mov_b64 s[4:5], 0
	s_mov_b64 s[22:23], 0x100
.LBB13_13:                              ; =>This Inner Loop Header: Depth=1
	global_load_dword v1, v[2:3], off
	v_add_u32_e32 v0, 64, v0
	v_cmp_lt_i32_e32 vcc, s33, v0
	v_lshl_add_u64 v[2:3], v[2:3], 0, s[22:23]
	s_or_b64 s[4:5], vcc, s[4:5]
	s_waitcnt vmcnt(0)
	v_subrev_u32_e32 v1, s13, v1
	ds_write_b32 v4, v1
	v_add_u32_e32 v4, 0x100, v4
	s_andn2_b64 exec, exec, s[4:5]
	s_cbranch_execnz .LBB13_13
.LBB13_14:
	s_or_b64 exec, exec, s[2:3]
	s_load_dword s42, s[0:1], 0x0
	s_load_dword s41, s[0:1], 0x8
	v_mov_b32_e32 v0, 0x360
	v_mad_u32_u24 v8, v7, 36, v0
	v_lshl_add_u32 v1, v6, 2, v8
	v_mov_b32_e32 v23, 0
	s_cmp_ge_i32 s40, s33
	ds_write_b32 v1, v23
	s_waitcnt lgkmcnt(0)
	s_cbranch_scc1 .LBB13_67
; %bb.15:
	s_cmp_lg_u32 s42, 0
	s_cselect_b64 s[22:23], -1, 0
	s_cmp_eq_u32 s42, 0
	v_cmp_gt_i32_e64 s[0:1], s41, v6
	v_cmp_gt_i32_e64 s[2:3], s41, v7
	v_mov_b32_e32 v0, 0x240
	v_mov_b32_e32 v3, 0x120
	s_cselect_b64 vcc, -1, 0
	s_and_b64 s[24:25], s[0:1], s[2:3]
	v_mad_u32_u24 v9, v7, 36, v0
	v_lshlrev_b32_e32 v2, 2, v6
	v_mad_u32_u24 v14, v7, 36, v3
	v_add_u32_e32 v10, v9, v2
	v_mad_u32_u24 v11, v7, 36, v2
	s_cmp_gt_i32 s41, 0
	v_add_u32_e32 v15, v14, v2
	v_or_b32_e32 v2, v6, v7
	s_mul_i32 s43, s41, s41
	v_mul_lo_u32 v12, s41, v6
	v_mul_lo_u32 v13, s41, v7
	v_cmp_ne_u32_e64 s[4:5], 0, v2
	v_mad_u32_u24 v16, v6, 36, v0
	v_cndmask_b32_e32 v0, v7, v6, vcc
	v_cndmask_b32_e32 v17, v6, v7, vcc
	v_mov_b32_e32 v18, 0
	s_cselect_b64 s[26:27], -1, 0
	s_mov_b32 s28, s40
	s_branch .LBB13_17
.LBB13_16:                              ;   in Loop: Header=BB13_17 Depth=1
	s_or_b64 exec, exec, s[30:31]
	s_add_i32 s28, s28, 1
	s_cmp_ge_i32 s28, s33
	s_cselect_b64 s[30:31], -1, 0
	buffer_wbl2 sc1
	s_waitcnt vmcnt(0)
	buffer_inv sc1
	s_and_b64 vcc, exec, s[30:31]
	s_cbranch_vccnz .LBB13_67
.LBB13_17:                              ; =>This Loop Header: Depth=1
                                        ;     Child Loop BB13_22 Depth 2
                                        ;     Child Loop BB13_33 Depth 2
	;; [unrolled: 1-line block ×4, first 2 shown]
                                        ;       Child Loop BB13_63 Depth 3
	s_ashr_i32 s29, s28, 31
	s_lshl_b64 s[30:31], s[28:29], 2
	s_add_u32 s30, s18, s30
	s_addc_u32 s31, s19, s31
	s_load_dword s29, s[30:31], 0x0
	s_waitcnt lgkmcnt(0)
	s_sub_i32 s34, s29, s13
	s_ashr_i32 s35, s34, 31
	s_lshl_b64 s[30:31], s[34:35], 2
	s_add_u32 s36, s8, s30
	s_addc_u32 s37, s9, s31
	s_load_dword s35, s[36:37], 0x0
	s_waitcnt lgkmcnt(0)
	s_cmp_eq_u32 s35, -1
	s_cbranch_scc1 .LBB13_66
; %bb.18:                               ;   in Loop: Header=BB13_17 Depth=1
	s_add_u32 s36, s16, s30
	s_mul_i32 s38, s28, s41
	s_addc_u32 s37, s17, s31
	v_mov_b32_e32 v2, 0
	v_add_u32_e32 v19, s38, v17
	s_and_saveexec_b64 s[38:39], s[24:25]
	s_cbranch_execz .LBB13_20
; %bb.19:                               ;   in Loop: Header=BB13_17 Depth=1
	v_mad_u64_u32 v[2:3], s[44:45], v19, s41, v[0:1]
	v_ashrrev_i32_e32 v3, 31, v2
	v_lshl_add_u64 v[2:3], v[2:3], 2, s[20:21]
	global_load_dword v2, v[2:3], off
.LBB13_20:                              ;   in Loop: Header=BB13_17 Depth=1
	s_or_b64 exec, exec, s[38:39]
	s_load_dword s36, s[36:37], 0x0
	ds_read_b32 v3, v18 offset:1664
	s_mov_b32 s37, 0
	s_waitcnt vmcnt(0)
	ds_write_b32 v10, v2
	s_waitcnt lgkmcnt(0)
	s_sub_i32 s36, s36, s13
	s_cmp_le_i32 s36, s35
	v_cmp_ge_i32_e32 vcc, s34, v3
	s_cselect_b64 s[38:39], -1, 0
	s_and_b64 s[38:39], s[38:39], vcc
	s_andn2_b64 vcc, exec, s[38:39]
	s_cbranch_vccnz .LBB13_32
; %bb.21:                               ;   in Loop: Header=BB13_17 Depth=1
	s_mov_b32 s44, 0
	s_mov_b32 s45, 0
.LBB13_22:                              ;   Parent Loop BB13_17 Depth=1
                                        ; =>  This Inner Loop Header: Depth=2
	s_ashr_i32 s37, s36, 31
	s_lshl_b64 s[38:39], s[36:37], 2
	s_add_u32 s38, s18, s38
	s_addc_u32 s39, s19, s39
	s_load_dword s37, s[38:39], 0x0
	s_lshl_b32 s38, s45, 2
	v_mov_b32_e32 v2, s38
	ds_read_b32 v2, v2 offset:1664
	s_mov_b64 s[38:39], -1
	s_waitcnt lgkmcnt(0)
	s_sub_i32 s49, s37, s13
                                        ; implicit-def: $sgpr37
                                        ; implicit-def: $sgpr48
                                        ; implicit-def: $sgpr47
	v_cmp_ge_i32_e32 vcc, s49, v2
	v_readfirstlane_b32 s46, v2
	s_cbranch_vccz .LBB13_28
; %bb.23:                               ;   in Loop: Header=BB13_22 Depth=2
	s_cmp_le_i32 s49, s46
                                        ; implicit-def: $sgpr37
                                        ; implicit-def: $sgpr48
                                        ; implicit-def: $sgpr47
	s_cbranch_scc0 .LBB13_25
; %bb.24:                               ;   in Loop: Header=BB13_22 Depth=2
	s_add_i32 s37, s45, s40
	s_mul_i32 s37, s37, s43
	s_lshl_b32 s38, s44, 2
	v_mov_b32_e32 v2, s38
	v_mov_b32_e32 v3, s37
	s_mul_i32 s37, s36, s43
	v_mov_b32_e32 v4, s37
	v_add_u32_e32 v2, 0x80, v2
	ds_write2st64_b32 v2, v4, v3 offset0:4 offset1:5
	s_add_i32 s47, s45, 1
	s_add_i32 s48, s36, 1
	s_add_i32 s37, s44, 1
	s_mov_b64 s[38:39], 0
.LBB13_25:                              ;   in Loop: Header=BB13_22 Depth=2
	s_andn2_b64 vcc, exec, s[38:39]
	s_cbranch_vccnz .LBB13_27
; %bb.26:                               ;   in Loop: Header=BB13_22 Depth=2
	s_add_i32 s47, s45, 1
	s_mov_b32 s37, s44
	s_mov_b32 s48, s36
.LBB13_27:                              ;   in Loop: Header=BB13_22 Depth=2
	s_mov_b64 s[38:39], 0
.LBB13_28:                              ;   in Loop: Header=BB13_22 Depth=2
	s_andn2_b64 vcc, exec, s[38:39]
	s_cbranch_vccnz .LBB13_30
; %bb.29:                               ;   in Loop: Header=BB13_22 Depth=2
	s_add_i32 s48, s36, 1
	s_mov_b32 s47, s45
	s_mov_b32 s37, s44
.LBB13_30:                              ;   in Loop: Header=BB13_22 Depth=2
	s_cmp_le_i32 s48, s35
	s_cselect_b64 s[38:39], -1, 0
	s_cmp_le_i32 s46, s34
	s_cselect_b64 s[44:45], -1, 0
	s_and_b64 s[38:39], s[38:39], s[44:45]
	s_and_b64 vcc, exec, s[38:39]
	s_cbranch_vccz .LBB13_32
; %bb.31:                               ;   in Loop: Header=BB13_22 Depth=2
	s_mov_b32 s44, s37
	s_mov_b32 s36, s48
	;; [unrolled: 1-line block ×3, first 2 shown]
	s_branch .LBB13_22
.LBB13_32:                              ;   in Loop: Header=BB13_17 Depth=1
	s_add_u32 s30, s10, s30
	s_addc_u32 s31, s11, s31
	s_waitcnt lgkmcnt(0)
.LBB13_33:                              ;   Parent Loop BB13_17 Depth=1
                                        ; =>  This Inner Loop Header: Depth=2
	global_load_dword v2, v18, s[30:31] sc1
	s_waitcnt vmcnt(0)
	v_cmp_eq_u32_e32 vcc, 0, v2
	s_cbranch_vccnz .LBB13_33
; %bb.34:                               ;   in Loop: Header=BB13_17 Depth=1
	v_mov_b32_e32 v3, 0
	v_mov_b32_e32 v2, 0
	buffer_inv sc1
	s_and_saveexec_b64 s[30:31], s[24:25]
	s_cbranch_execz .LBB13_36
; %bb.35:                               ;   in Loop: Header=BB13_17 Depth=1
	s_mul_i32 s35, s35, s41
	v_add_u32_e32 v2, s35, v17
	v_mad_u64_u32 v[4:5], s[34:35], v2, s41, v[0:1]
	v_ashrrev_i32_e32 v5, 31, v4
	v_lshl_add_u64 v[4:5], v[4:5], 2, s[20:21]
	global_load_dword v2, v[4:5], off
.LBB13_36:                              ;   in Loop: Header=BB13_17 Depth=1
	s_or_b64 exec, exec, s[30:31]
	s_cmp_lt_i32 s37, 2
	s_waitcnt vmcnt(0)
	ds_write_b32 v11, v2
	s_waitcnt lgkmcnt(0)
	s_cbranch_scc1 .LBB13_55
; %bb.37:                               ;   in Loop: Header=BB13_17 Depth=1
	s_add_i32 s34, s37, -2
	s_mov_b32 s35, 0
	v_mov_b32_e32 v20, 0
	s_andn2_b64 vcc, exec, s[26:27]
	s_cbranch_vccz .LBB13_40
	s_branch .LBB13_39
.LBB13_38:                              ;   in Loop: Header=BB13_17 Depth=1
	v_mov_b32_e32 v20, v3
	s_mov_b32 s35, s30
	s_andn2_b64 vcc, exec, s[26:27]
	s_cbranch_vccz .LBB13_40
.LBB13_39:                              ;   in Loop: Header=BB13_17 Depth=1
	v_mov_b32_e32 v3, v20
	s_branch .LBB13_54
.LBB13_40:                              ;   in Loop: Header=BB13_17 Depth=1
	s_lshl_b32 s30, s35, 2
	v_mov_b32_e32 v2, s30
	v_add_u32_e32 v2, 0x80, v2
	ds_read2st64_b32 v[4:5], v2 offset0:4 offset1:5
	s_mov_b32 s36, 0
	s_waitcnt lgkmcnt(0)
	v_add_u32_e32 v21, v4, v12
	v_add_u32_e32 v22, v5, v13
	;; [unrolled: 1-line block ×4, first 2 shown]
	s_mov_b64 s[30:31], -1
	s_and_b64 vcc, exec, s[22:23]
                                        ; implicit-def: $vgpr3
	s_cbranch_vccz .LBB13_47
	s_branch .LBB13_42
.LBB13_41:                              ;   in Loop: Header=BB13_47 Depth=2
	v_mov_b32_e32 v20, v3
	s_mov_b64 s[30:31], -1
	s_and_b64 vcc, exec, s[22:23]
                                        ; implicit-def: $vgpr3
	s_cbranch_vccz .LBB13_47
.LBB13_42:                              ;   in Loop: Header=BB13_17 Depth=1
	v_mov_b32_e32 v3, 0
	v_mov_b32_e32 v5, 0
	s_and_saveexec_b64 s[30:31], s[0:1]
	s_cbranch_execz .LBB13_44
; %bb.43:                               ;   in Loop: Header=BB13_17 Depth=1
	v_ashrrev_i32_e32 v5, 31, v4
	v_lshl_add_u64 v[24:25], v[4:5], 2, s[20:21]
	global_load_dword v5, v[24:25], off
.LBB13_44:                              ;   in Loop: Header=BB13_17 Depth=1
	s_or_b64 exec, exec, s[30:31]
	s_and_saveexec_b64 s[30:31], s[2:3]
	s_cbranch_execz .LBB13_46
; %bb.45:                               ;   in Loop: Header=BB13_17 Depth=1
	v_ashrrev_i32_e32 v3, 31, v2
	v_lshl_add_u64 v[24:25], v[2:3], 2, s[20:21]
	global_load_dword v3, v[24:25], off
.LBB13_46:                              ;   in Loop: Header=BB13_17 Depth=1
	s_or_b64 exec, exec, s[30:31]
	s_waitcnt vmcnt(0)
	v_fma_f32 v3, v5, v3, v20
	s_mov_b64 s[30:31], 0
.LBB13_47:                              ;   Parent Loop BB13_17 Depth=1
                                        ; =>  This Inner Loop Header: Depth=2
	s_and_b64 vcc, exec, s[30:31]
	s_cbranch_vccz .LBB13_53
; %bb.48:                               ;   in Loop: Header=BB13_47 Depth=2
	v_mov_b32_e32 v3, 0
	v_mov_b32_e32 v5, 0
	s_and_saveexec_b64 s[30:31], s[0:1]
	s_cbranch_execz .LBB13_50
; %bb.49:                               ;   in Loop: Header=BB13_47 Depth=2
	v_add_u32_e32 v24, s36, v21
	v_ashrrev_i32_e32 v25, 31, v24
	v_lshl_add_u64 v[24:25], v[24:25], 2, s[20:21]
	global_load_dword v5, v[24:25], off
.LBB13_50:                              ;   in Loop: Header=BB13_47 Depth=2
	s_or_b64 exec, exec, s[30:31]
	s_and_saveexec_b64 s[30:31], s[2:3]
	s_cbranch_execz .LBB13_52
; %bb.51:                               ;   in Loop: Header=BB13_47 Depth=2
	v_add_u32_e32 v24, s36, v22
	v_ashrrev_i32_e32 v25, 31, v24
	v_lshl_add_u64 v[24:25], v[24:25], 2, s[20:21]
	global_load_dword v3, v[24:25], off
.LBB13_52:                              ;   in Loop: Header=BB13_47 Depth=2
	s_or_b64 exec, exec, s[30:31]
	s_waitcnt vmcnt(0)
	v_fmac_f32_e32 v20, v5, v3
	v_mov_b32_e32 v3, v20
.LBB13_53:                              ;   in Loop: Header=BB13_47 Depth=2
	s_add_i32 s36, s36, 1
	v_add_u32_e32 v2, s41, v2
	s_cmp_eq_u32 s41, s36
	v_add_u32_e32 v4, s41, v4
	s_cbranch_scc0 .LBB13_41
.LBB13_54:                              ;   in Loop: Header=BB13_17 Depth=1
	s_add_i32 s30, s35, 1
	s_cmp_eq_u32 s35, s34
	s_cbranch_scc0 .LBB13_38
.LBB13_55:                              ;   in Loop: Header=BB13_17 Depth=1
	s_andn2_b64 vcc, exec, s[26:27]
	ds_write_b32 v15, v3
	s_waitcnt lgkmcnt(0)
	s_cbranch_vccnz .LBB13_64
; %bb.56:                               ;   in Loop: Header=BB13_17 Depth=1
	s_mov_b32 s36, 0
	v_mov_b32_e32 v21, s29
	s_mov_b32 s29, 0
	s_branch .LBB13_58
.LBB13_57:                              ;   in Loop: Header=BB13_58 Depth=2
	s_waitcnt lgkmcnt(0)
	v_sub_f32_e32 v3, v3, v5
	v_div_scale_f32 v5, s[30:31], v4, v4, v3
	v_rcp_f32_e32 v20, v5
	v_div_scale_f32 v22, vcc, v3, v4, v3
	s_add_i32 s36, s36, 36
	v_fma_f32 v24, -v5, v20, 1.0
	v_fmac_f32_e32 v20, v24, v20
	v_mul_f32_e32 v24, v22, v20
	v_fma_f32 v25, -v5, v24, v22
	v_fmac_f32_e32 v24, v25, v20
	v_fma_f32 v5, -v5, v24, v22
	v_div_fmas_f32 v5, v5, v20, v24
	v_div_fixup_f32 v3, v5, v4, v3
	ds_write_b32 v2, v3
	v_lshl_add_u32 v2, s29, 2, v16
	s_waitcnt lgkmcnt(0)
	ds_read_b32 v2, v2
	ds_read_b32 v4, v1
	s_add_i32 s29, s29, 1
	s_cmp_eq_u32 s29, s41
	s_waitcnt lgkmcnt(0)
	v_fmac_f32_e32 v4, v3, v2
	ds_write_b32 v1, v4
	s_waitcnt lgkmcnt(0)
	s_cbranch_scc1 .LBB13_64
.LBB13_58:                              ;   Parent Loop BB13_17 Depth=1
                                        ; =>  This Loop Header: Depth=2
                                        ;       Child Loop BB13_63 Depth 3
	s_lshl_b32 s30, s29, 2
	s_mul_i32 s31, s29, 36
	s_add_i32 s31, s31, s30
	v_mov_b32_e32 v2, s31
	ds_read_b32 v4, v2
	v_add_u32_e32 v2, s30, v9
	ds_read_b32 v3, v2
	s_waitcnt lgkmcnt(1)
	v_cmp_neq_f32_e32 vcc, 0, v4
	s_nop 1
	v_cndmask_b32_e32 v4, 1.0, v4, vcc
	s_nor_b64 s[34:35], vcc, s[4:5]
	s_and_saveexec_b64 s[30:31], s[34:35]
	s_cbranch_execz .LBB13_62
; %bb.59:                               ;   in Loop: Header=BB13_58 Depth=2
	v_mbcnt_lo_u32_b32 v4, exec_lo, 0
	v_mbcnt_hi_u32_b32 v4, exec_hi, v4
	v_cmp_eq_u32_e32 vcc, 0, v4
	s_and_saveexec_b64 s[34:35], vcc
	s_cbranch_execz .LBB13_61
; %bb.60:                               ;   in Loop: Header=BB13_58 Depth=2
	global_atomic_smin v18, v21, s[14:15]
.LBB13_61:                              ;   in Loop: Header=BB13_58 Depth=2
	s_or_b64 exec, exec, s[34:35]
	v_mov_b32_e32 v4, 1.0
.LBB13_62:                              ;   in Loop: Header=BB13_58 Depth=2
	s_or_b64 exec, exec, s[30:31]
	v_lshl_add_u32 v5, s29, 2, v14
	ds_read_b32 v5, v5
	s_cmp_eq_u32 s29, 0
	v_mov_b32_e32 v20, v9
	s_mov_b32 s30, s36
	s_mov_b32 s31, s29
	s_cbranch_scc1 .LBB13_57
.LBB13_63:                              ;   Parent Loop BB13_17 Depth=1
                                        ;     Parent Loop BB13_58 Depth=2
                                        ; =>    This Inner Loop Header: Depth=3
	v_mov_b32_e32 v22, s30
	ds_read_b32 v24, v20
	ds_read_b32 v22, v22
	s_add_i32 s31, s31, -1
	s_add_i32 s30, s30, 4
	v_add_u32_e32 v20, 4, v20
	s_cmp_eq_u32 s31, 0
	s_waitcnt lgkmcnt(0)
	v_fmac_f32_e32 v5, v22, v24
	s_cbranch_scc0 .LBB13_63
	s_branch .LBB13_57
.LBB13_64:                              ;   in Loop: Header=BB13_17 Depth=1
	s_and_saveexec_b64 s[30:31], s[24:25]
	s_cbranch_execz .LBB13_16
; %bb.65:                               ;   in Loop: Header=BB13_17 Depth=1
	ds_read_b32 v4, v10
	v_mad_u64_u32 v[2:3], s[34:35], v19, s41, v[0:1]
	v_ashrrev_i32_e32 v3, 31, v2
	v_lshl_add_u64 v[2:3], v[2:3], 2, s[20:21]
	s_waitcnt lgkmcnt(0)
	global_store_dword v[2:3], v4, off
	s_branch .LBB13_16
.LBB13_66:                              ;   in Loop: Header=BB13_17 Depth=1
                                        ; implicit-def: $sgpr28
	s_cbranch_execz .LBB13_17
.LBB13_67:
	s_cmp_eq_u32 s42, 0
	s_cselect_b64 vcc, -1, 0
	v_max_i32_e32 v0, v6, v7
	v_cndmask_b32_e32 v2, v6, v7, vcc
	s_mul_i32 s33, s33, s41
	v_cmp_gt_i32_e64 s[0:1], s41, v0
	v_cndmask_b32_e32 v0, v7, v6, vcc
	v_add_u32_e32 v2, s33, v2
	s_and_saveexec_b64 s[2:3], s[0:1]
	s_cbranch_execz .LBB13_69
; %bb.68:
	v_mad_u64_u32 v[4:5], s[4:5], v2, s41, v[0:1]
	v_ashrrev_i32_e32 v5, 31, v4
	v_lshl_add_u64 v[4:5], v[4:5], 2, s[20:21]
	global_load_dword v23, v[4:5], off
.LBB13_69:
	s_or_b64 exec, exec, s[2:3]
	v_mov_b32_e32 v3, 0x240
	v_mad_u32_u24 v4, v7, 36, v3
	v_lshl_add_u32 v3, v6, 2, v4
	s_cmp_lt_i32 s41, 1
	s_waitcnt vmcnt(0)
	ds_write_b32 v3, v23
	s_waitcnt lgkmcnt(0)
	s_cbranch_scc1 .LBB13_102
; %bb.70:
	v_or_b32_e32 v5, v6, v7
	s_add_i32 s16, s12, s13
	v_lshlrev_b32_e32 v9, 2, v7
	s_mov_b32 s17, 0
	v_cmp_ne_u32_e64 s[2:3], 0, v5
	v_add_u32_e32 v5, v4, v9
	s_cmp_eq_u32 s41, 1
	v_add_u32_e32 v9, v8, v9
	s_cbranch_scc1 .LBB13_92
; %bb.71:
	v_mov_b32_e32 v10, 0x240
	s_and_b32 s17, s41, 0x7ffffffe
	s_movk_i32 s18, 0x240
	v_mad_u32_u24 v10, v6, 36, v10
	s_mov_b32 s4, 0
	s_mov_b32 s19, 0xf800000
	v_mov_b32_e32 v11, 0x260
	v_mov_b32_e32 v12, 0
	;; [unrolled: 1-line block ×4, first 2 shown]
	s_branch .LBB13_73
.LBB13_72:                              ;   in Loop: Header=BB13_73 Depth=1
	s_or_b64 exec, exec, s[4:5]
	s_addk_i32 s18, 0x50
	s_add_i32 s4, s23, 1
	v_add_u32_e32 v10, 8, v10
	s_cmp_eq_u32 s4, s17
	v_add_u32_e32 v13, 8, v13
	s_waitcnt lgkmcnt(0)
	s_cbranch_scc1 .LBB13_91
.LBB13_73:                              ; =>This Inner Loop Header: Depth=1
	s_mov_b32 s22, s4
	v_cmp_eq_u32_e32 vcc, s22, v7
	s_and_saveexec_b64 s[8:9], vcc
	s_cbranch_execz .LBB13_75
; %bb.74:                               ;   in Loop: Header=BB13_73 Depth=1
	ds_read_b32 v14, v5
	ds_read_b32 v16, v9
	s_waitcnt lgkmcnt(0)
	v_sub_f32_e32 v14, v14, v16
	v_cmp_gt_f32_e32 vcc, 0, v14
	s_nop 1
	v_cndmask_b32_e64 v14, v14, -v14, vcc
	v_mul_f32_e32 v16, 0x4f800000, v14
	v_cmp_gt_f32_e32 vcc, s19, v14
	s_nop 1
	v_cndmask_b32_e32 v14, v14, v16, vcc
	v_sqrt_f32_e32 v16, v14
	s_nop 0
	v_add_u32_e32 v17, -1, v16
	v_add_u32_e32 v18, 1, v16
	v_fma_f32 v19, -v17, v16, v14
	v_fma_f32 v20, -v18, v16, v14
	v_cmp_ge_f32_e64 s[4:5], 0, v19
	s_nop 1
	v_cndmask_b32_e64 v16, v16, v17, s[4:5]
	v_cmp_lt_f32_e64 s[4:5], 0, v20
	s_nop 1
	v_cndmask_b32_e64 v16, v16, v18, s[4:5]
	v_mul_f32_e32 v17, 0x37800000, v16
	v_cndmask_b32_e32 v16, v16, v17, vcc
	v_cmp_class_f32_e32 vcc, v14, v11
	s_nop 1
	v_cndmask_b32_e32 v14, v16, v14, vcc
	ds_write_b32 v5, v14
.LBB13_75:                              ;   in Loop: Header=BB13_73 Depth=1
	s_or_b64 exec, exec, s[8:9]
	v_mov_b32_e32 v14, s18
	s_waitcnt lgkmcnt(0)
	ds_read_b32 v14, v14
	s_waitcnt lgkmcnt(0)
	v_cmp_neq_f32_e32 vcc, 0, v14
	s_nop 1
	v_cndmask_b32_e32 v14, 1.0, v14, vcc
	s_nor_b64 s[8:9], vcc, s[2:3]
	s_and_saveexec_b64 s[4:5], s[8:9]
	s_cbranch_execz .LBB13_79
; %bb.76:                               ;   in Loop: Header=BB13_73 Depth=1
	v_mbcnt_lo_u32_b32 v14, exec_lo, 0
	v_mbcnt_hi_u32_b32 v14, exec_hi, v14
	v_cmp_eq_u32_e32 vcc, 0, v14
	s_and_saveexec_b64 s[8:9], vcc
	s_cbranch_execz .LBB13_78
; %bb.77:                               ;   in Loop: Header=BB13_73 Depth=1
	global_atomic_smin v12, v15, s[14:15]
.LBB13_78:                              ;   in Loop: Header=BB13_73 Depth=1
	s_or_b64 exec, exec, s[8:9]
	v_mov_b32_e32 v14, 1.0
.LBB13_79:                              ;   in Loop: Header=BB13_73 Depth=1
	s_or_b64 exec, exec, s[4:5]
	v_cmp_lt_u32_e32 vcc, s22, v7
	s_and_saveexec_b64 s[4:5], vcc
	s_cbranch_execz .LBB13_81
; %bb.80:                               ;   in Loop: Header=BB13_73 Depth=1
	ds_read2_b32 v[16:17], v13 offset1:72
	s_waitcnt lgkmcnt(0)
	v_sub_f32_e32 v16, v16, v17
	v_div_scale_f32 v17, s[8:9], v14, v14, v16
	v_rcp_f32_e32 v18, v17
	v_div_scale_f32 v19, vcc, v16, v14, v16
	v_fma_f32 v20, -v17, v18, 1.0
	v_fmac_f32_e32 v18, v20, v18
	v_mul_f32_e32 v20, v19, v18
	v_fma_f32 v21, -v17, v20, v19
	v_fmac_f32_e32 v20, v21, v18
	v_fma_f32 v17, -v17, v20, v19
	v_div_fmas_f32 v17, v17, v18, v20
	v_div_fixup_f32 v14, v17, v14, v16
	ds_write_b32 v13, v14
	s_waitcnt lgkmcnt(0)
	ds_read_b32 v16, v10
	ds_read_b32 v17, v1
	s_waitcnt lgkmcnt(0)
	v_fmac_f32_e32 v17, v14, v16
	ds_write_b32 v1, v17
.LBB13_81:                              ;   in Loop: Header=BB13_73 Depth=1
	s_or_b64 exec, exec, s[4:5]
	s_add_i32 s23, s22, 1
	v_cmp_eq_u32_e32 vcc, s23, v7
	s_waitcnt lgkmcnt(0)
	s_and_saveexec_b64 s[8:9], vcc
	s_cbranch_execz .LBB13_83
; %bb.82:                               ;   in Loop: Header=BB13_73 Depth=1
	ds_read_b32 v14, v5
	ds_read_b32 v16, v9
	s_waitcnt lgkmcnt(0)
	v_sub_f32_e32 v14, v14, v16
	v_cmp_gt_f32_e32 vcc, 0, v14
	s_nop 1
	v_cndmask_b32_e64 v14, v14, -v14, vcc
	v_mul_f32_e32 v16, 0x4f800000, v14
	v_cmp_gt_f32_e32 vcc, s19, v14
	s_nop 1
	v_cndmask_b32_e32 v14, v14, v16, vcc
	v_sqrt_f32_e32 v16, v14
	s_nop 0
	v_add_u32_e32 v17, -1, v16
	v_add_u32_e32 v18, 1, v16
	v_fma_f32 v19, -v17, v16, v14
	v_fma_f32 v20, -v18, v16, v14
	v_cmp_ge_f32_e64 s[4:5], 0, v19
	s_nop 1
	v_cndmask_b32_e64 v16, v16, v17, s[4:5]
	v_cmp_lt_f32_e64 s[4:5], 0, v20
	s_nop 1
	v_cndmask_b32_e64 v16, v16, v18, s[4:5]
	v_mul_f32_e32 v17, 0x37800000, v16
	v_cndmask_b32_e32 v16, v16, v17, vcc
	v_cmp_class_f32_e32 vcc, v14, v11
	s_nop 1
	v_cndmask_b32_e32 v14, v16, v14, vcc
	ds_write_b32 v5, v14
.LBB13_83:                              ;   in Loop: Header=BB13_73 Depth=1
	s_or_b64 exec, exec, s[8:9]
	v_mov_b32_e32 v14, s18
	s_waitcnt lgkmcnt(0)
	ds_read_b32 v14, v14 offset:40
	s_waitcnt lgkmcnt(0)
	v_cmp_neq_f32_e32 vcc, 0, v14
	s_nop 1
	v_cndmask_b32_e32 v14, 1.0, v14, vcc
	s_nor_b64 s[8:9], vcc, s[2:3]
	s_and_saveexec_b64 s[4:5], s[8:9]
	s_cbranch_execz .LBB13_87
; %bb.84:                               ;   in Loop: Header=BB13_73 Depth=1
	v_mbcnt_lo_u32_b32 v14, exec_lo, 0
	v_mbcnt_hi_u32_b32 v14, exec_hi, v14
	v_cmp_eq_u32_e32 vcc, 0, v14
	s_and_saveexec_b64 s[8:9], vcc
	s_cbranch_execz .LBB13_86
; %bb.85:                               ;   in Loop: Header=BB13_73 Depth=1
	global_atomic_smin v12, v15, s[14:15]
.LBB13_86:                              ;   in Loop: Header=BB13_73 Depth=1
	s_or_b64 exec, exec, s[8:9]
	v_mov_b32_e32 v14, 1.0
.LBB13_87:                              ;   in Loop: Header=BB13_73 Depth=1
	s_or_b64 exec, exec, s[4:5]
	v_cmp_lt_u32_e32 vcc, s23, v7
	s_and_saveexec_b64 s[4:5], vcc
	s_cbranch_execz .LBB13_72
; %bb.88:                               ;   in Loop: Header=BB13_73 Depth=1
	ds_read2_b32 v[16:17], v13 offset0:1 offset1:73
	s_waitcnt lgkmcnt(0)
	v_sub_f32_e32 v16, v16, v17
	v_div_scale_f32 v17, s[8:9], v14, v14, v16
	v_rcp_f32_e32 v18, v17
	v_div_scale_f32 v19, vcc, v16, v14, v16
	v_fma_f32 v20, -v17, v18, 1.0
	v_fmac_f32_e32 v18, v20, v18
	v_mul_f32_e32 v20, v19, v18
	v_fma_f32 v21, -v17, v20, v19
	v_fmac_f32_e32 v20, v21, v18
	v_fma_f32 v17, -v17, v20, v19
	v_div_fmas_f32 v17, v17, v18, v20
	v_div_fixup_f32 v14, v17, v14, v16
	ds_write_b32 v13, v14 offset:4
	s_waitcnt lgkmcnt(0)
	ds_read_b32 v16, v10 offset:4
	ds_read_b32 v17, v1
	s_waitcnt lgkmcnt(0)
	v_fmac_f32_e32 v17, v14, v16
	ds_write_b32 v1, v17
	s_branch .LBB13_72
.LBB13_89:
	s_cbranch_execnz .LBB13_107
.LBB13_90:
	s_endpgm
.LBB13_91:
	s_add_i32 s17, s22, 2
.LBB13_92:
	s_bitcmp0_b32 s41, 0
	s_cbranch_scc1 .LBB13_102
; %bb.93:
	v_cmp_eq_u32_e32 vcc, s17, v7
	s_and_saveexec_b64 s[8:9], vcc
	s_cbranch_execz .LBB13_95
; %bb.94:
	ds_read_b32 v10, v5
	ds_read_b32 v9, v9
	s_mov_b32 s4, 0xf800000
	s_waitcnt lgkmcnt(0)
	v_sub_f32_e32 v9, v10, v9
	v_cmp_gt_f32_e32 vcc, 0, v9
	s_nop 1
	v_cndmask_b32_e64 v9, v9, -v9, vcc
	v_mul_f32_e32 v10, 0x4f800000, v9
	v_cmp_gt_f32_e32 vcc, s4, v9
	s_nop 1
	v_cndmask_b32_e32 v9, v9, v10, vcc
	v_sqrt_f32_e32 v10, v9
	s_nop 0
	v_add_u32_e32 v11, -1, v10
	v_add_u32_e32 v12, 1, v10
	v_fma_f32 v13, -v11, v10, v9
	v_fma_f32 v14, -v12, v10, v9
	v_cmp_ge_f32_e64 s[4:5], 0, v13
	s_nop 1
	v_cndmask_b32_e64 v10, v10, v11, s[4:5]
	v_cmp_lt_f32_e64 s[4:5], 0, v14
	s_nop 1
	v_cndmask_b32_e64 v10, v10, v12, s[4:5]
	v_mul_f32_e32 v11, 0x37800000, v10
	v_cndmask_b32_e32 v10, v10, v11, vcc
	v_mov_b32_e32 v11, 0x260
	v_cmp_class_f32_e32 vcc, v9, v11
	s_nop 1
	v_cndmask_b32_e32 v9, v10, v9, vcc
	ds_write_b32 v5, v9
.LBB13_95:
	s_or_b64 exec, exec, s[8:9]
	s_mul_i32 s4, s17, 36
	s_lshl_b32 s8, s17, 2
	s_add_i32 s4, s4, s8
	v_mov_b32_e32 v5, s4
	s_waitcnt lgkmcnt(0)
	ds_read_b32 v5, v5 offset:576
	s_waitcnt lgkmcnt(0)
	v_cmp_neq_f32_e32 vcc, 0, v5
	s_nop 1
	v_cndmask_b32_e32 v5, 1.0, v5, vcc
	s_nor_b64 s[4:5], vcc, s[2:3]
	s_and_saveexec_b64 s[2:3], s[4:5]
	s_cbranch_execz .LBB13_99
; %bb.96:
	v_mbcnt_lo_u32_b32 v5, exec_lo, 0
	v_mbcnt_hi_u32_b32 v5, exec_hi, v5
	v_cmp_eq_u32_e32 vcc, 0, v5
	s_and_saveexec_b64 s[4:5], vcc
	s_cbranch_execz .LBB13_98
; %bb.97:
	v_mov_b32_e32 v5, 0
	v_mov_b32_e32 v9, s16
	global_atomic_smin v5, v9, s[14:15]
.LBB13_98:
	s_or_b64 exec, exec, s[4:5]
	v_mov_b32_e32 v5, 1.0
.LBB13_99:
	s_or_b64 exec, exec, s[2:3]
	v_cmp_lt_u32_e32 vcc, s17, v7
	s_and_saveexec_b64 s[2:3], vcc
	s_cbranch_execz .LBB13_101
; %bb.100:
	v_add_u32_e32 v4, s8, v4
	v_add_u32_e32 v8, s8, v8
	ds_read_b32 v9, v4
	ds_read_b32 v8, v8
	s_waitcnt lgkmcnt(0)
	v_sub_f32_e32 v8, v9, v8
	v_div_scale_f32 v9, s[4:5], v5, v5, v8
	v_rcp_f32_e32 v10, v9
	v_div_scale_f32 v11, vcc, v8, v5, v8
	v_fma_f32 v12, -v9, v10, 1.0
	v_fmac_f32_e32 v10, v12, v10
	v_mul_f32_e32 v12, v11, v10
	v_fma_f32 v13, -v9, v12, v11
	v_fmac_f32_e32 v12, v13, v10
	v_fma_f32 v9, -v9, v12, v11
	v_div_fmas_f32 v9, v9, v10, v12
	v_div_fixup_f32 v5, v9, v5, v8
	ds_write_b32 v4, v5
	v_mad_u32_u24 v4, v6, 36, s8
	s_waitcnt lgkmcnt(0)
	ds_read_b32 v4, v4 offset:576
	ds_read_b32 v8, v1
	s_waitcnt lgkmcnt(0)
	v_fmac_f32_e32 v8, v5, v4
	ds_write_b32 v1, v8
.LBB13_101:
	s_or_b64 exec, exec, s[2:3]
	s_waitcnt lgkmcnt(0)
.LBB13_102:
	s_and_saveexec_b64 s[2:3], s[0:1]
	s_cbranch_execz .LBB13_104
; %bb.103:
	ds_read_b32 v3, v3
	v_mad_u64_u32 v[0:1], s[0:1], v2, s41, v[0:1]
	v_ashrrev_i32_e32 v1, 31, v0
	v_lshl_add_u64 v[0:1], v[0:1], 2, s[20:21]
	s_waitcnt lgkmcnt(0)
	global_store_dword v[0:1], v3, off
.LBB13_104:
	s_or_b64 exec, exec, s[2:3]
	v_or_b32_e32 v0, v6, v7
	v_cmp_eq_u32_e32 vcc, 0, v0
	s_and_saveexec_b64 s[0:1], vcc
	s_cbranch_execz .LBB13_106
; %bb.105:
	s_add_u32 s2, s10, s6
	s_addc_u32 s3, s11, s7
	v_mov_b32_e32 v0, 0
	v_mov_b32_e32 v1, 1
	buffer_wbl2 sc1
	s_waitcnt vmcnt(0)
	global_store_dword v0, v1, s[2:3] sc1
.LBB13_106:
	s_or_b64 exec, exec, s[0:1]
	s_branch .LBB13_90
.LBB13_107:
	v_or_b32_e32 v0, v6, v7
	v_cmp_eq_u32_e32 vcc, 0, v0
	s_and_saveexec_b64 s[0:1], vcc
	s_cbranch_execz .LBB13_90
; %bb.108:
	v_mbcnt_lo_u32_b32 v0, exec_lo, 0
	v_mbcnt_hi_u32_b32 v0, exec_hi, v0
	v_cmp_eq_u32_e32 vcc, 0, v0
	s_and_saveexec_b64 s[0:1], vcc
	s_cbranch_execz .LBB13_110
; %bb.109:
	s_add_i32 s2, s12, s13
	v_mov_b32_e32 v0, 0
	v_mov_b32_e32 v1, s2
	global_atomic_smin v0, v1, s[14:15]
.LBB13_110:
	s_or_b64 exec, exec, s[0:1]
	s_add_u32 s0, s10, s6
	s_addc_u32 s1, s11, s7
	v_mov_b32_e32 v0, 0
	v_mov_b32_e32 v1, 1
	buffer_wbl2 sc1
	s_waitcnt vmcnt(0)
	global_store_dword v0, v1, s[0:1] sc1
	s_endpgm
	.section	.rodata,"a",@progbits
	.p2align	6, 0x0
	.amdhsa_kernel _ZN9rocsparseL17bsric0_2_8_kernelILi64ELi64ELi8EfEEv20rocsparse_direction_iiPKiS3_PT2_S3_PiS3_S6_21rocsparse_index_base_
		.amdhsa_group_segment_fixed_size 1920
		.amdhsa_private_segment_fixed_size 0
		.amdhsa_kernarg_size 76
		.amdhsa_user_sgpr_count 2
		.amdhsa_user_sgpr_dispatch_ptr 0
		.amdhsa_user_sgpr_queue_ptr 0
		.amdhsa_user_sgpr_kernarg_segment_ptr 1
		.amdhsa_user_sgpr_dispatch_id 0
		.amdhsa_user_sgpr_kernarg_preload_length 0
		.amdhsa_user_sgpr_kernarg_preload_offset 0
		.amdhsa_user_sgpr_private_segment_size 0
		.amdhsa_uses_dynamic_stack 0
		.amdhsa_enable_private_segment 0
		.amdhsa_system_sgpr_workgroup_id_x 1
		.amdhsa_system_sgpr_workgroup_id_y 0
		.amdhsa_system_sgpr_workgroup_id_z 0
		.amdhsa_system_sgpr_workgroup_info 0
		.amdhsa_system_vgpr_workitem_id 1
		.amdhsa_next_free_vgpr 64
		.amdhsa_next_free_sgpr 50
		.amdhsa_accum_offset 64
		.amdhsa_reserve_vcc 1
		.amdhsa_float_round_mode_32 0
		.amdhsa_float_round_mode_16_64 0
		.amdhsa_float_denorm_mode_32 3
		.amdhsa_float_denorm_mode_16_64 3
		.amdhsa_dx10_clamp 1
		.amdhsa_ieee_mode 1
		.amdhsa_fp16_overflow 0
		.amdhsa_tg_split 0
		.amdhsa_exception_fp_ieee_invalid_op 0
		.amdhsa_exception_fp_denorm_src 0
		.amdhsa_exception_fp_ieee_div_zero 0
		.amdhsa_exception_fp_ieee_overflow 0
		.amdhsa_exception_fp_ieee_underflow 0
		.amdhsa_exception_fp_ieee_inexact 0
		.amdhsa_exception_int_div_zero 0
	.end_amdhsa_kernel
	.section	.text._ZN9rocsparseL17bsric0_2_8_kernelILi64ELi64ELi8EfEEv20rocsparse_direction_iiPKiS3_PT2_S3_PiS3_S6_21rocsparse_index_base_,"axG",@progbits,_ZN9rocsparseL17bsric0_2_8_kernelILi64ELi64ELi8EfEEv20rocsparse_direction_iiPKiS3_PT2_S3_PiS3_S6_21rocsparse_index_base_,comdat
.Lfunc_end13:
	.size	_ZN9rocsparseL17bsric0_2_8_kernelILi64ELi64ELi8EfEEv20rocsparse_direction_iiPKiS3_PT2_S3_PiS3_S6_21rocsparse_index_base_, .Lfunc_end13-_ZN9rocsparseL17bsric0_2_8_kernelILi64ELi64ELi8EfEEv20rocsparse_direction_iiPKiS3_PT2_S3_PiS3_S6_21rocsparse_index_base_
                                        ; -- End function
	.set _ZN9rocsparseL17bsric0_2_8_kernelILi64ELi64ELi8EfEEv20rocsparse_direction_iiPKiS3_PT2_S3_PiS3_S6_21rocsparse_index_base_.num_vgpr, 64
	.set _ZN9rocsparseL17bsric0_2_8_kernelILi64ELi64ELi8EfEEv20rocsparse_direction_iiPKiS3_PT2_S3_PiS3_S6_21rocsparse_index_base_.num_agpr, 0
	.set _ZN9rocsparseL17bsric0_2_8_kernelILi64ELi64ELi8EfEEv20rocsparse_direction_iiPKiS3_PT2_S3_PiS3_S6_21rocsparse_index_base_.numbered_sgpr, 50
	.set _ZN9rocsparseL17bsric0_2_8_kernelILi64ELi64ELi8EfEEv20rocsparse_direction_iiPKiS3_PT2_S3_PiS3_S6_21rocsparse_index_base_.num_named_barrier, 0
	.set _ZN9rocsparseL17bsric0_2_8_kernelILi64ELi64ELi8EfEEv20rocsparse_direction_iiPKiS3_PT2_S3_PiS3_S6_21rocsparse_index_base_.private_seg_size, 0
	.set _ZN9rocsparseL17bsric0_2_8_kernelILi64ELi64ELi8EfEEv20rocsparse_direction_iiPKiS3_PT2_S3_PiS3_S6_21rocsparse_index_base_.uses_vcc, 1
	.set _ZN9rocsparseL17bsric0_2_8_kernelILi64ELi64ELi8EfEEv20rocsparse_direction_iiPKiS3_PT2_S3_PiS3_S6_21rocsparse_index_base_.uses_flat_scratch, 0
	.set _ZN9rocsparseL17bsric0_2_8_kernelILi64ELi64ELi8EfEEv20rocsparse_direction_iiPKiS3_PT2_S3_PiS3_S6_21rocsparse_index_base_.has_dyn_sized_stack, 0
	.set _ZN9rocsparseL17bsric0_2_8_kernelILi64ELi64ELi8EfEEv20rocsparse_direction_iiPKiS3_PT2_S3_PiS3_S6_21rocsparse_index_base_.has_recursion, 0
	.set _ZN9rocsparseL17bsric0_2_8_kernelILi64ELi64ELi8EfEEv20rocsparse_direction_iiPKiS3_PT2_S3_PiS3_S6_21rocsparse_index_base_.has_indirect_call, 0
	.section	.AMDGPU.csdata,"",@progbits
; Kernel info:
; codeLenInByte = 4868
; TotalNumSgprs: 56
; NumVgprs: 64
; NumAgprs: 0
; TotalNumVgprs: 64
; ScratchSize: 0
; MemoryBound: 0
; FloatMode: 240
; IeeeMode: 1
; LDSByteSize: 1920 bytes/workgroup (compile time only)
; SGPRBlocks: 6
; VGPRBlocks: 7
; NumSGPRsForWavesPerEU: 56
; NumVGPRsForWavesPerEU: 64
; AccumOffset: 64
; Occupancy: 8
; WaveLimiterHint : 1
; COMPUTE_PGM_RSRC2:SCRATCH_EN: 0
; COMPUTE_PGM_RSRC2:USER_SGPR: 2
; COMPUTE_PGM_RSRC2:TRAP_HANDLER: 0
; COMPUTE_PGM_RSRC2:TGID_X_EN: 1
; COMPUTE_PGM_RSRC2:TGID_Y_EN: 0
; COMPUTE_PGM_RSRC2:TGID_Z_EN: 0
; COMPUTE_PGM_RSRC2:TIDIG_COMP_CNT: 1
; COMPUTE_PGM_RSRC3_GFX90A:ACCUM_OFFSET: 15
; COMPUTE_PGM_RSRC3_GFX90A:TG_SPLIT: 0
	.section	.text._ZN9rocsparseL18bsric0_9_16_kernelILi64ELi64ELi16EfEEv20rocsparse_direction_iiPKiS3_PT2_S3_PiS3_S6_21rocsparse_index_base_,"axG",@progbits,_ZN9rocsparseL18bsric0_9_16_kernelILi64ELi64ELi16EfEEv20rocsparse_direction_iiPKiS3_PT2_S3_PiS3_S6_21rocsparse_index_base_,comdat
	.globl	_ZN9rocsparseL18bsric0_9_16_kernelILi64ELi64ELi16EfEEv20rocsparse_direction_iiPKiS3_PT2_S3_PiS3_S6_21rocsparse_index_base_ ; -- Begin function _ZN9rocsparseL18bsric0_9_16_kernelILi64ELi64ELi16EfEEv20rocsparse_direction_iiPKiS3_PT2_S3_PiS3_S6_21rocsparse_index_base_
	.p2align	8
	.type	_ZN9rocsparseL18bsric0_9_16_kernelILi64ELi64ELi16EfEEv20rocsparse_direction_iiPKiS3_PT2_S3_PiS3_S6_21rocsparse_index_base_,@function
_ZN9rocsparseL18bsric0_9_16_kernelILi64ELi64ELi16EfEEv20rocsparse_direction_iiPKiS3_PT2_S3_PiS3_S6_21rocsparse_index_base_: ; @_ZN9rocsparseL18bsric0_9_16_kernelILi64ELi64ELi16EfEEv20rocsparse_direction_iiPKiS3_PT2_S3_PiS3_S6_21rocsparse_index_base_
; %bb.0:
	s_load_dwordx8 s[12:19], s[0:1], 0x28
	s_mov_b32 s3, 0
	s_lshl_b64 s[2:3], s[2:3], 2
	v_and_b32_e32 v6, 0x3ff, v0
	v_bfe_u32 v0, v0, 10, 10
	s_waitcnt lgkmcnt(0)
	s_add_u32 s2, s16, s2
	s_addc_u32 s3, s17, s3
	s_load_dword s16, s[2:3], 0x0
	s_waitcnt lgkmcnt(0)
	s_ashr_i32 s17, s16, 31
	s_lshl_b64 s[10:11], s[16:17], 2
	s_add_u32 s2, s12, s10
	s_addc_u32 s3, s13, s11
	s_load_dword s33, s[2:3], 0x0
	s_load_dword s17, s[0:1], 0x48
	s_waitcnt lgkmcnt(0)
	s_cmp_lg_u32 s33, -1
	s_cbranch_scc0 .LBB14_146
; %bb.1:
	s_load_dwordx4 s[20:23], s[0:1], 0x10
	s_load_dwordx2 s[24:25], s[0:1], 0x20
	v_lshlrev_b32_e32 v8, 2, v0
	v_lshlrev_b32_e32 v7, 2, v6
	s_waitcnt lgkmcnt(0)
	s_add_u32 s2, s20, s10
	s_addc_u32 s3, s21, s11
	s_load_dword s2, s[2:3], 0x0
	s_waitcnt lgkmcnt(0)
	s_sub_i32 s50, s2, s17
	v_add3_u32 v2, v8, v6, s50
	v_cmp_ge_i32_e32 vcc, s33, v2
	s_and_saveexec_b64 s[2:3], vcc
	s_cbranch_execz .LBB14_4
; %bb.2:
	v_lshlrev_b32_e32 v1, 4, v0
	v_lshlrev_b32_e32 v3, 2, v6
	s_movk_i32 s4, 0x1300
	v_add3_u32 v1, v1, v3, s4
	s_mov_b64 s[4:5], 0
.LBB14_3:                               ; =>This Inner Loop Header: Depth=1
	v_ashrrev_i32_e32 v3, 31, v2
	v_lshl_add_u64 v[4:5], v[2:3], 2, s[22:23]
	global_load_dword v3, v[4:5], off
	v_add_u32_e32 v2, 64, v2
	v_cmp_lt_i32_e32 vcc, s33, v2
	s_or_b64 s[4:5], vcc, s[4:5]
	s_waitcnt vmcnt(0)
	v_subrev_u32_e32 v3, s17, v3
	ds_write_b32 v1, v3
	v_add_u32_e32 v1, 0x100, v1
	s_andn2_b64 exec, exec, s[4:5]
	s_cbranch_execnz .LBB14_3
.LBB14_4:
	s_or_b64 exec, exec, s[2:3]
	v_cmp_gt_u32_e32 vcc, 16, v6
	s_and_saveexec_b64 s[4:5], vcc
	s_cbranch_execz .LBB14_11
; %bb.5:
	v_sub_u32_e64 v1, 12, v6 clamp
	v_add_u32_e32 v1, 3, v1
	v_lshrrev_b32_e32 v2, 2, v1
	v_add_u32_e32 v1, 2, v2
	v_mul_u32_u24_e32 v4, 0x44, v0
	v_lshlrev_b32_e32 v5, 2, v6
	s_movk_i32 s2, 0xcc0
	s_mov_b32 s6, 0
	v_and_b32_e32 v3, 14, v1
	v_mov_b32_e32 v1, v2
	v_add3_u32 v4, v4, v5, s2
	s_mov_b32 s7, 1
	s_mov_b64 s[8:9], 0
	v_mov_b32_e32 v5, 0
	s_mov_b32 s26, s6
	s_branch .LBB14_7
.LBB14_6:                               ;   in Loop: Header=BB14_7 Depth=1
	s_or_b64 exec, exec, s[2:3]
	s_add_i32 s26, s26, 2
	v_cmp_eq_u32_e32 vcc, s26, v3
	s_or_b64 s[8:9], vcc, s[8:9]
	v_add_u32_e32 v4, 32, v4
	s_andn2_b64 exec, exec, s[8:9]
	s_cbranch_execz .LBB14_11
.LBB14_7:                               ; =>This Inner Loop Header: Depth=1
	s_mov_b32 s27, s26
	s_or_b64 s[2:3], s[26:27], s[6:7]
	v_cmp_le_u32_e32 vcc, s3, v1
	v_cmp_le_u32_e64 s[2:3], s2, v2
	s_and_saveexec_b64 s[28:29], s[2:3]
; %bb.8:                                ;   in Loop: Header=BB14_7 Depth=1
	ds_write_b32 v4, v5
; %bb.9:                                ;   in Loop: Header=BB14_7 Depth=1
	s_or_b64 exec, exec, s[28:29]
	s_and_saveexec_b64 s[2:3], vcc
	s_cbranch_execz .LBB14_6
; %bb.10:                               ;   in Loop: Header=BB14_7 Depth=1
	ds_write_b32 v4, v5 offset:16
	s_branch .LBB14_6
.LBB14_11:
	s_or_b64 exec, exec, s[4:5]
	s_load_dword s48, s[0:1], 0x8
	s_load_dword s49, s[0:1], 0x0
	s_cmp_ge_i32 s50, s33
	s_waitcnt lgkmcnt(0)
	v_cmp_gt_i32_e64 s[0:1], s48, v6
	v_xad_u32 v1, v6, -1, s48
	s_cbranch_scc1 .LBB14_100
; %bb.12:
	s_movk_i32 s51, 0x44
	v_mov_b32_e32 v3, 0x440
	v_mad_u32_u24 v10, v0, s51, v3
	v_or_b32_e32 v3, v6, v0
	v_cmp_ne_u32_e64 s[4:5], 0, v3
	v_lshrrev_b32_e32 v3, 2, v1
	v_add_u32_e32 v3, 1, v3
	s_cmp_lg_u32 s49, 0
	v_mov_b32_e32 v2, 0x880
	v_and_b32_e32 v12, 0x7ffffffc, v3
	v_lshlrev_b32_e32 v14, 2, v6
	s_mul_i32 s30, s48, s50
	s_cselect_b64 s[26:27], -1, 0
	v_mad_u32_u24 v9, v0, s51, v2
	s_cmp_gt_i32 s48, 0
	v_cmp_ne_u32_e64 s[8:9], v3, v12
	v_mad_u32_u24 v15, v0, s51, v14
	v_add_u32_e32 v3, s30, v0
	v_mad_u32_u24 v20, v6, s51, v2
	v_mov_b32_e32 v2, 0xcc0
	v_cmp_gt_i32_e64 s[2:3], s48, v0
	s_mul_i32 s52, s48, s48
	v_mul_lo_u32 v11, s48, v0
	s_cselect_b64 s[28:29], -1, 0
	v_cmp_lt_u32_e64 s[6:7], 11, v1
	v_lshl_add_u32 v13, v12, 2, v6
	v_add_u32_e32 v16, 0x440, v15
	v_mul_lo_u32 v18, s48, v3
	v_mul_lo_u32 v17, v6, s48
	s_lshl_b32 s53, s48, 2
	v_mul_u32_u24_e32 v19, 0x44, v6
	v_add_u32_e32 v21, 0xcc0, v15
	v_mad_u32_u24 v22, v0, s51, v2
	v_add_u32_e32 v23, 0x880, v15
	v_mov_b32_e32 v24, 0
	s_mov_b32 s30, s50
	s_branch .LBB14_14
.LBB14_13:                              ;   in Loop: Header=BB14_14 Depth=1
	s_or_b64 exec, exec, s[34:35]
	s_add_i32 s30, s30, 1
	s_cmp_ge_i32 s30, s33
	buffer_wbl2 sc1
	s_waitcnt vmcnt(0)
	buffer_inv sc1
	v_add_u32_e32 v18, s52, v18
	s_cselect_b64 s[34:35], -1, 0
	s_and_b64 vcc, exec, s[34:35]
	s_cbranch_vccnz .LBB14_100
.LBB14_14:                              ; =>This Loop Header: Depth=1
                                        ;     Child Loop BB14_18 Depth 2
                                        ;     Child Loop BB14_30 Depth 2
	;; [unrolled: 1-line block ×5, first 2 shown]
                                        ;       Child Loop BB14_60 Depth 3
                                        ;     Child Loop BB14_74 Depth 2
                                        ;       Child Loop BB14_79 Depth 3
                                        ;       Child Loop BB14_83 Depth 3
	;; [unrolled: 1-line block ×3, first 2 shown]
                                        ;     Child Loop BB14_95 Depth 2
	s_ashr_i32 s31, s30, 31
	s_lshl_b64 s[34:35], s[30:31], 2
	s_add_u32 s34, s22, s34
	s_addc_u32 s35, s23, s35
	s_load_dword s54, s[34:35], 0x0
	s_waitcnt lgkmcnt(0)
	s_sub_i32 s36, s54, s17
	s_ashr_i32 s37, s36, 31
	s_lshl_b64 s[34:35], s[36:37], 2
	s_add_u32 s38, s12, s34
	s_addc_u32 s39, s13, s35
	s_load_dword s37, s[38:39], 0x0
	s_waitcnt lgkmcnt(0)
	s_cmp_eq_u32 s37, -1
	s_cbranch_scc1 .LBB14_99
; %bb.15:                               ;   in Loop: Header=BB14_14 Depth=1
	s_add_u32 s38, s20, s34
	s_addc_u32 s39, s21, s35
	s_load_dword s55, s[38:39], 0x0
	s_mul_i32 s31, s30, s48
	s_and_saveexec_b64 s[38:39], s[0:1]
	s_cbranch_execz .LBB14_28
; %bb.16:                               ;   in Loop: Header=BB14_14 Depth=1
	s_mov_b64 s[40:41], 0
	v_mov_b32_e32 v4, v16
	v_mov_b32_e32 v5, v6
	s_branch .LBB14_18
.LBB14_17:                              ;   in Loop: Header=BB14_18 Depth=2
	s_or_b64 exec, exec, s[44:45]
	v_add_u32_e32 v5, 4, v5
	v_cmp_le_i32_e32 vcc, s48, v5
	s_waitcnt vmcnt(0)
	ds_write_b32 v4, v3 offset:1088
	ds_write_b32 v4, v24
	s_or_b64 s[40:41], vcc, s[40:41]
	v_add_u32_e32 v4, 16, v4
	s_andn2_b64 exec, exec, s[40:41]
	s_cbranch_execz .LBB14_28
.LBB14_18:                              ;   Parent Loop BB14_14 Depth=1
                                        ; =>  This Inner Loop Header: Depth=2
	s_and_b64 vcc, exec, s[26:27]
	s_cbranch_vccz .LBB14_25
; %bb.19:                               ;   in Loop: Header=BB14_18 Depth=2
	s_mov_b64 s[44:45], 0
	s_mov_b64 s[42:43], 0
                                        ; implicit-def: $vgpr2
	s_and_saveexec_b64 s[46:47], s[2:3]
	s_xor_b64 s[46:47], exec, s[46:47]
; %bb.20:                               ;   in Loop: Header=BB14_18 Depth=2
	v_add_u32_e32 v2, s31, v5
	s_mov_b64 s[42:43], exec
	v_mad_u64_u32 v[2:3], s[56:57], v2, s48, v[0:1]
; %bb.21:                               ;   in Loop: Header=BB14_18 Depth=2
	s_or_b64 exec, exec, s[46:47]
	s_and_b64 vcc, exec, s[44:45]
	s_cbranch_vccz .LBB14_26
.LBB14_22:                              ;   in Loop: Header=BB14_18 Depth=2
                                        ; implicit-def: $vgpr2
	s_and_saveexec_b64 s[44:45], s[2:3]
; %bb.23:                               ;   in Loop: Header=BB14_18 Depth=2
	v_add_u32_e32 v2, v18, v5
	s_or_b64 s[42:43], s[42:43], exec
; %bb.24:                               ;   in Loop: Header=BB14_18 Depth=2
	s_or_b64 exec, exec, s[44:45]
	v_mov_b32_e32 v3, 0
	s_and_saveexec_b64 s[44:45], s[42:43]
	s_cbranch_execz .LBB14_17
	s_branch .LBB14_27
.LBB14_25:                              ;   in Loop: Header=BB14_18 Depth=2
	s_mov_b64 s[42:43], 0
                                        ; implicit-def: $vgpr2
	s_cbranch_execnz .LBB14_22
.LBB14_26:                              ;   in Loop: Header=BB14_18 Depth=2
	v_mov_b32_e32 v3, 0
	s_and_saveexec_b64 s[44:45], s[42:43]
	s_cbranch_execz .LBB14_17
.LBB14_27:                              ;   in Loop: Header=BB14_18 Depth=2
	v_ashrrev_i32_e32 v3, 31, v2
	v_lshl_add_u64 v[2:3], v[2:3], 2, s[24:25]
	global_load_dword v3, v[2:3], off
	s_branch .LBB14_17
.LBB14_28:                              ;   in Loop: Header=BB14_14 Depth=1
	s_or_b64 exec, exec, s[38:39]
	ds_read_b32 v2, v24 offset:4864
	s_waitcnt lgkmcnt(0)
	s_sub_i32 s38, s55, s17
	s_cmp_le_i32 s38, s37
	s_cselect_b64 s[40:41], -1, 0
	s_mov_b32 s44, 0
	v_cmp_ge_i32_e32 vcc, s36, v2
	s_and_b64 s[40:41], s[40:41], vcc
	s_andn2_b64 vcc, exec, s[40:41]
	s_cbranch_vccnz .LBB14_40
; %bb.29:                               ;   in Loop: Header=BB14_14 Depth=1
	s_mov_b32 s42, 0
	s_mov_b32 s43, 0
.LBB14_30:                              ;   Parent Loop BB14_14 Depth=1
                                        ; =>  This Inner Loop Header: Depth=2
	s_ashr_i32 s39, s38, 31
	s_lshl_b64 s[40:41], s[38:39], 2
	s_add_u32 s40, s22, s40
	s_addc_u32 s41, s23, s41
	s_load_dword s39, s[40:41], 0x0
	s_lshl_b32 s40, s43, 2
	v_mov_b32_e32 v2, s40
	ds_read_b32 v2, v2 offset:4864
	s_mov_b64 s[40:41], -1
	s_waitcnt lgkmcnt(0)
	s_sub_i32 s47, s39, s17
                                        ; implicit-def: $sgpr44
                                        ; implicit-def: $sgpr46
                                        ; implicit-def: $sgpr45
	v_cmp_ge_i32_e32 vcc, s47, v2
	v_readfirstlane_b32 s39, v2
	s_cbranch_vccz .LBB14_36
; %bb.31:                               ;   in Loop: Header=BB14_30 Depth=2
	s_cmp_le_i32 s47, s39
                                        ; implicit-def: $sgpr44
                                        ; implicit-def: $sgpr46
                                        ; implicit-def: $sgpr45
	s_cbranch_scc0 .LBB14_33
; %bb.32:                               ;   in Loop: Header=BB14_30 Depth=2
	s_add_i32 s40, s43, s50
	s_mul_i32 s40, s40, s52
	s_lshl_b32 s41, s42, 2
	v_mov_b32_e32 v3, s40
	s_mul_i32 s40, s38, s52
	v_mov_b32_e32 v2, s41
	v_mov_b32_e32 v4, s40
	ds_write2st64_b32 v2, v4, v3 offset0:17 offset1:18
	s_add_i32 s45, s43, 1
	s_add_i32 s46, s38, 1
	s_add_i32 s44, s42, 1
	s_mov_b64 s[40:41], 0
.LBB14_33:                              ;   in Loop: Header=BB14_30 Depth=2
	s_andn2_b64 vcc, exec, s[40:41]
	s_cbranch_vccnz .LBB14_35
; %bb.34:                               ;   in Loop: Header=BB14_30 Depth=2
	s_add_i32 s45, s43, 1
	s_mov_b32 s44, s42
	s_mov_b32 s46, s38
.LBB14_35:                              ;   in Loop: Header=BB14_30 Depth=2
	s_mov_b64 s[40:41], 0
.LBB14_36:                              ;   in Loop: Header=BB14_30 Depth=2
	s_andn2_b64 vcc, exec, s[40:41]
	s_cbranch_vccnz .LBB14_38
; %bb.37:                               ;   in Loop: Header=BB14_30 Depth=2
	s_add_i32 s46, s38, 1
	s_mov_b32 s45, s43
	s_mov_b32 s44, s42
.LBB14_38:                              ;   in Loop: Header=BB14_30 Depth=2
	s_cmp_le_i32 s46, s37
	s_cselect_b64 s[40:41], -1, 0
	s_cmp_le_i32 s39, s36
	s_cselect_b64 s[38:39], -1, 0
	s_and_b64 s[38:39], s[40:41], s[38:39]
	s_and_b64 vcc, exec, s[38:39]
	s_cbranch_vccz .LBB14_40
; %bb.39:                               ;   in Loop: Header=BB14_30 Depth=2
	s_mov_b32 s42, s44
	s_mov_b32 s38, s46
	;; [unrolled: 1-line block ×3, first 2 shown]
	s_branch .LBB14_30
.LBB14_40:                              ;   in Loop: Header=BB14_14 Depth=1
	s_add_u32 s34, s14, s34
	s_addc_u32 s35, s15, s35
	s_waitcnt lgkmcnt(0)
.LBB14_41:                              ;   Parent Loop BB14_14 Depth=1
                                        ; =>  This Inner Loop Header: Depth=2
	global_load_dword v2, v24, s[34:35] sc1
	s_waitcnt vmcnt(0)
	v_cmp_eq_u32_e32 vcc, 0, v2
	s_cbranch_vccnz .LBB14_41
; %bb.42:                               ;   in Loop: Header=BB14_14 Depth=1
	buffer_inv sc1
	s_and_saveexec_b64 s[34:35], s[0:1]
	s_cbranch_execz .LBB14_55
; %bb.43:                               ;   in Loop: Header=BB14_14 Depth=1
	s_mul_i32 s45, s37, s48
	v_add_u32_e32 v2, s45, v0
	v_mul_lo_u32 v4, v2, s48
	s_mov_b64 s[36:37], 0
	v_mov_b32_e32 v5, v15
	v_mov_b32_e32 v25, v6
	s_branch .LBB14_45
.LBB14_44:                              ;   in Loop: Header=BB14_45 Depth=2
	s_or_b64 exec, exec, s[40:41]
	v_add_u32_e32 v25, 4, v25
	v_cmp_le_i32_e32 vcc, s48, v25
	s_waitcnt vmcnt(0)
	ds_write_b32 v5, v3
	s_or_b64 s[36:37], vcc, s[36:37]
	v_add_u32_e32 v5, 16, v5
	s_andn2_b64 exec, exec, s[36:37]
	s_cbranch_execz .LBB14_55
.LBB14_45:                              ;   Parent Loop BB14_14 Depth=1
                                        ; =>  This Inner Loop Header: Depth=2
	s_and_b64 vcc, exec, s[26:27]
	s_cbranch_vccz .LBB14_52
; %bb.46:                               ;   in Loop: Header=BB14_45 Depth=2
	s_mov_b64 s[40:41], 0
	s_mov_b64 s[38:39], 0
                                        ; implicit-def: $vgpr2
	s_and_saveexec_b64 s[42:43], s[2:3]
	s_xor_b64 s[42:43], exec, s[42:43]
; %bb.47:                               ;   in Loop: Header=BB14_45 Depth=2
	v_add_u32_e32 v2, s45, v25
	s_mov_b64 s[38:39], exec
	v_mad_u64_u32 v[2:3], s[46:47], v2, s48, v[0:1]
; %bb.48:                               ;   in Loop: Header=BB14_45 Depth=2
	s_or_b64 exec, exec, s[42:43]
	s_and_b64 vcc, exec, s[40:41]
	s_cbranch_vccz .LBB14_53
.LBB14_49:                              ;   in Loop: Header=BB14_45 Depth=2
                                        ; implicit-def: $vgpr2
	s_and_saveexec_b64 s[40:41], s[2:3]
; %bb.50:                               ;   in Loop: Header=BB14_45 Depth=2
	v_add_u32_e32 v2, v4, v25
	s_or_b64 s[38:39], s[38:39], exec
; %bb.51:                               ;   in Loop: Header=BB14_45 Depth=2
	s_or_b64 exec, exec, s[40:41]
	v_mov_b32_e32 v3, 0
	s_and_saveexec_b64 s[40:41], s[38:39]
	s_cbranch_execz .LBB14_44
	s_branch .LBB14_54
.LBB14_52:                              ;   in Loop: Header=BB14_45 Depth=2
	s_mov_b64 s[38:39], 0
                                        ; implicit-def: $vgpr2
	s_cbranch_execnz .LBB14_49
.LBB14_53:                              ;   in Loop: Header=BB14_45 Depth=2
	v_mov_b32_e32 v3, 0
	s_and_saveexec_b64 s[40:41], s[38:39]
	s_cbranch_execz .LBB14_44
.LBB14_54:                              ;   in Loop: Header=BB14_45 Depth=2
	v_ashrrev_i32_e32 v3, 31, v2
	v_lshl_add_u64 v[2:3], v[2:3], 2, s[24:25]
	global_load_dword v3, v[2:3], off
	s_branch .LBB14_44
.LBB14_55:                              ;   in Loop: Header=BB14_14 Depth=1
	s_or_b64 exec, exec, s[34:35]
	s_cmp_lt_i32 s44, 2
	s_cbranch_scc1 .LBB14_71
; %bb.56:                               ;   in Loop: Header=BB14_14 Depth=1
	s_add_i32 s40, s44, -2
	s_mov_b32 s41, 0
	s_branch .LBB14_58
.LBB14_57:                              ;   in Loop: Header=BB14_58 Depth=2
	s_or_b64 exec, exec, s[34:35]
	s_add_i32 s34, s41, 1
	s_cmp_eq_u32 s41, s40
	s_mov_b32 s41, s34
	s_cbranch_scc1 .LBB14_71
.LBB14_58:                              ;   Parent Loop BB14_14 Depth=1
                                        ; =>  This Loop Header: Depth=2
                                        ;       Child Loop BB14_60 Depth 3
	s_and_saveexec_b64 s[34:35], s[0:1]
	s_cbranch_execz .LBB14_57
; %bb.59:                               ;   in Loop: Header=BB14_58 Depth=2
	s_lshl_b32 s36, s41, 2
	v_mov_b32_e32 v2, s36
	ds_read2st64_b32 v[2:3], v2 offset0:17 offset1:18
	s_mov_b64 s[36:37], 0
	v_mov_b32_e32 v29, v6
	s_waitcnt lgkmcnt(0)
	v_add_u32_e32 v25, v3, v11
	v_add_u32_e32 v26, v0, v3
	;; [unrolled: 1-line block ×4, first 2 shown]
.LBB14_60:                              ;   Parent Loop BB14_14 Depth=1
                                        ;     Parent Loop BB14_58 Depth=2
                                        ; =>    This Inner Loop Header: Depth=3
	v_mov_b32_e32 v30, 0
	s_mov_b32 s42, 0
	v_mov_b32_e32 v2, v27
	v_mov_b32_e32 v4, v26
	s_and_b64 vcc, exec, s[26:27]
	s_cbranch_vccnz .LBB14_63
	s_branch .LBB14_62
.LBB14_61:                              ;   in Loop: Header=BB14_60 Depth=3
	v_mov_b32_e32 v30, v3
	s_and_b64 vcc, exec, s[26:27]
	s_cbranch_vccnz .LBB14_63
.LBB14_62:                              ;   in Loop: Header=BB14_60 Depth=3
                                        ; implicit-def: $vgpr3
	s_cbranch_execz .LBB14_69
	s_branch .LBB14_66
.LBB14_63:                              ;   in Loop: Header=BB14_60 Depth=3
	v_ashrrev_i32_e32 v3, 31, v2
	v_lshl_add_u64 v[32:33], v[2:3], 2, s[24:25]
	global_load_dword v3, v[32:33], off
	v_mov_b32_e32 v5, 0
	s_and_saveexec_b64 s[38:39], s[2:3]
	s_cbranch_execz .LBB14_65
; %bb.64:                               ;   in Loop: Header=BB14_60 Depth=3
	v_ashrrev_i32_e32 v5, 31, v4
	v_lshl_add_u64 v[32:33], v[4:5], 2, s[24:25]
	global_load_dword v5, v[32:33], off
.LBB14_65:                              ;   in Loop: Header=BB14_60 Depth=3
	s_or_b64 exec, exec, s[38:39]
	s_waitcnt vmcnt(0)
	v_fma_f32 v3, v3, v5, v30
	s_branch .LBB14_69
.LBB14_66:                              ;   in Loop: Header=BB14_60 Depth=3
	v_add_u32_e32 v32, s42, v28
	v_ashrrev_i32_e32 v33, 31, v32
	v_lshl_add_u64 v[32:33], v[32:33], 2, s[24:25]
	global_load_dword v3, v[32:33], off
	v_mov_b32_e32 v5, 0
	s_and_saveexec_b64 s[38:39], s[2:3]
	s_cbranch_execz .LBB14_68
; %bb.67:                               ;   in Loop: Header=BB14_60 Depth=3
	v_add_u32_e32 v32, s42, v25
	v_ashrrev_i32_e32 v33, 31, v32
	v_lshl_add_u64 v[32:33], v[32:33], 2, s[24:25]
	global_load_dword v5, v[32:33], off
.LBB14_68:                              ;   in Loop: Header=BB14_60 Depth=3
	s_or_b64 exec, exec, s[38:39]
	s_waitcnt vmcnt(0)
	v_fmac_f32_e32 v30, v3, v5
	v_mov_b32_e32 v3, v30
.LBB14_69:                              ;   in Loop: Header=BB14_60 Depth=3
	s_add_i32 s42, s42, 1
	v_add_u32_e32 v4, s48, v4
	s_cmp_eq_u32 s48, s42
	v_add_u32_e32 v2, s48, v2
	s_cbranch_scc0 .LBB14_61
; %bb.70:                               ;   in Loop: Header=BB14_60 Depth=3
	v_lshl_add_u32 v2, v29, 2, v10
	ds_read_b32 v4, v2
	v_add_u32_e32 v29, 4, v29
	v_cmp_le_i32_e32 vcc, s48, v29
	v_add_u32_e32 v27, 4, v27
	s_or_b64 s[36:37], vcc, s[36:37]
	s_waitcnt lgkmcnt(0)
	v_add_f32_e32 v3, v3, v4
	v_add_u32_e32 v28, s53, v28
	ds_write_b32 v2, v3
	s_andn2_b64 exec, exec, s[36:37]
	s_cbranch_execnz .LBB14_60
	s_branch .LBB14_57
.LBB14_71:                              ;   in Loop: Header=BB14_14 Depth=1
	s_andn2_b64 vcc, exec, s[28:29]
	s_waitcnt lgkmcnt(0)
	s_cbranch_vccnz .LBB14_90
; %bb.72:                               ;   in Loop: Header=BB14_14 Depth=1
	s_mov_b32 s42, 0
	s_movk_i32 s43, 0x880
	v_mov_b32_e32 v27, s54
	v_mov_b32_e32 v4, v20
	s_mov_b32 s44, 0
	s_branch .LBB14_74
.LBB14_73:                              ;   in Loop: Header=BB14_74 Depth=2
	s_or_b64 exec, exec, s[34:35]
	s_add_i32 s44, s44, 1
	s_addk_i32 s42, 0x44
	s_add_i32 s43, s43, 4
	s_cmp_eq_u32 s44, s48
	v_add_u32_e32 v4, 4, v4
	s_waitcnt lgkmcnt(0)
	s_cbranch_scc1 .LBB14_90
.LBB14_74:                              ;   Parent Loop BB14_14 Depth=1
                                        ; =>  This Loop Header: Depth=2
                                        ;       Child Loop BB14_79 Depth 3
                                        ;       Child Loop BB14_83 Depth 3
	;; [unrolled: 1-line block ×3, first 2 shown]
	s_lshl_b32 s34, s44, 2
	s_mul_i32 s35, s44, 0x44
	s_add_i32 s35, s35, s34
	v_mov_b32_e32 v2, s35
	ds_read_b32 v5, v2
	v_add_u32_e32 v3, s34, v9
	ds_read_b32 v2, v3
	s_waitcnt lgkmcnt(1)
	v_cmp_neq_f32_e32 vcc, 0, v5
	s_nop 1
	v_cndmask_b32_e32 v5, 1.0, v5, vcc
	s_nor_b64 s[36:37], vcc, s[4:5]
	s_and_saveexec_b64 s[34:35], s[36:37]
	s_cbranch_execz .LBB14_78
; %bb.75:                               ;   in Loop: Header=BB14_74 Depth=2
	v_mbcnt_lo_u32_b32 v5, exec_lo, 0
	v_mbcnt_hi_u32_b32 v5, exec_hi, v5
	v_cmp_eq_u32_e32 vcc, 0, v5
	s_and_saveexec_b64 s[36:37], vcc
	s_cbranch_execz .LBB14_77
; %bb.76:                               ;   in Loop: Header=BB14_74 Depth=2
	global_atomic_smin v24, v27, s[18:19]
.LBB14_77:                              ;   in Loop: Header=BB14_74 Depth=2
	s_or_b64 exec, exec, s[36:37]
	v_mov_b32_e32 v5, 1.0
.LBB14_78:                              ;   in Loop: Header=BB14_74 Depth=2
	s_or_b64 exec, exec, s[34:35]
	v_lshl_add_u32 v25, s44, 2, v10
	ds_read_b32 v25, v25
	s_cmp_eq_u32 s44, 0
	v_mov_b32_e32 v26, v9
	s_mov_b32 s34, s42
	s_mov_b32 s35, s44
	s_cbranch_scc1 .LBB14_80
.LBB14_79:                              ;   Parent Loop BB14_14 Depth=1
                                        ;     Parent Loop BB14_74 Depth=2
                                        ; =>    This Inner Loop Header: Depth=3
	v_mov_b32_e32 v28, s34
	ds_read_b32 v29, v26
	ds_read_b32 v28, v28
	s_add_i32 s35, s35, -1
	s_add_i32 s34, s34, 4
	v_add_u32_e32 v26, 4, v26
	s_cmp_eq_u32 s35, 0
	s_waitcnt lgkmcnt(0)
	v_fmac_f32_e32 v25, v28, v29
	s_cbranch_scc0 .LBB14_79
.LBB14_80:                              ;   in Loop: Header=BB14_74 Depth=2
	s_waitcnt lgkmcnt(0)
	v_sub_f32_e32 v2, v2, v25
	v_div_scale_f32 v25, s[34:35], v5, v5, v2
	v_rcp_f32_e32 v26, v25
	v_div_scale_f32 v28, vcc, v2, v5, v2
	v_fma_f32 v29, -v25, v26, 1.0
	v_fmac_f32_e32 v26, v29, v26
	v_mul_f32_e32 v29, v28, v26
	v_fma_f32 v30, -v25, v29, v28
	v_fmac_f32_e32 v29, v30, v26
	v_fma_f32 v25, -v25, v29, v28
	v_div_fmas_f32 v25, v25, v26, v29
	v_div_fixup_f32 v2, v25, v5, v2
	ds_write_b32 v3, v2
	s_waitcnt lgkmcnt(0)
	s_and_saveexec_b64 s[34:35], s[0:1]
	s_cbranch_execz .LBB14_73
; %bb.81:                               ;   in Loop: Header=BB14_74 Depth=2
	s_mov_b64 s[38:39], -1
	v_mov_b32_e32 v3, v6
	v_mov_b32_e32 v5, v14
	;; [unrolled: 1-line block ×3, first 2 shown]
	s_and_saveexec_b64 s[36:37], s[6:7]
	s_cbranch_execz .LBB14_87
; %bb.82:                               ;   in Loop: Header=BB14_74 Depth=2
	v_mov_b32_e32 v3, v2
	s_mov_b64 s[38:39], 0
	v_mov_b32_e32 v5, v12
	v_mov_b32_e32 v25, v21
	;; [unrolled: 1-line block ×3, first 2 shown]
.LBB14_83:                              ;   Parent Loop BB14_14 Depth=1
                                        ;     Parent Loop BB14_74 Depth=2
                                        ; =>    This Inner Loop Header: Depth=3
	ds_read2_b32 v[28:29], v26 offset1:68
	ds_read2_b32 v[30:31], v26 offset0:136 offset1:204
	ds_read2_b32 v[32:33], v25 offset1:4
	ds_read2_b32 v[34:35], v25 offset0:8 offset1:12
	v_add_u32_e32 v5, -4, v5
	v_cmp_eq_u32_e32 vcc, 0, v5
	v_add_u32_e32 v26, 0x440, v26
	s_waitcnt lgkmcnt(1)
	v_pk_fma_f32 v[28:29], v[2:3], v[28:29], v[32:33]
	s_waitcnt lgkmcnt(0)
	v_pk_fma_f32 v[30:31], v[2:3], v[30:31], v[34:35]
	ds_write2_b32 v25, v28, v29 offset1:4
	ds_write2_b32 v25, v30, v31 offset0:8 offset1:12
	s_or_b64 s[38:39], vcc, s[38:39]
	v_add_u32_e32 v25, 64, v25
	s_andn2_b64 exec, exec, s[38:39]
	s_cbranch_execnz .LBB14_83
; %bb.84:                               ;   in Loop: Header=BB14_74 Depth=2
	s_or_b64 exec, exec, s[38:39]
	s_mov_b64 s[38:39], 0
                                        ; implicit-def: $vgpr5
                                        ; implicit-def: $vgpr25
	s_and_saveexec_b64 s[40:41], s[8:9]
; %bb.85:                               ;   in Loop: Header=BB14_74 Depth=2
	s_mov_b64 s[38:39], exec
	v_lshlrev_b32_e32 v5, 2, v13
	v_mul_lo_u32 v25, v13, s51
; %bb.86:                               ;   in Loop: Header=BB14_74 Depth=2
	s_or_b64 exec, exec, s[40:41]
	s_orn2_b64 s[38:39], s[38:39], exec
	v_mov_b32_e32 v3, v13
.LBB14_87:                              ;   in Loop: Header=BB14_74 Depth=2
	s_or_b64 exec, exec, s[36:37]
	s_and_b64 exec, exec, s[38:39]
	s_cbranch_execz .LBB14_73
; %bb.88:                               ;   in Loop: Header=BB14_74 Depth=2
	v_add_u32_e32 v5, v22, v5
	v_add_u32_e32 v25, s43, v25
	s_mov_b64 s[36:37], 0
.LBB14_89:                              ;   Parent Loop BB14_14 Depth=1
                                        ;     Parent Loop BB14_74 Depth=2
                                        ; =>    This Inner Loop Header: Depth=3
	ds_read_b32 v26, v25
	ds_read_b32 v28, v5
	v_add_u32_e32 v3, 4, v3
	v_cmp_le_i32_e32 vcc, s48, v3
	s_or_b64 s[36:37], vcc, s[36:37]
	v_add_u32_e32 v25, 0x110, v25
	s_waitcnt lgkmcnt(0)
	v_fmac_f32_e32 v28, v2, v26
	ds_write_b32 v5, v28
	v_add_u32_e32 v5, 16, v5
	s_andn2_b64 exec, exec, s[36:37]
	s_cbranch_execnz .LBB14_89
	s_branch .LBB14_73
.LBB14_90:                              ;   in Loop: Header=BB14_14 Depth=1
	s_and_saveexec_b64 s[34:35], s[0:1]
	s_cbranch_execz .LBB14_13
; %bb.91:                               ;   in Loop: Header=BB14_14 Depth=1
	s_mov_b64 s[36:37], 0
	v_mov_b32_e32 v4, v23
	v_mov_b32_e32 v5, v6
	s_branch .LBB14_95
.LBB14_92:                              ;   in Loop: Header=BB14_95 Depth=2
	v_add_u32_e32 v2, v18, v5
.LBB14_93:                              ;   in Loop: Header=BB14_95 Depth=2
	v_ashrrev_i32_e32 v3, 31, v2
	v_lshl_add_u64 v[2:3], v[2:3], 2, s[24:25]
	s_waitcnt lgkmcnt(0)
	global_store_dword v[2:3], v25, off
.LBB14_94:                              ;   in Loop: Header=BB14_95 Depth=2
	s_or_b64 exec, exec, s[38:39]
	v_add_u32_e32 v5, 4, v5
	v_cmp_le_i32_e32 vcc, s48, v5
	s_or_b64 s[36:37], vcc, s[36:37]
	v_add_u32_e32 v4, 16, v4
	s_andn2_b64 exec, exec, s[36:37]
	s_cbranch_execz .LBB14_13
.LBB14_95:                              ;   Parent Loop BB14_14 Depth=1
                                        ; =>  This Inner Loop Header: Depth=2
	s_and_saveexec_b64 s[38:39], s[2:3]
	s_cbranch_execz .LBB14_94
; %bb.96:                               ;   in Loop: Header=BB14_95 Depth=2
	ds_read_b32 v25, v4
	s_and_b64 vcc, exec, s[26:27]
	s_cbranch_vccz .LBB14_98
; %bb.97:                               ;   in Loop: Header=BB14_95 Depth=2
	v_add_u32_e32 v2, s31, v5
	v_mad_u64_u32 v[2:3], s[40:41], v2, s48, v[0:1]
	s_cbranch_execnz .LBB14_93
	s_branch .LBB14_92
.LBB14_98:                              ;   in Loop: Header=BB14_95 Depth=2
                                        ; implicit-def: $vgpr2
	s_branch .LBB14_92
.LBB14_99:                              ;   in Loop: Header=BB14_14 Depth=1
                                        ; implicit-def: $sgpr30
                                        ; implicit-def: $vgpr18
	s_cbranch_execz .LBB14_14
.LBB14_100:
	v_cmp_gt_i32_e64 s[0:1], s48, v6
	s_and_saveexec_b64 s[4:5], s[0:1]
	s_cbranch_execz .LBB14_113
; %bb.101:
	s_mul_i32 s26, s33, s48
	v_add_u32_e32 v2, s26, v0
	s_cmp_lg_u32 s49, 0
	v_mul_lo_u32 v4, v2, s48
	v_mul_u32_u24_e32 v2, 0x44, v0
	v_lshlrev_b32_e32 v3, 2, v6
	s_movk_i32 s8, 0x880
	s_cselect_b64 s[6:7], -1, 0
	v_cmp_gt_i32_e64 s[2:3], s48, v0
	v_add3_u32 v5, v2, v3, s8
	s_mov_b64 s[8:9], 0
	v_mov_b32_e32 v9, v6
	s_branch .LBB14_103
.LBB14_102:                             ;   in Loop: Header=BB14_103 Depth=1
	s_or_b64 exec, exec, s[20:21]
	v_add_u32_e32 v9, 4, v9
	v_cmp_le_i32_e32 vcc, s48, v9
	s_waitcnt vmcnt(0)
	ds_write_b32 v5, v3
	s_or_b64 s[8:9], vcc, s[8:9]
	v_add_u32_e32 v5, 16, v5
	s_andn2_b64 exec, exec, s[8:9]
	s_cbranch_execz .LBB14_113
.LBB14_103:                             ; =>This Inner Loop Header: Depth=1
	s_and_b64 vcc, exec, s[6:7]
	s_cbranch_vccz .LBB14_110
; %bb.104:                              ;   in Loop: Header=BB14_103 Depth=1
	s_mov_b64 s[20:21], 0
	s_mov_b64 s[12:13], 0
                                        ; implicit-def: $vgpr2
	s_and_saveexec_b64 s[22:23], s[2:3]
	s_xor_b64 s[22:23], exec, s[22:23]
; %bb.105:                              ;   in Loop: Header=BB14_103 Depth=1
	v_add_u32_e32 v2, s26, v9
	s_mov_b64 s[12:13], exec
	v_mad_u64_u32 v[2:3], s[28:29], v2, s48, v[0:1]
; %bb.106:                              ;   in Loop: Header=BB14_103 Depth=1
	s_or_b64 exec, exec, s[22:23]
	s_and_b64 vcc, exec, s[20:21]
	s_cbranch_vccz .LBB14_111
.LBB14_107:                             ;   in Loop: Header=BB14_103 Depth=1
                                        ; implicit-def: $vgpr2
	s_and_saveexec_b64 s[20:21], s[2:3]
; %bb.108:                              ;   in Loop: Header=BB14_103 Depth=1
	v_add_u32_e32 v2, v4, v9
	s_or_b64 s[12:13], s[12:13], exec
; %bb.109:                              ;   in Loop: Header=BB14_103 Depth=1
	s_or_b64 exec, exec, s[20:21]
	v_mov_b32_e32 v3, 0
	s_and_saveexec_b64 s[20:21], s[12:13]
	s_cbranch_execz .LBB14_102
	s_branch .LBB14_112
.LBB14_110:                             ;   in Loop: Header=BB14_103 Depth=1
	s_mov_b64 s[12:13], 0
                                        ; implicit-def: $vgpr2
	s_cbranch_execnz .LBB14_107
.LBB14_111:                             ;   in Loop: Header=BB14_103 Depth=1
	v_mov_b32_e32 v3, 0
	s_and_saveexec_b64 s[20:21], s[12:13]
	s_cbranch_execz .LBB14_102
.LBB14_112:                             ;   in Loop: Header=BB14_103 Depth=1
	v_ashrrev_i32_e32 v3, 31, v2
	v_lshl_add_u64 v[2:3], v[2:3], 2, s[24:25]
	global_load_dword v3, v[2:3], off
	s_branch .LBB14_102
.LBB14_113:
	s_or_b64 exec, exec, s[4:5]
	s_cmp_lt_i32 s48, 1
	s_waitcnt lgkmcnt(0)
	s_cbranch_scc1 .LBB14_133
; %bb.114:
	v_lshrrev_b32_e32 v10, 2, v1
	v_or_b32_e32 v5, v6, v0
	v_add_u32_e32 v11, 1, v10
	s_movk_i32 s8, 0x44
	v_mov_b32_e32 v2, 0x880
	v_cmp_ne_u32_e64 s[2:3], 0, v5
	v_mov_b32_e32 v5, 0xcc0
	v_cmp_lt_u32_e64 s[4:5], 11, v1
	v_and_b32_e32 v1, 0x7ffffffc, v11
	v_mad_u32_u24 v4, v0, s8, v2
	v_mul_u32_u24_e32 v3, 0x44, v0
	s_add_i32 s9, s16, s17
	s_movk_i32 s12, 0xcc0
	v_mad_u32_u24 v5, v0, s8, v5
	v_lshl_add_u32 v10, v1, 2, v6
	s_movk_i32 s26, 0x880
	s_mov_b32 s27, 0
	v_add_u32_e32 v9, v4, v8
	v_add_u32_e32 v8, v5, v8
	v_cmp_ne_u32_e64 s[6:7], v11, v1
	v_mul_u32_u24_e32 v11, 0x44, v6
	v_mad_u32_u24 v12, v6, s8, v2
	v_add3_u32 v13, v3, v7, s12
	s_mov_b32 s28, 0xf800000
	v_mov_b32_e32 v14, 0x260
	v_mov_b32_e32 v15, 0
	;; [unrolled: 1-line block ×3, first 2 shown]
	v_lshlrev_b32_e32 v16, 2, v10
	v_mul_lo_u32 v17, v10, s8
	s_branch .LBB14_116
.LBB14_115:                             ;   in Loop: Header=BB14_116 Depth=1
	s_or_b64 exec, exec, s[8:9]
	s_add_i32 s27, s27, 1
	s_add_i32 s26, s26, 4
	s_cmp_eq_u32 s27, s48
	v_add_u32_e32 v12, 4, v12
	s_waitcnt lgkmcnt(0)
	s_cbranch_scc1 .LBB14_133
.LBB14_116:                             ; =>This Loop Header: Depth=1
                                        ;     Child Loop BB14_126 Depth 2
                                        ;     Child Loop BB14_132 Depth 2
	v_cmp_eq_u32_e32 vcc, s27, v0
	s_and_saveexec_b64 s[12:13], vcc
	s_cbranch_execz .LBB14_118
; %bb.117:                              ;   in Loop: Header=BB14_116 Depth=1
	ds_read_b32 v2, v9
	ds_read_b32 v3, v8
	s_waitcnt lgkmcnt(0)
	v_sub_f32_e32 v2, v2, v3
	v_cmp_gt_f32_e32 vcc, 0, v2
	s_nop 1
	v_cndmask_b32_e64 v2, v2, -v2, vcc
	v_mul_f32_e32 v3, 0x4f800000, v2
	v_cmp_gt_f32_e32 vcc, s28, v2
	s_nop 1
	v_cndmask_b32_e32 v2, v2, v3, vcc
	v_sqrt_f32_e32 v3, v2
	s_nop 0
	v_add_u32_e32 v18, -1, v3
	v_add_u32_e32 v19, 1, v3
	v_fma_f32 v20, -v18, v3, v2
	v_fma_f32 v22, -v19, v3, v2
	v_cmp_ge_f32_e64 s[8:9], 0, v20
	s_nop 1
	v_cndmask_b32_e64 v3, v3, v18, s[8:9]
	v_cmp_lt_f32_e64 s[8:9], 0, v22
	s_nop 1
	v_cndmask_b32_e64 v3, v3, v19, s[8:9]
	v_mul_f32_e32 v18, 0x37800000, v3
	v_cndmask_b32_e32 v3, v3, v18, vcc
	v_cmp_class_f32_e32 vcc, v2, v14
	s_nop 1
	v_cndmask_b32_e32 v2, v3, v2, vcc
	ds_write_b32 v9, v2
.LBB14_118:                             ;   in Loop: Header=BB14_116 Depth=1
	s_or_b64 exec, exec, s[12:13]
	s_lshl_b32 s8, s27, 2
	s_mul_i32 s9, s27, 0x44
	s_add_i32 s9, s9, s8
	v_mov_b32_e32 v2, s9
	s_waitcnt lgkmcnt(0)
	ds_read_b32 v18, v2 offset:2176
	v_add_u32_e32 v3, s8, v4
	ds_read_b32 v2, v3
	s_waitcnt lgkmcnt(1)
	v_cmp_neq_f32_e32 vcc, 0, v18
	s_nop 1
	v_cndmask_b32_e32 v18, 1.0, v18, vcc
	s_nor_b64 s[12:13], vcc, s[2:3]
	s_and_saveexec_b64 s[8:9], s[12:13]
	s_cbranch_execz .LBB14_122
; %bb.119:                              ;   in Loop: Header=BB14_116 Depth=1
	v_mbcnt_lo_u32_b32 v18, exec_lo, 0
	v_mbcnt_hi_u32_b32 v18, exec_hi, v18
	v_cmp_eq_u32_e32 vcc, 0, v18
	s_and_saveexec_b64 s[12:13], vcc
	s_cbranch_execz .LBB14_121
; %bb.120:                              ;   in Loop: Header=BB14_116 Depth=1
	global_atomic_smin v15, v21, s[18:19]
.LBB14_121:                             ;   in Loop: Header=BB14_116 Depth=1
	s_or_b64 exec, exec, s[12:13]
	v_mov_b32_e32 v18, 1.0
.LBB14_122:                             ;   in Loop: Header=BB14_116 Depth=1
	s_or_b64 exec, exec, s[8:9]
	v_cmp_lt_u32_e32 vcc, s27, v0
	s_and_saveexec_b64 s[8:9], vcc
	s_cbranch_execz .LBB14_115
; %bb.123:                              ;   in Loop: Header=BB14_116 Depth=1
	v_lshl_add_u32 v19, s27, 2, v5
	ds_read_b32 v19, v19
	s_waitcnt lgkmcnt(0)
	v_sub_f32_e32 v2, v2, v19
	v_div_scale_f32 v19, s[12:13], v18, v18, v2
	v_rcp_f32_e32 v20, v19
	v_div_scale_f32 v22, vcc, v2, v18, v2
	v_fma_f32 v23, -v19, v20, 1.0
	v_fmac_f32_e32 v20, v23, v20
	v_mul_f32_e32 v23, v22, v20
	v_fma_f32 v24, -v19, v23, v22
	v_fmac_f32_e32 v23, v24, v20
	v_fma_f32 v19, -v19, v23, v22
	v_div_fmas_f32 v19, v19, v20, v23
	v_div_fixup_f32 v2, v19, v18, v2
	ds_write_b32 v3, v2
	s_waitcnt lgkmcnt(0)
	s_and_b64 exec, exec, s[0:1]
	s_cbranch_execz .LBB14_115
; %bb.124:                              ;   in Loop: Header=BB14_116 Depth=1
	s_mov_b64 s[20:21], -1
	v_mov_b32_e32 v3, v6
	v_mov_b32_e32 v18, v7
	v_mov_b32_e32 v19, v11
	s_and_saveexec_b64 s[12:13], s[4:5]
	s_cbranch_execz .LBB14_130
; %bb.125:                              ;   in Loop: Header=BB14_116 Depth=1
	v_mov_b32_e32 v3, v2
	s_mov_b64 s[20:21], 0
	v_mov_b32_e32 v18, v1
	v_mov_b32_e32 v19, v13
	;; [unrolled: 1-line block ×3, first 2 shown]
.LBB14_126:                             ;   Parent Loop BB14_116 Depth=1
                                        ; =>  This Inner Loop Header: Depth=2
	ds_read2_b32 v[22:23], v20 offset1:68
	ds_read2_b32 v[24:25], v20 offset0:136 offset1:204
	ds_read2_b32 v[26:27], v19 offset1:4
	ds_read2_b32 v[28:29], v19 offset0:8 offset1:12
	v_add_u32_e32 v18, -4, v18
	v_cmp_eq_u32_e32 vcc, 0, v18
	v_add_u32_e32 v20, 0x440, v20
	s_waitcnt lgkmcnt(1)
	v_pk_fma_f32 v[22:23], v[2:3], v[22:23], v[26:27]
	s_waitcnt lgkmcnt(0)
	v_pk_fma_f32 v[24:25], v[2:3], v[24:25], v[28:29]
	ds_write2_b32 v19, v22, v23 offset1:4
	ds_write2_b32 v19, v24, v25 offset0:8 offset1:12
	s_or_b64 s[20:21], vcc, s[20:21]
	v_add_u32_e32 v19, 64, v19
	s_andn2_b64 exec, exec, s[20:21]
	s_cbranch_execnz .LBB14_126
; %bb.127:                              ;   in Loop: Header=BB14_116 Depth=1
	s_or_b64 exec, exec, s[20:21]
	s_mov_b64 s[20:21], 0
	s_and_saveexec_b64 s[22:23], s[6:7]
; %bb.128:                              ;   in Loop: Header=BB14_116 Depth=1
	s_mov_b64 s[20:21], exec
; %bb.129:                              ;   in Loop: Header=BB14_116 Depth=1
	s_or_b64 exec, exec, s[22:23]
	s_orn2_b64 s[20:21], s[20:21], exec
	v_mov_b32_e32 v3, v10
	v_mov_b32_e32 v18, v16
	v_mov_b32_e32 v19, v17
.LBB14_130:                             ;   in Loop: Header=BB14_116 Depth=1
	s_or_b64 exec, exec, s[12:13]
	s_and_b64 exec, exec, s[20:21]
	s_cbranch_execz .LBB14_115
; %bb.131:                              ;   in Loop: Header=BB14_116 Depth=1
	v_add_u32_e32 v18, v5, v18
	v_add_u32_e32 v19, s26, v19
	s_mov_b64 s[12:13], 0
.LBB14_132:                             ;   Parent Loop BB14_116 Depth=1
                                        ; =>  This Inner Loop Header: Depth=2
	ds_read_b32 v20, v19
	ds_read_b32 v22, v18
	v_add_u32_e32 v3, 4, v3
	v_cmp_le_i32_e32 vcc, s48, v3
	s_or_b64 s[12:13], vcc, s[12:13]
	v_add_u32_e32 v19, 0x110, v19
	s_waitcnt lgkmcnt(0)
	v_fmac_f32_e32 v22, v2, v20
	ds_write_b32 v18, v22
	v_add_u32_e32 v18, 16, v18
	s_andn2_b64 exec, exec, s[12:13]
	s_cbranch_execnz .LBB14_132
	s_branch .LBB14_115
.LBB14_133:
	s_and_saveexec_b64 s[2:3], s[0:1]
	s_cbranch_execz .LBB14_142
; %bb.134:
	s_mul_i32 s33, s33, s48
	s_cmp_lg_u32 s49, 0
	v_add_u32_e32 v1, s33, v0
	v_mul_u32_u24_e32 v2, 0x44, v0
	s_movk_i32 s6, 0x880
	v_cmp_gt_i32_e64 s[0:1], s48, v0
	s_cselect_b64 s[4:5], -1, 0
	v_mul_lo_u32 v1, v1, s48
	v_add3_u32 v4, v2, v7, s6
	s_mov_b64 s[6:7], 0
	v_mov_b32_e32 v5, v6
	s_branch .LBB14_138
.LBB14_135:                             ;   in Loop: Header=BB14_138 Depth=1
	v_add_u32_e32 v2, v1, v5
.LBB14_136:                             ;   in Loop: Header=BB14_138 Depth=1
	v_ashrrev_i32_e32 v3, 31, v2
	v_lshl_add_u64 v[2:3], v[2:3], 2, s[24:25]
	s_waitcnt lgkmcnt(0)
	global_store_dword v[2:3], v7, off
.LBB14_137:                             ;   in Loop: Header=BB14_138 Depth=1
	s_or_b64 exec, exec, s[8:9]
	v_add_u32_e32 v5, 4, v5
	v_cmp_le_i32_e32 vcc, s48, v5
	s_or_b64 s[6:7], vcc, s[6:7]
	v_add_u32_e32 v4, 16, v4
	s_andn2_b64 exec, exec, s[6:7]
	s_cbranch_execz .LBB14_142
.LBB14_138:                             ; =>This Inner Loop Header: Depth=1
	s_and_saveexec_b64 s[8:9], s[0:1]
	s_cbranch_execz .LBB14_137
; %bb.139:                              ;   in Loop: Header=BB14_138 Depth=1
	ds_read_b32 v7, v4
	s_and_b64 vcc, exec, s[4:5]
	s_cbranch_vccz .LBB14_141
; %bb.140:                              ;   in Loop: Header=BB14_138 Depth=1
	v_add_u32_e32 v2, s33, v5
	v_mad_u64_u32 v[2:3], s[12:13], v2, s48, v[0:1]
	s_cbranch_execnz .LBB14_136
	s_branch .LBB14_135
.LBB14_141:                             ;   in Loop: Header=BB14_138 Depth=1
                                        ; implicit-def: $vgpr2
	s_branch .LBB14_135
.LBB14_142:
	s_or_b64 exec, exec, s[2:3]
	v_or_b32_e32 v1, v6, v0
	v_cmp_eq_u32_e32 vcc, 0, v1
	s_and_saveexec_b64 s[0:1], vcc
	s_cbranch_execz .LBB14_144
; %bb.143:
	s_add_u32 s2, s14, s10
	s_addc_u32 s3, s15, s11
	v_mov_b32_e32 v1, 0
	v_mov_b32_e32 v2, 1
	buffer_wbl2 sc1
	s_waitcnt vmcnt(0)
	global_store_dword v1, v2, s[2:3] sc1
.LBB14_144:
	s_or_b64 exec, exec, s[0:1]
.LBB14_145:
	s_endpgm
.LBB14_146:
	s_cbranch_execz .LBB14_145
; %bb.147:
	v_or_b32_e32 v0, v6, v0
	v_cmp_eq_u32_e32 vcc, 0, v0
	s_and_saveexec_b64 s[0:1], vcc
	s_cbranch_execz .LBB14_145
; %bb.148:
	v_mbcnt_lo_u32_b32 v0, exec_lo, 0
	v_mbcnt_hi_u32_b32 v0, exec_hi, v0
	v_cmp_eq_u32_e32 vcc, 0, v0
	s_and_saveexec_b64 s[0:1], vcc
	s_cbranch_execz .LBB14_150
; %bb.149:
	s_add_i32 s2, s16, s17
	v_mov_b32_e32 v0, 0
	v_mov_b32_e32 v1, s2
	global_atomic_smin v0, v1, s[18:19]
.LBB14_150:
	s_or_b64 exec, exec, s[0:1]
	s_add_u32 s0, s14, s10
	s_addc_u32 s1, s15, s11
	v_mov_b32_e32 v0, 0
	v_mov_b32_e32 v1, 1
	buffer_wbl2 sc1
	s_waitcnt vmcnt(0)
	global_store_dword v0, v1, s[0:1] sc1
	s_endpgm
	.section	.rodata,"a",@progbits
	.p2align	6, 0x0
	.amdhsa_kernel _ZN9rocsparseL18bsric0_9_16_kernelILi64ELi64ELi16EfEEv20rocsparse_direction_iiPKiS3_PT2_S3_PiS3_S6_21rocsparse_index_base_
		.amdhsa_group_segment_fixed_size 5120
		.amdhsa_private_segment_fixed_size 0
		.amdhsa_kernarg_size 76
		.amdhsa_user_sgpr_count 2
		.amdhsa_user_sgpr_dispatch_ptr 0
		.amdhsa_user_sgpr_queue_ptr 0
		.amdhsa_user_sgpr_kernarg_segment_ptr 1
		.amdhsa_user_sgpr_dispatch_id 0
		.amdhsa_user_sgpr_kernarg_preload_length 0
		.amdhsa_user_sgpr_kernarg_preload_offset 0
		.amdhsa_user_sgpr_private_segment_size 0
		.amdhsa_uses_dynamic_stack 0
		.amdhsa_enable_private_segment 0
		.amdhsa_system_sgpr_workgroup_id_x 1
		.amdhsa_system_sgpr_workgroup_id_y 0
		.amdhsa_system_sgpr_workgroup_id_z 0
		.amdhsa_system_sgpr_workgroup_info 0
		.amdhsa_system_vgpr_workitem_id 1
		.amdhsa_next_free_vgpr 36
		.amdhsa_next_free_sgpr 58
		.amdhsa_accum_offset 36
		.amdhsa_reserve_vcc 1
		.amdhsa_float_round_mode_32 0
		.amdhsa_float_round_mode_16_64 0
		.amdhsa_float_denorm_mode_32 3
		.amdhsa_float_denorm_mode_16_64 3
		.amdhsa_dx10_clamp 1
		.amdhsa_ieee_mode 1
		.amdhsa_fp16_overflow 0
		.amdhsa_tg_split 0
		.amdhsa_exception_fp_ieee_invalid_op 0
		.amdhsa_exception_fp_denorm_src 0
		.amdhsa_exception_fp_ieee_div_zero 0
		.amdhsa_exception_fp_ieee_overflow 0
		.amdhsa_exception_fp_ieee_underflow 0
		.amdhsa_exception_fp_ieee_inexact 0
		.amdhsa_exception_int_div_zero 0
	.end_amdhsa_kernel
	.section	.text._ZN9rocsparseL18bsric0_9_16_kernelILi64ELi64ELi16EfEEv20rocsparse_direction_iiPKiS3_PT2_S3_PiS3_S6_21rocsparse_index_base_,"axG",@progbits,_ZN9rocsparseL18bsric0_9_16_kernelILi64ELi64ELi16EfEEv20rocsparse_direction_iiPKiS3_PT2_S3_PiS3_S6_21rocsparse_index_base_,comdat
.Lfunc_end14:
	.size	_ZN9rocsparseL18bsric0_9_16_kernelILi64ELi64ELi16EfEEv20rocsparse_direction_iiPKiS3_PT2_S3_PiS3_S6_21rocsparse_index_base_, .Lfunc_end14-_ZN9rocsparseL18bsric0_9_16_kernelILi64ELi64ELi16EfEEv20rocsparse_direction_iiPKiS3_PT2_S3_PiS3_S6_21rocsparse_index_base_
                                        ; -- End function
	.set _ZN9rocsparseL18bsric0_9_16_kernelILi64ELi64ELi16EfEEv20rocsparse_direction_iiPKiS3_PT2_S3_PiS3_S6_21rocsparse_index_base_.num_vgpr, 36
	.set _ZN9rocsparseL18bsric0_9_16_kernelILi64ELi64ELi16EfEEv20rocsparse_direction_iiPKiS3_PT2_S3_PiS3_S6_21rocsparse_index_base_.num_agpr, 0
	.set _ZN9rocsparseL18bsric0_9_16_kernelILi64ELi64ELi16EfEEv20rocsparse_direction_iiPKiS3_PT2_S3_PiS3_S6_21rocsparse_index_base_.numbered_sgpr, 58
	.set _ZN9rocsparseL18bsric0_9_16_kernelILi64ELi64ELi16EfEEv20rocsparse_direction_iiPKiS3_PT2_S3_PiS3_S6_21rocsparse_index_base_.num_named_barrier, 0
	.set _ZN9rocsparseL18bsric0_9_16_kernelILi64ELi64ELi16EfEEv20rocsparse_direction_iiPKiS3_PT2_S3_PiS3_S6_21rocsparse_index_base_.private_seg_size, 0
	.set _ZN9rocsparseL18bsric0_9_16_kernelILi64ELi64ELi16EfEEv20rocsparse_direction_iiPKiS3_PT2_S3_PiS3_S6_21rocsparse_index_base_.uses_vcc, 1
	.set _ZN9rocsparseL18bsric0_9_16_kernelILi64ELi64ELi16EfEEv20rocsparse_direction_iiPKiS3_PT2_S3_PiS3_S6_21rocsparse_index_base_.uses_flat_scratch, 0
	.set _ZN9rocsparseL18bsric0_9_16_kernelILi64ELi64ELi16EfEEv20rocsparse_direction_iiPKiS3_PT2_S3_PiS3_S6_21rocsparse_index_base_.has_dyn_sized_stack, 0
	.set _ZN9rocsparseL18bsric0_9_16_kernelILi64ELi64ELi16EfEEv20rocsparse_direction_iiPKiS3_PT2_S3_PiS3_S6_21rocsparse_index_base_.has_recursion, 0
	.set _ZN9rocsparseL18bsric0_9_16_kernelILi64ELi64ELi16EfEEv20rocsparse_direction_iiPKiS3_PT2_S3_PiS3_S6_21rocsparse_index_base_.has_indirect_call, 0
	.section	.AMDGPU.csdata,"",@progbits
; Kernel info:
; codeLenInByte = 4260
; TotalNumSgprs: 64
; NumVgprs: 36
; NumAgprs: 0
; TotalNumVgprs: 36
; ScratchSize: 0
; MemoryBound: 0
; FloatMode: 240
; IeeeMode: 1
; LDSByteSize: 5120 bytes/workgroup (compile time only)
; SGPRBlocks: 7
; VGPRBlocks: 4
; NumSGPRsForWavesPerEU: 64
; NumVGPRsForWavesPerEU: 36
; AccumOffset: 36
; Occupancy: 8
; WaveLimiterHint : 1
; COMPUTE_PGM_RSRC2:SCRATCH_EN: 0
; COMPUTE_PGM_RSRC2:USER_SGPR: 2
; COMPUTE_PGM_RSRC2:TRAP_HANDLER: 0
; COMPUTE_PGM_RSRC2:TGID_X_EN: 1
; COMPUTE_PGM_RSRC2:TGID_Y_EN: 0
; COMPUTE_PGM_RSRC2:TGID_Z_EN: 0
; COMPUTE_PGM_RSRC2:TIDIG_COMP_CNT: 1
; COMPUTE_PGM_RSRC3_GFX90A:ACCUM_OFFSET: 8
; COMPUTE_PGM_RSRC3_GFX90A:TG_SPLIT: 0
	.section	.text._ZN9rocsparseL19bsric0_17_32_kernelILi64ELi64ELi32EfEEv20rocsparse_direction_iiPKiS3_PT2_S3_PiS3_S6_21rocsparse_index_base_,"axG",@progbits,_ZN9rocsparseL19bsric0_17_32_kernelILi64ELi64ELi32EfEEv20rocsparse_direction_iiPKiS3_PT2_S3_PiS3_S6_21rocsparse_index_base_,comdat
	.globl	_ZN9rocsparseL19bsric0_17_32_kernelILi64ELi64ELi32EfEEv20rocsparse_direction_iiPKiS3_PT2_S3_PiS3_S6_21rocsparse_index_base_ ; -- Begin function _ZN9rocsparseL19bsric0_17_32_kernelILi64ELi64ELi32EfEEv20rocsparse_direction_iiPKiS3_PT2_S3_PiS3_S6_21rocsparse_index_base_
	.p2align	8
	.type	_ZN9rocsparseL19bsric0_17_32_kernelILi64ELi64ELi32EfEEv20rocsparse_direction_iiPKiS3_PT2_S3_PiS3_S6_21rocsparse_index_base_,@function
_ZN9rocsparseL19bsric0_17_32_kernelILi64ELi64ELi32EfEEv20rocsparse_direction_iiPKiS3_PT2_S3_PiS3_S6_21rocsparse_index_base_: ; @_ZN9rocsparseL19bsric0_17_32_kernelILi64ELi64ELi32EfEEv20rocsparse_direction_iiPKiS3_PT2_S3_PiS3_S6_21rocsparse_index_base_
; %bb.0:
	s_load_dwordx8 s[12:19], s[0:1], 0x28
	s_mov_b32 s3, 0
	s_lshl_b64 s[2:3], s[2:3], 2
	v_and_b32_e32 v1, 0x3ff, v0
	v_bfe_u32 v0, v0, 10, 10
	s_waitcnt lgkmcnt(0)
	s_add_u32 s2, s16, s2
	s_addc_u32 s3, s17, s3
	s_load_dword s16, s[2:3], 0x0
	s_waitcnt lgkmcnt(0)
	s_ashr_i32 s17, s16, 31
	s_lshl_b64 s[10:11], s[16:17], 2
	s_add_u32 s2, s12, s10
	s_addc_u32 s3, s13, s11
	s_load_dword s33, s[2:3], 0x0
	s_load_dword s17, s[0:1], 0x48
	s_waitcnt lgkmcnt(0)
	s_cmp_lg_u32 s33, -1
	s_cbranch_scc0 .LBB15_132
; %bb.1:
	s_load_dwordx4 s[20:23], s[0:1], 0x10
	s_load_dwordx2 s[24:25], s[0:1], 0x20
	v_lshlrev_b32_e32 v2, 1, v0
	v_lshlrev_b32_e32 v6, 2, v1
	s_waitcnt lgkmcnt(0)
	s_add_u32 s2, s20, s10
	s_addc_u32 s3, s21, s11
	s_load_dword s2, s[2:3], 0x0
	s_waitcnt lgkmcnt(0)
	s_sub_i32 s52, s2, s17
	v_add3_u32 v2, v2, v1, s52
	v_cmp_ge_i32_e32 vcc, s33, v2
	s_and_saveexec_b64 s[2:3], vcc
	s_cbranch_execz .LBB15_4
; %bb.2:
	v_lshlrev_b32_e32 v3, 3, v0
	v_lshlrev_b32_e32 v4, 2, v1
	s_movk_i32 s4, 0x3380
	v_add3_u32 v4, v3, v4, s4
	s_mov_b64 s[4:5], 0
.LBB15_3:                               ; =>This Inner Loop Header: Depth=1
	v_ashrrev_i32_e32 v3, 31, v2
	v_lshl_add_u64 v[8:9], v[2:3], 2, s[22:23]
	global_load_dword v3, v[8:9], off
	v_add_u32_e32 v2, 64, v2
	v_cmp_lt_i32_e32 vcc, s33, v2
	s_or_b64 s[4:5], vcc, s[4:5]
	s_waitcnt vmcnt(0)
	v_subrev_u32_e32 v3, s17, v3
	ds_write_b32 v4, v3
	v_add_u32_e32 v4, 0x100, v4
	s_andn2_b64 exec, exec, s[4:5]
	s_cbranch_execnz .LBB15_3
.LBB15_4:
	s_or_b64 exec, exec, s[2:3]
	v_cmp_gt_u32_e32 vcc, 32, v1
	s_and_saveexec_b64 s[2:3], vcc
	s_cbranch_execz .LBB15_7
; %bb.5:
	v_mul_u32_u24_e32 v3, 0x84, v0
	v_lshlrev_b32_e32 v4, 2, v1
	s_movk_i32 s4, 0x2100
	v_add_u32_e32 v2, -2, v1
	v_add3_u32 v3, v3, v4, s4
	s_mov_b64 s[4:5], 0
	v_mov_b32_e32 v4, 0
.LBB15_6:                               ; =>This Inner Loop Header: Depth=1
	v_add_u32_e32 v2, 2, v2
	v_cmp_lt_u32_e32 vcc, 29, v2
	ds_write_b32 v3, v4
	s_or_b64 s[4:5], vcc, s[4:5]
	v_add_u32_e32 v3, 8, v3
	s_andn2_b64 exec, exec, s[4:5]
	s_cbranch_execnz .LBB15_6
.LBB15_7:
	s_or_b64 exec, exec, s[2:3]
	s_load_dword s50, s[0:1], 0x8
	s_load_dword s51, s[0:1], 0x0
	s_cmp_ge_i32 s52, s33
	s_waitcnt lgkmcnt(0)
	v_cmp_gt_i32_e64 s[0:1], s50, v1
	v_xad_u32 v7, v1, -1, s50
	s_cbranch_scc1 .LBB15_86
; %bb.8:
	v_or_b32_e32 v3, v1, v0
	v_cmp_ne_u32_e64 s[4:5], 0, v3
	v_lshrrev_b32_e32 v3, 1, v7
	s_cmp_eq_u32 s51, 0
	v_add_u32_e32 v3, 1, v3
	s_cselect_b64 s[26:27], -1, 0
	s_cmp_lg_u32 s51, 0
	s_movk_i32 s34, 0x84
	v_mov_b32_e32 v2, 0x1080
	v_and_b32_e32 v11, -4, v3
	v_lshlrev_b32_e32 v13, 2, v1
	s_mul_i32 s35, s50, s52
	s_cselect_b64 s[28:29], -1, 0
	v_mad_u32_u24 v9, v0, s34, v2
	s_cmp_gt_i32 s50, 0
	v_lshl_add_u32 v12, v11, 1, v1
	v_cmp_ne_u32_e64 s[8:9], v3, v11
	v_mad_u32_u24 v14, v0, s34, v13
	v_add_u32_e32 v3, s35, v0
	v_mad_u32_u24 v18, v1, s34, v2
	v_mov_b32_e32 v2, 0x2100
	s_mul_i32 s53, s50, s50
	v_cmp_gt_i32_e64 s[2:3], s50, v0
	v_mul_u32_u24_e32 v8, 0x84, v0
	v_mul_lo_u32 v10, s50, v0
	s_cselect_b64 s[30:31], -1, 0
	v_cmp_lt_u32_e64 s[6:7], 5, v7
	v_mul_lo_u32 v16, s50, v3
	v_mul_lo_u32 v15, v1, s50
	s_lshl_b32 s54, s50, 1
	v_mul_u32_u24_e32 v17, 0x84, v1
	v_add_u32_e32 v19, 0x2100, v14
	v_mad_u32_u24 v20, v0, s34, v2
	v_add_u32_e32 v21, 0x1080, v14
	v_mov_b32_e32 v22, 0
	v_lshlrev_b32_e32 v23, 2, v12
	v_mul_lo_u32 v24, v12, s34
	s_mov_b32 s34, s52
	s_branch .LBB15_10
.LBB15_9:                               ;   in Loop: Header=BB15_10 Depth=1
	s_or_b64 exec, exec, s[36:37]
	s_add_i32 s34, s34, 1
	s_cmp_ge_i32 s34, s33
	buffer_wbl2 sc1
	s_waitcnt vmcnt(0)
	buffer_inv sc1
	v_add_u32_e32 v16, s53, v16
	s_cselect_b64 s[36:37], -1, 0
	s_and_b64 vcc, exec, s[36:37]
	s_cbranch_vccnz .LBB15_86
.LBB15_10:                              ; =>This Loop Header: Depth=1
                                        ;     Child Loop BB15_14 Depth 2
                                        ;     Child Loop BB15_26 Depth 2
	;; [unrolled: 1-line block ×4, first 2 shown]
                                        ;       Child Loop BB15_43 Depth 3
                                        ;         Child Loop BB15_48 Depth 4
                                        ;     Child Loop BB15_57 Depth 2
                                        ;       Child Loop BB15_64 Depth 3
                                        ;       Child Loop BB15_69 Depth 3
                                        ;       Child Loop BB15_75 Depth 3
                                        ;     Child Loop BB15_80 Depth 2
	s_ashr_i32 s35, s34, 31
	s_lshl_b64 s[36:37], s[34:35], 2
	s_add_u32 s36, s22, s36
	s_addc_u32 s37, s23, s37
	s_load_dword s55, s[36:37], 0x0
	s_waitcnt lgkmcnt(0)
	s_sub_i32 s38, s55, s17
	s_ashr_i32 s39, s38, 31
	s_lshl_b64 s[36:37], s[38:39], 2
	s_add_u32 s40, s12, s36
	s_addc_u32 s41, s13, s37
	s_load_dword s56, s[40:41], 0x0
	s_waitcnt lgkmcnt(0)
	s_cmp_eq_u32 s56, -1
	s_cbranch_scc1 .LBB15_85
; %bb.11:                               ;   in Loop: Header=BB15_10 Depth=1
	s_add_u32 s40, s20, s36
	s_addc_u32 s41, s21, s37
	s_load_dword s39, s[40:41], 0x0
	s_mul_i32 s35, s34, s50
	s_and_saveexec_b64 s[40:41], s[0:1]
	s_cbranch_execz .LBB15_24
; %bb.12:                               ;   in Loop: Header=BB15_10 Depth=1
	s_mov_b64 s[42:43], 0
	v_mov_b32_e32 v4, v14
	v_mov_b32_e32 v5, v1
	s_branch .LBB15_14
.LBB15_13:                              ;   in Loop: Header=BB15_14 Depth=2
	s_or_b64 exec, exec, s[46:47]
	v_add_u32_e32 v5, 2, v5
	v_cmp_le_i32_e32 vcc, s50, v5
	s_waitcnt vmcnt(0)
	ds_write_b32 v4, v3 offset:4224
	ds_write_b32 v4, v22
	s_or_b64 s[42:43], vcc, s[42:43]
	v_add_u32_e32 v4, 8, v4
	s_andn2_b64 exec, exec, s[42:43]
	s_cbranch_execz .LBB15_24
.LBB15_14:                              ;   Parent Loop BB15_10 Depth=1
                                        ; =>  This Inner Loop Header: Depth=2
	s_mov_b64 s[46:47], -1
	s_and_b64 vcc, exec, s[28:29]
	s_mov_b64 s[44:45], 0
                                        ; implicit-def: $vgpr2
	s_cbranch_vccz .LBB15_19
; %bb.15:                               ;   in Loop: Header=BB15_14 Depth=2
	s_mov_b64 s[46:47], 0
                                        ; implicit-def: $vgpr2
	s_and_saveexec_b64 s[48:49], s[2:3]
	s_xor_b64 s[48:49], exec, s[48:49]
; %bb.16:                               ;   in Loop: Header=BB15_14 Depth=2
	v_add_u32_e32 v2, s35, v5
	s_mov_b64 s[44:45], exec
	v_mad_u64_u32 v[2:3], s[58:59], v2, s50, v[0:1]
; %bb.17:                               ;   in Loop: Header=BB15_14 Depth=2
	s_or_b64 exec, exec, s[48:49]
	s_and_b64 vcc, exec, s[46:47]
	s_cbranch_vccnz .LBB15_20
.LBB15_18:                              ;   in Loop: Header=BB15_14 Depth=2
	v_mov_b32_e32 v3, 0
	s_and_saveexec_b64 s[46:47], s[44:45]
	s_cbranch_execz .LBB15_13
	s_branch .LBB15_23
.LBB15_19:                              ;   in Loop: Header=BB15_14 Depth=2
	s_and_b64 vcc, exec, s[46:47]
	s_cbranch_vccz .LBB15_18
.LBB15_20:                              ;   in Loop: Header=BB15_14 Depth=2
                                        ; implicit-def: $vgpr2
	s_and_saveexec_b64 s[46:47], s[2:3]
; %bb.21:                               ;   in Loop: Header=BB15_14 Depth=2
	v_add_u32_e32 v2, v16, v5
	s_or_b64 s[44:45], s[44:45], exec
; %bb.22:                               ;   in Loop: Header=BB15_14 Depth=2
	s_or_b64 exec, exec, s[46:47]
	v_mov_b32_e32 v3, 0
	s_and_saveexec_b64 s[46:47], s[44:45]
	s_cbranch_execz .LBB15_13
.LBB15_23:                              ;   in Loop: Header=BB15_14 Depth=2
	v_ashrrev_i32_e32 v3, 31, v2
	v_lshl_add_u64 v[2:3], v[2:3], 2, s[24:25]
	global_load_dword v3, v[2:3], off
	s_branch .LBB15_13
.LBB15_24:                              ;   in Loop: Header=BB15_10 Depth=1
	s_or_b64 exec, exec, s[40:41]
	ds_read_b32 v2, v22 offset:13184
	s_waitcnt lgkmcnt(0)
	s_sub_i32 s40, s39, s17
	s_cmp_le_i32 s40, s56
	s_cselect_b64 s[42:43], -1, 0
	s_mov_b32 s41, 0
	v_cmp_ge_i32_e32 vcc, s38, v2
	s_and_b64 s[42:43], s[42:43], vcc
	s_andn2_b64 vcc, exec, s[42:43]
	s_cbranch_vccnz .LBB15_36
; %bb.25:                               ;   in Loop: Header=BB15_10 Depth=1
	s_mov_b32 s39, 0
	s_mov_b32 s44, 0
.LBB15_26:                              ;   Parent Loop BB15_10 Depth=1
                                        ; =>  This Inner Loop Header: Depth=2
	s_ashr_i32 s41, s40, 31
	s_lshl_b64 s[42:43], s[40:41], 2
	s_add_u32 s42, s22, s42
	s_addc_u32 s43, s23, s43
	s_load_dword s41, s[42:43], 0x0
	s_lshl_b32 s42, s44, 2
	v_mov_b32_e32 v2, s42
	ds_read_b32 v2, v2 offset:13184
	s_mov_b64 s[42:43], -1
	s_waitcnt lgkmcnt(0)
	s_sub_i32 s48, s41, s17
                                        ; implicit-def: $sgpr41
                                        ; implicit-def: $sgpr47
                                        ; implicit-def: $sgpr46
	v_cmp_ge_i32_e32 vcc, s48, v2
	v_readfirstlane_b32 s45, v2
	s_cbranch_vccz .LBB15_32
; %bb.27:                               ;   in Loop: Header=BB15_26 Depth=2
	s_cmp_le_i32 s48, s45
                                        ; implicit-def: $sgpr41
                                        ; implicit-def: $sgpr47
                                        ; implicit-def: $sgpr46
	s_cbranch_scc0 .LBB15_29
; %bb.28:                               ;   in Loop: Header=BB15_26 Depth=2
	s_add_i32 s41, s44, s52
	s_mul_i32 s41, s41, s53
	s_lshl_b32 s42, s39, 2
	v_mov_b32_e32 v2, s42
	v_mov_b32_e32 v3, s41
	s_mul_i32 s41, s40, s53
	v_mov_b32_e32 v4, s41
	v_add_u32_e32 v2, 0x80, v2
	ds_write2st64_b32 v2, v4, v3 offset0:49 offset1:50
	s_add_i32 s46, s44, 1
	s_add_i32 s47, s40, 1
	;; [unrolled: 1-line block ×3, first 2 shown]
	s_mov_b64 s[42:43], 0
.LBB15_29:                              ;   in Loop: Header=BB15_26 Depth=2
	s_andn2_b64 vcc, exec, s[42:43]
	s_cbranch_vccnz .LBB15_31
; %bb.30:                               ;   in Loop: Header=BB15_26 Depth=2
	s_add_i32 s46, s44, 1
	s_mov_b32 s41, s39
	s_mov_b32 s47, s40
.LBB15_31:                              ;   in Loop: Header=BB15_26 Depth=2
	s_mov_b64 s[42:43], 0
.LBB15_32:                              ;   in Loop: Header=BB15_26 Depth=2
	s_andn2_b64 vcc, exec, s[42:43]
	s_cbranch_vccnz .LBB15_34
; %bb.33:                               ;   in Loop: Header=BB15_26 Depth=2
	s_add_i32 s47, s40, 1
	s_mov_b32 s46, s44
	s_mov_b32 s41, s39
.LBB15_34:                              ;   in Loop: Header=BB15_26 Depth=2
	s_cmp_le_i32 s47, s56
	s_cselect_b64 s[42:43], -1, 0
	s_cmp_le_i32 s45, s38
	s_cselect_b64 s[44:45], -1, 0
	s_and_b64 s[42:43], s[42:43], s[44:45]
	s_and_b64 vcc, exec, s[42:43]
	s_cbranch_vccz .LBB15_36
; %bb.35:                               ;   in Loop: Header=BB15_26 Depth=2
	s_mov_b32 s39, s41
	s_mov_b32 s40, s47
	;; [unrolled: 1-line block ×3, first 2 shown]
	s_branch .LBB15_26
.LBB15_36:                              ;   in Loop: Header=BB15_10 Depth=1
	s_add_u32 s36, s14, s36
	s_addc_u32 s37, s15, s37
	s_waitcnt lgkmcnt(0)
.LBB15_37:                              ;   Parent Loop BB15_10 Depth=1
                                        ; =>  This Inner Loop Header: Depth=2
	global_load_dword v2, v22, s[36:37] sc1
	s_waitcnt vmcnt(0)
	v_cmp_eq_u32_e32 vcc, 0, v2
	s_cbranch_vccnz .LBB15_37
; %bb.38:                               ;   in Loop: Header=BB15_10 Depth=1
	s_cmp_lt_i32 s41, 2
	buffer_inv sc1
	s_cbranch_scc1 .LBB15_54
; %bb.39:                               ;   in Loop: Header=BB15_10 Depth=1
	s_add_i32 s42, s41, -2
	s_mov_b32 s43, 0
	s_branch .LBB15_41
.LBB15_40:                              ;   in Loop: Header=BB15_41 Depth=2
	s_or_b64 exec, exec, s[36:37]
	s_add_i32 s36, s43, 1
	s_cmp_eq_u32 s43, s42
	s_mov_b32 s43, s36
	s_cbranch_scc1 .LBB15_54
.LBB15_41:                              ;   Parent Loop BB15_10 Depth=1
                                        ; =>  This Loop Header: Depth=2
                                        ;       Child Loop BB15_43 Depth 3
                                        ;         Child Loop BB15_48 Depth 4
	s_and_saveexec_b64 s[36:37], s[0:1]
	s_cbranch_execz .LBB15_40
; %bb.42:                               ;   in Loop: Header=BB15_41 Depth=2
	s_lshl_b32 s38, s43, 2
	v_mov_b32_e32 v2, s38
	v_add_u32_e32 v2, 0x80, v2
	ds_read2st64_b32 v[2:3], v2 offset0:49 offset1:50
	s_mov_b64 s[38:39], 0
	v_mov_b32_e32 v29, v1
	s_waitcnt lgkmcnt(0)
	v_add_u32_e32 v25, v3, v10
	v_add_u32_e32 v26, v0, v3
	;; [unrolled: 1-line block ×4, first 2 shown]
.LBB15_43:                              ;   Parent Loop BB15_10 Depth=1
                                        ;     Parent Loop BB15_41 Depth=2
                                        ; =>    This Loop Header: Depth=3
                                        ;         Child Loop BB15_48 Depth 4
	v_mov_b32_e32 v30, 0
	s_mov_b32 s44, 0
	v_mov_b32_e32 v2, v27
	v_mov_b32_e32 v4, v26
	s_mov_b64 s[40:41], -1
	s_and_b64 vcc, exec, s[28:29]
                                        ; implicit-def: $vgpr3
	s_cbranch_vccz .LBB15_48
	s_branch .LBB15_45
.LBB15_44:                              ;   in Loop: Header=BB15_48 Depth=4
	v_mov_b32_e32 v30, v3
	s_mov_b64 s[40:41], -1
	s_and_b64 vcc, exec, s[28:29]
                                        ; implicit-def: $vgpr3
	s_cbranch_vccz .LBB15_48
.LBB15_45:                              ;   in Loop: Header=BB15_43 Depth=3
	v_ashrrev_i32_e32 v3, 31, v2
	v_lshl_add_u64 v[32:33], v[2:3], 2, s[24:25]
	global_load_dword v3, v[32:33], off
	v_mov_b32_e32 v5, 0
	s_and_saveexec_b64 s[40:41], s[2:3]
	s_cbranch_execz .LBB15_47
; %bb.46:                               ;   in Loop: Header=BB15_43 Depth=3
	v_ashrrev_i32_e32 v5, 31, v4
	v_lshl_add_u64 v[32:33], v[4:5], 2, s[24:25]
	global_load_dword v5, v[32:33], off
.LBB15_47:                              ;   in Loop: Header=BB15_43 Depth=3
	s_or_b64 exec, exec, s[40:41]
	s_waitcnt vmcnt(0)
	v_fma_f32 v3, v3, v5, v30
	s_mov_b64 s[40:41], 0
.LBB15_48:                              ;   Parent Loop BB15_10 Depth=1
                                        ;     Parent Loop BB15_41 Depth=2
                                        ;       Parent Loop BB15_43 Depth=3
                                        ; =>      This Inner Loop Header: Depth=4
	s_and_b64 vcc, exec, s[40:41]
	s_cbranch_vccz .LBB15_52
; %bb.49:                               ;   in Loop: Header=BB15_48 Depth=4
	v_add_u32_e32 v32, s44, v28
	v_ashrrev_i32_e32 v33, 31, v32
	v_lshl_add_u64 v[32:33], v[32:33], 2, s[24:25]
	global_load_dword v3, v[32:33], off
	v_mov_b32_e32 v5, 0
	s_and_saveexec_b64 s[40:41], s[2:3]
	s_cbranch_execz .LBB15_51
; %bb.50:                               ;   in Loop: Header=BB15_48 Depth=4
	v_add_u32_e32 v32, s44, v25
	v_ashrrev_i32_e32 v33, 31, v32
	v_lshl_add_u64 v[32:33], v[32:33], 2, s[24:25]
	global_load_dword v5, v[32:33], off
.LBB15_51:                              ;   in Loop: Header=BB15_48 Depth=4
	s_or_b64 exec, exec, s[40:41]
	s_waitcnt vmcnt(0)
	v_fmac_f32_e32 v30, v3, v5
	v_mov_b32_e32 v3, v30
.LBB15_52:                              ;   in Loop: Header=BB15_48 Depth=4
	s_add_i32 s44, s44, 1
	v_add_u32_e32 v4, s50, v4
	s_cmp_eq_u32 s50, s44
	v_add_u32_e32 v2, s50, v2
	s_cbranch_scc0 .LBB15_44
; %bb.53:                               ;   in Loop: Header=BB15_43 Depth=3
	v_lshl_add_u32 v2, v29, 2, v8
	ds_read_b32 v4, v2
	v_add_u32_e32 v29, 2, v29
	v_cmp_le_i32_e32 vcc, s50, v29
	v_add_u32_e32 v27, 2, v27
	s_or_b64 s[38:39], vcc, s[38:39]
	s_waitcnt lgkmcnt(0)
	v_add_f32_e32 v3, v3, v4
	v_add_u32_e32 v28, s54, v28
	ds_write_b32 v2, v3
	s_andn2_b64 exec, exec, s[38:39]
	s_cbranch_execnz .LBB15_43
	s_branch .LBB15_40
.LBB15_54:                              ;   in Loop: Header=BB15_10 Depth=1
	s_andn2_b64 vcc, exec, s[30:31]
	s_waitcnt lgkmcnt(0)
	s_cbranch_vccnz .LBB15_76
; %bb.55:                               ;   in Loop: Header=BB15_10 Depth=1
	s_mul_i32 s44, s53, s56
	s_mov_b32 s45, 0
	s_movk_i32 s46, 0x1080
	v_mov_b32_e32 v27, s55
	v_mov_b32_e32 v4, v18
	s_mov_b32 s47, s44
	s_branch .LBB15_57
.LBB15_56:                              ;   in Loop: Header=BB15_57 Depth=2
	s_or_b64 exec, exec, s[36:37]
	s_add_i32 s45, s45, 1
	s_add_i32 s47, s47, 1
	;; [unrolled: 1-line block ×3, first 2 shown]
	s_cmp_eq_u32 s45, s50
	v_add_u32_e32 v4, 4, v4
	s_waitcnt lgkmcnt(0)
	s_cbranch_scc1 .LBB15_76
.LBB15_57:                              ;   Parent Loop BB15_10 Depth=1
                                        ; =>  This Loop Header: Depth=2
                                        ;       Child Loop BB15_64 Depth 3
                                        ;       Child Loop BB15_69 Depth 3
	;; [unrolled: 1-line block ×3, first 2 shown]
	s_mul_i32 s40, s45, s50
	s_add_i32 s40, s40, s44
	s_add_i32 s36, s40, s45
	s_ashr_i32 s37, s36, 31
	s_lshl_b64 s[36:37], s[36:37], 2
	s_add_u32 s36, s24, s36
	s_addc_u32 s37, s25, s37
	global_load_dword v5, v22, s[36:37]
	v_lshl_add_u32 v3, s45, 2, v9
	ds_read_b32 v2, v3
	s_waitcnt vmcnt(0)
	v_cmp_neq_f32_e32 vcc, 0, v5
	s_nop 1
	v_cndmask_b32_e32 v5, 1.0, v5, vcc
	s_nor_b64 s[38:39], vcc, s[4:5]
	s_and_saveexec_b64 s[36:37], s[38:39]
	s_cbranch_execz .LBB15_61
; %bb.58:                               ;   in Loop: Header=BB15_57 Depth=2
	v_mbcnt_lo_u32_b32 v5, exec_lo, 0
	v_mbcnt_hi_u32_b32 v5, exec_hi, v5
	v_cmp_eq_u32_e32 vcc, 0, v5
	s_and_saveexec_b64 s[38:39], vcc
	s_cbranch_execz .LBB15_60
; %bb.59:                               ;   in Loop: Header=BB15_57 Depth=2
	global_atomic_smin v22, v27, s[18:19]
.LBB15_60:                              ;   in Loop: Header=BB15_57 Depth=2
	s_or_b64 exec, exec, s[38:39]
	v_mov_b32_e32 v5, 1.0
.LBB15_61:                              ;   in Loop: Header=BB15_57 Depth=2
	s_or_b64 exec, exec, s[36:37]
	v_lshl_add_u32 v25, s45, 2, v8
	ds_read_b32 v25, v25
	s_cmp_eq_u32 s45, 0
	s_cbranch_scc1 .LBB15_66
; %bb.62:                               ;   in Loop: Header=BB15_57 Depth=2
	s_mov_b32 s38, 0
	s_mov_b32 s39, s45
	;; [unrolled: 1-line block ×3, first 2 shown]
	v_mov_b32_e32 v26, v9
	s_branch .LBB15_64
.LBB15_63:                              ;   in Loop: Header=BB15_64 Depth=3
	s_ashr_i32 s37, s36, 31
	s_lshl_b64 s[36:37], s[36:37], 2
	s_add_u32 s36, s24, s36
	s_addc_u32 s37, s25, s37
	global_load_dword v28, v22, s[36:37]
	ds_read_b32 v29, v26
	s_add_i32 s38, s38, 1
	s_add_i32 s41, s41, s50
	s_add_i32 s39, s39, -1
	s_cmp_eq_u32 s39, 0
	v_add_u32_e32 v26, 4, v26
	s_waitcnt vmcnt(0) lgkmcnt(0)
	v_fmac_f32_e32 v25, v28, v29
	s_cbranch_scc1 .LBB15_66
.LBB15_64:                              ;   Parent Loop BB15_10 Depth=1
                                        ;     Parent Loop BB15_57 Depth=2
                                        ; =>    This Inner Loop Header: Depth=3
	s_andn2_b64 vcc, exec, s[26:27]
	s_mov_b32 s36, s41
	s_cbranch_vccnz .LBB15_63
; %bb.65:                               ;   in Loop: Header=BB15_64 Depth=3
	s_add_i32 s36, s38, s40
	s_branch .LBB15_63
.LBB15_66:                              ;   in Loop: Header=BB15_57 Depth=2
	s_waitcnt lgkmcnt(0)
	v_sub_f32_e32 v2, v2, v25
	v_div_scale_f32 v25, s[36:37], v5, v5, v2
	v_rcp_f32_e32 v26, v25
	v_div_scale_f32 v28, vcc, v2, v5, v2
	v_fma_f32 v29, -v25, v26, 1.0
	v_fmac_f32_e32 v26, v29, v26
	v_mul_f32_e32 v29, v28, v26
	v_fma_f32 v30, -v25, v29, v28
	v_fmac_f32_e32 v29, v30, v26
	v_fma_f32 v25, -v25, v29, v28
	v_div_fmas_f32 v25, v25, v26, v29
	v_div_fixup_f32 v2, v25, v5, v2
	ds_write_b32 v3, v2
	s_waitcnt lgkmcnt(0)
	s_and_saveexec_b64 s[36:37], s[0:1]
	s_cbranch_execz .LBB15_56
; %bb.67:                               ;   in Loop: Header=BB15_57 Depth=2
	s_mov_b64 s[40:41], -1
	v_mov_b32_e32 v3, v1
	v_mov_b32_e32 v5, v13
	;; [unrolled: 1-line block ×3, first 2 shown]
	s_and_saveexec_b64 s[38:39], s[6:7]
	s_cbranch_execz .LBB15_73
; %bb.68:                               ;   in Loop: Header=BB15_57 Depth=2
	v_mov_b32_e32 v3, v2
	s_mov_b64 s[40:41], 0
	v_mov_b32_e32 v5, v11
	v_mov_b32_e32 v25, v19
	;; [unrolled: 1-line block ×3, first 2 shown]
.LBB15_69:                              ;   Parent Loop BB15_10 Depth=1
                                        ;     Parent Loop BB15_57 Depth=2
                                        ; =>    This Inner Loop Header: Depth=3
	ds_read2_b32 v[28:29], v26 offset1:66
	ds_read2_b32 v[30:31], v26 offset0:132 offset1:198
	ds_read2_b32 v[32:33], v25 offset1:2
	ds_read2_b32 v[34:35], v25 offset0:4 offset1:6
	v_add_u32_e32 v5, -4, v5
	v_cmp_eq_u32_e32 vcc, 0, v5
	v_add_u32_e32 v26, 0x420, v26
	s_waitcnt lgkmcnt(1)
	v_pk_fma_f32 v[28:29], v[2:3], v[28:29], v[32:33]
	s_waitcnt lgkmcnt(0)
	v_pk_fma_f32 v[30:31], v[2:3], v[30:31], v[34:35]
	ds_write2_b32 v25, v28, v29 offset1:2
	ds_write2_b32 v25, v30, v31 offset0:4 offset1:6
	s_or_b64 s[40:41], vcc, s[40:41]
	v_add_u32_e32 v25, 32, v25
	s_andn2_b64 exec, exec, s[40:41]
	s_cbranch_execnz .LBB15_69
; %bb.70:                               ;   in Loop: Header=BB15_57 Depth=2
	s_or_b64 exec, exec, s[40:41]
	s_mov_b64 s[40:41], 0
	s_and_saveexec_b64 s[42:43], s[8:9]
; %bb.71:                               ;   in Loop: Header=BB15_57 Depth=2
	s_mov_b64 s[40:41], exec
; %bb.72:                               ;   in Loop: Header=BB15_57 Depth=2
	s_or_b64 exec, exec, s[42:43]
	s_orn2_b64 s[40:41], s[40:41], exec
	v_mov_b32_e32 v3, v12
	v_mov_b32_e32 v5, v23
	;; [unrolled: 1-line block ×3, first 2 shown]
.LBB15_73:                              ;   in Loop: Header=BB15_57 Depth=2
	s_or_b64 exec, exec, s[38:39]
	s_and_b64 exec, exec, s[40:41]
	s_cbranch_execz .LBB15_56
; %bb.74:                               ;   in Loop: Header=BB15_57 Depth=2
	v_add_u32_e32 v5, v20, v5
	v_add_u32_e32 v25, s46, v25
	s_mov_b64 s[38:39], 0
.LBB15_75:                              ;   Parent Loop BB15_10 Depth=1
                                        ;     Parent Loop BB15_57 Depth=2
                                        ; =>    This Inner Loop Header: Depth=3
	ds_read_b32 v26, v25
	ds_read_b32 v28, v5
	v_add_u32_e32 v3, 2, v3
	v_cmp_le_i32_e32 vcc, s50, v3
	s_or_b64 s[38:39], vcc, s[38:39]
	v_add_u32_e32 v25, 0x108, v25
	s_waitcnt lgkmcnt(0)
	v_fmac_f32_e32 v28, v2, v26
	ds_write_b32 v5, v28
	v_add_u32_e32 v5, 8, v5
	s_andn2_b64 exec, exec, s[38:39]
	s_cbranch_execnz .LBB15_75
	s_branch .LBB15_56
.LBB15_76:                              ;   in Loop: Header=BB15_10 Depth=1
	s_and_saveexec_b64 s[36:37], s[0:1]
	s_cbranch_execz .LBB15_9
; %bb.77:                               ;   in Loop: Header=BB15_10 Depth=1
	s_mov_b64 s[38:39], 0
	v_mov_b32_e32 v4, v21
	v_mov_b32_e32 v5, v1
	s_branch .LBB15_80
.LBB15_78:                              ;   in Loop: Header=BB15_80 Depth=2
	v_ashrrev_i32_e32 v3, 31, v2
	v_lshl_add_u64 v[2:3], v[2:3], 2, s[24:25]
	s_waitcnt lgkmcnt(0)
	global_store_dword v[2:3], v25, off
.LBB15_79:                              ;   in Loop: Header=BB15_80 Depth=2
	s_or_b64 exec, exec, s[40:41]
	v_add_u32_e32 v5, 2, v5
	v_cmp_le_i32_e32 vcc, s50, v5
	s_or_b64 s[38:39], vcc, s[38:39]
	v_add_u32_e32 v4, 8, v4
	s_andn2_b64 exec, exec, s[38:39]
	s_cbranch_execz .LBB15_9
.LBB15_80:                              ;   Parent Loop BB15_10 Depth=1
                                        ; =>  This Inner Loop Header: Depth=2
	s_and_saveexec_b64 s[40:41], s[2:3]
	s_cbranch_execz .LBB15_79
; %bb.81:                               ;   in Loop: Header=BB15_80 Depth=2
	ds_read_b32 v25, v4
	s_mov_b64 s[42:43], -1
	s_and_b64 vcc, exec, s[28:29]
                                        ; implicit-def: $vgpr2
	s_cbranch_vccz .LBB15_83
; %bb.82:                               ;   in Loop: Header=BB15_80 Depth=2
	v_add_u32_e32 v2, s35, v5
	v_mad_u64_u32 v[2:3], s[42:43], v2, s50, v[0:1]
	s_mov_b64 s[42:43], 0
.LBB15_83:                              ;   in Loop: Header=BB15_80 Depth=2
	s_andn2_b64 vcc, exec, s[42:43]
	s_cbranch_vccnz .LBB15_78
; %bb.84:                               ;   in Loop: Header=BB15_80 Depth=2
	v_add_u32_e32 v2, v16, v5
	s_branch .LBB15_78
.LBB15_85:                              ;   in Loop: Header=BB15_10 Depth=1
                                        ; implicit-def: $sgpr34
                                        ; implicit-def: $vgpr16
	s_cbranch_execz .LBB15_10
.LBB15_86:
	v_cmp_gt_i32_e64 s[0:1], s50, v1
	s_and_saveexec_b64 s[4:5], s[0:1]
	s_cbranch_execz .LBB15_99
; %bb.87:
	s_mul_i32 s26, s33, s50
	v_add_u32_e32 v2, s26, v0
	s_cmp_lg_u32 s51, 0
	v_mul_lo_u32 v4, v2, s50
	v_mul_u32_u24_e32 v2, 0x84, v0
	v_lshlrev_b32_e32 v3, 2, v1
	s_movk_i32 s8, 0x1080
	s_cselect_b64 s[6:7], -1, 0
	v_cmp_gt_i32_e64 s[2:3], s50, v0
	v_add3_u32 v5, v2, v3, s8
	s_mov_b64 s[8:9], 0
	v_mov_b32_e32 v8, v1
	s_branch .LBB15_89
.LBB15_88:                              ;   in Loop: Header=BB15_89 Depth=1
	s_or_b64 exec, exec, s[20:21]
	v_add_u32_e32 v8, 2, v8
	v_cmp_le_i32_e32 vcc, s50, v8
	s_waitcnt vmcnt(0)
	ds_write_b32 v5, v3
	s_or_b64 s[8:9], vcc, s[8:9]
	v_add_u32_e32 v5, 8, v5
	s_andn2_b64 exec, exec, s[8:9]
	s_cbranch_execz .LBB15_99
.LBB15_89:                              ; =>This Inner Loop Header: Depth=1
	s_and_b64 vcc, exec, s[6:7]
	s_cbranch_vccz .LBB15_96
; %bb.90:                               ;   in Loop: Header=BB15_89 Depth=1
	s_mov_b64 s[20:21], 0
	s_mov_b64 s[12:13], 0
                                        ; implicit-def: $vgpr2
	s_and_saveexec_b64 s[22:23], s[2:3]
	s_xor_b64 s[22:23], exec, s[22:23]
; %bb.91:                               ;   in Loop: Header=BB15_89 Depth=1
	v_add_u32_e32 v2, s26, v8
	s_mov_b64 s[12:13], exec
	v_mad_u64_u32 v[2:3], s[28:29], v2, s50, v[0:1]
; %bb.92:                               ;   in Loop: Header=BB15_89 Depth=1
	s_or_b64 exec, exec, s[22:23]
	s_and_b64 vcc, exec, s[20:21]
	s_cbranch_vccz .LBB15_97
.LBB15_93:                              ;   in Loop: Header=BB15_89 Depth=1
                                        ; implicit-def: $vgpr2
	s_and_saveexec_b64 s[20:21], s[2:3]
; %bb.94:                               ;   in Loop: Header=BB15_89 Depth=1
	v_add_u32_e32 v2, v4, v8
	s_or_b64 s[12:13], s[12:13], exec
; %bb.95:                               ;   in Loop: Header=BB15_89 Depth=1
	s_or_b64 exec, exec, s[20:21]
	v_mov_b32_e32 v3, 0
	s_and_saveexec_b64 s[20:21], s[12:13]
	s_cbranch_execz .LBB15_88
	s_branch .LBB15_98
.LBB15_96:                              ;   in Loop: Header=BB15_89 Depth=1
	s_mov_b64 s[12:13], 0
                                        ; implicit-def: $vgpr2
	s_cbranch_execnz .LBB15_93
.LBB15_97:                              ;   in Loop: Header=BB15_89 Depth=1
	v_mov_b32_e32 v3, 0
	s_and_saveexec_b64 s[20:21], s[12:13]
	s_cbranch_execz .LBB15_88
.LBB15_98:                              ;   in Loop: Header=BB15_89 Depth=1
	v_ashrrev_i32_e32 v3, 31, v2
	v_lshl_add_u64 v[2:3], v[2:3], 2, s[24:25]
	global_load_dword v3, v[2:3], off
	s_branch .LBB15_88
.LBB15_99:
	s_or_b64 exec, exec, s[4:5]
	s_cmp_lt_i32 s50, 1
	s_waitcnt lgkmcnt(0)
	s_cbranch_scc1 .LBB15_119
; %bb.100:
	v_lshrrev_b32_e32 v10, 1, v7
	v_or_b32_e32 v5, v1, v0
	v_add_u32_e32 v11, 1, v10
	s_movk_i32 s8, 0x84
	v_mov_b32_e32 v2, 0x1080
	v_cmp_ne_u32_e64 s[2:3], 0, v5
	v_mov_b32_e32 v5, 0x2100
	v_cmp_lt_u32_e64 s[4:5], 5, v7
	v_and_b32_e32 v7, -4, v11
	v_mad_u32_u24 v4, v0, s8, v2
	v_mul_u32_u24_e32 v3, 0x84, v0
	s_add_i32 s9, s16, s17
	s_movk_i32 s12, 0x2100
	v_mad_u32_u24 v5, v0, s8, v5
	v_lshlrev_b32_e32 v9, 2, v0
	v_lshl_add_u32 v10, v7, 1, v1
	s_movk_i32 s26, 0x1080
	s_mov_b32 s27, 0
	v_add_u32_e32 v8, v4, v9
	v_add_u32_e32 v9, v5, v9
	v_cmp_ne_u32_e64 s[6:7], v11, v7
	v_mul_u32_u24_e32 v11, 0x84, v1
	v_mad_u32_u24 v12, v1, s8, v2
	v_add3_u32 v13, v3, v6, s12
	s_mov_b32 s28, 0xf800000
	v_mov_b32_e32 v14, 0x260
	v_mov_b32_e32 v15, 0
	;; [unrolled: 1-line block ×3, first 2 shown]
	v_lshlrev_b32_e32 v16, 2, v10
	v_mul_lo_u32 v17, v10, s8
	s_branch .LBB15_102
.LBB15_101:                             ;   in Loop: Header=BB15_102 Depth=1
	s_or_b64 exec, exec, s[8:9]
	s_add_i32 s27, s27, 1
	s_add_i32 s26, s26, 4
	s_cmp_eq_u32 s27, s50
	v_add_u32_e32 v12, 4, v12
	s_waitcnt lgkmcnt(0)
	s_cbranch_scc1 .LBB15_119
.LBB15_102:                             ; =>This Loop Header: Depth=1
                                        ;     Child Loop BB15_112 Depth 2
                                        ;     Child Loop BB15_118 Depth 2
	v_cmp_eq_u32_e32 vcc, s27, v0
	s_and_saveexec_b64 s[12:13], vcc
	s_cbranch_execz .LBB15_104
; %bb.103:                              ;   in Loop: Header=BB15_102 Depth=1
	ds_read_b32 v2, v8
	ds_read_b32 v3, v9
	s_waitcnt lgkmcnt(0)
	v_sub_f32_e32 v2, v2, v3
	v_cmp_gt_f32_e32 vcc, 0, v2
	s_nop 1
	v_cndmask_b32_e64 v2, v2, -v2, vcc
	v_mul_f32_e32 v3, 0x4f800000, v2
	v_cmp_gt_f32_e32 vcc, s28, v2
	s_nop 1
	v_cndmask_b32_e32 v2, v2, v3, vcc
	v_sqrt_f32_e32 v3, v2
	s_nop 0
	v_add_u32_e32 v18, -1, v3
	v_add_u32_e32 v19, 1, v3
	v_fma_f32 v20, -v18, v3, v2
	v_fma_f32 v22, -v19, v3, v2
	v_cmp_ge_f32_e64 s[8:9], 0, v20
	s_nop 1
	v_cndmask_b32_e64 v3, v3, v18, s[8:9]
	v_cmp_lt_f32_e64 s[8:9], 0, v22
	s_nop 1
	v_cndmask_b32_e64 v3, v3, v19, s[8:9]
	v_mul_f32_e32 v18, 0x37800000, v3
	v_cndmask_b32_e32 v3, v3, v18, vcc
	v_cmp_class_f32_e32 vcc, v2, v14
	s_nop 1
	v_cndmask_b32_e32 v2, v3, v2, vcc
	ds_write_b32 v8, v2
.LBB15_104:                             ;   in Loop: Header=BB15_102 Depth=1
	s_or_b64 exec, exec, s[12:13]
	s_lshl_b32 s8, s27, 2
	s_mul_i32 s9, s27, 0x84
	s_add_i32 s9, s9, s8
	v_mov_b32_e32 v2, s9
	s_waitcnt lgkmcnt(0)
	ds_read_b32 v18, v2 offset:4224
	v_add_u32_e32 v3, s8, v4
	ds_read_b32 v2, v3
	s_waitcnt lgkmcnt(1)
	v_cmp_neq_f32_e32 vcc, 0, v18
	s_nop 1
	v_cndmask_b32_e32 v18, 1.0, v18, vcc
	s_nor_b64 s[12:13], vcc, s[2:3]
	s_and_saveexec_b64 s[8:9], s[12:13]
	s_cbranch_execz .LBB15_108
; %bb.105:                              ;   in Loop: Header=BB15_102 Depth=1
	v_mbcnt_lo_u32_b32 v18, exec_lo, 0
	v_mbcnt_hi_u32_b32 v18, exec_hi, v18
	v_cmp_eq_u32_e32 vcc, 0, v18
	s_and_saveexec_b64 s[12:13], vcc
	s_cbranch_execz .LBB15_107
; %bb.106:                              ;   in Loop: Header=BB15_102 Depth=1
	global_atomic_smin v15, v21, s[18:19]
.LBB15_107:                             ;   in Loop: Header=BB15_102 Depth=1
	s_or_b64 exec, exec, s[12:13]
	v_mov_b32_e32 v18, 1.0
.LBB15_108:                             ;   in Loop: Header=BB15_102 Depth=1
	s_or_b64 exec, exec, s[8:9]
	v_cmp_lt_u32_e32 vcc, s27, v0
	s_and_saveexec_b64 s[8:9], vcc
	s_cbranch_execz .LBB15_101
; %bb.109:                              ;   in Loop: Header=BB15_102 Depth=1
	v_lshl_add_u32 v19, s27, 2, v5
	ds_read_b32 v19, v19
	s_waitcnt lgkmcnt(0)
	v_sub_f32_e32 v2, v2, v19
	v_div_scale_f32 v19, s[12:13], v18, v18, v2
	v_rcp_f32_e32 v20, v19
	v_div_scale_f32 v22, vcc, v2, v18, v2
	v_fma_f32 v23, -v19, v20, 1.0
	v_fmac_f32_e32 v20, v23, v20
	v_mul_f32_e32 v23, v22, v20
	v_fma_f32 v24, -v19, v23, v22
	v_fmac_f32_e32 v23, v24, v20
	v_fma_f32 v19, -v19, v23, v22
	v_div_fmas_f32 v19, v19, v20, v23
	v_div_fixup_f32 v2, v19, v18, v2
	ds_write_b32 v3, v2
	s_waitcnt lgkmcnt(0)
	s_and_b64 exec, exec, s[0:1]
	s_cbranch_execz .LBB15_101
; %bb.110:                              ;   in Loop: Header=BB15_102 Depth=1
	s_mov_b64 s[20:21], -1
	v_mov_b32_e32 v3, v1
	v_mov_b32_e32 v18, v6
	;; [unrolled: 1-line block ×3, first 2 shown]
	s_and_saveexec_b64 s[12:13], s[4:5]
	s_cbranch_execz .LBB15_116
; %bb.111:                              ;   in Loop: Header=BB15_102 Depth=1
	v_mov_b32_e32 v3, v2
	s_mov_b64 s[20:21], 0
	v_mov_b32_e32 v18, v7
	v_mov_b32_e32 v19, v13
	;; [unrolled: 1-line block ×3, first 2 shown]
.LBB15_112:                             ;   Parent Loop BB15_102 Depth=1
                                        ; =>  This Inner Loop Header: Depth=2
	ds_read2_b32 v[22:23], v20 offset1:66
	ds_read2_b32 v[24:25], v20 offset0:132 offset1:198
	ds_read2_b32 v[26:27], v19 offset1:2
	ds_read2_b32 v[28:29], v19 offset0:4 offset1:6
	v_add_u32_e32 v18, -4, v18
	v_cmp_eq_u32_e32 vcc, 0, v18
	v_add_u32_e32 v20, 0x420, v20
	s_waitcnt lgkmcnt(1)
	v_pk_fma_f32 v[22:23], v[2:3], v[22:23], v[26:27]
	s_waitcnt lgkmcnt(0)
	v_pk_fma_f32 v[24:25], v[2:3], v[24:25], v[28:29]
	ds_write2_b32 v19, v22, v23 offset1:2
	ds_write2_b32 v19, v24, v25 offset0:4 offset1:6
	s_or_b64 s[20:21], vcc, s[20:21]
	v_add_u32_e32 v19, 32, v19
	s_andn2_b64 exec, exec, s[20:21]
	s_cbranch_execnz .LBB15_112
; %bb.113:                              ;   in Loop: Header=BB15_102 Depth=1
	s_or_b64 exec, exec, s[20:21]
	s_mov_b64 s[20:21], 0
	s_and_saveexec_b64 s[22:23], s[6:7]
; %bb.114:                              ;   in Loop: Header=BB15_102 Depth=1
	s_mov_b64 s[20:21], exec
; %bb.115:                              ;   in Loop: Header=BB15_102 Depth=1
	s_or_b64 exec, exec, s[22:23]
	s_orn2_b64 s[20:21], s[20:21], exec
	v_mov_b32_e32 v3, v10
	v_mov_b32_e32 v18, v16
	;; [unrolled: 1-line block ×3, first 2 shown]
.LBB15_116:                             ;   in Loop: Header=BB15_102 Depth=1
	s_or_b64 exec, exec, s[12:13]
	s_and_b64 exec, exec, s[20:21]
	s_cbranch_execz .LBB15_101
; %bb.117:                              ;   in Loop: Header=BB15_102 Depth=1
	v_add_u32_e32 v18, v5, v18
	v_add_u32_e32 v19, s26, v19
	s_mov_b64 s[12:13], 0
.LBB15_118:                             ;   Parent Loop BB15_102 Depth=1
                                        ; =>  This Inner Loop Header: Depth=2
	ds_read_b32 v20, v19
	ds_read_b32 v22, v18
	v_add_u32_e32 v3, 2, v3
	v_cmp_le_i32_e32 vcc, s50, v3
	s_or_b64 s[12:13], vcc, s[12:13]
	v_add_u32_e32 v19, 0x108, v19
	s_waitcnt lgkmcnt(0)
	v_fmac_f32_e32 v22, v2, v20
	ds_write_b32 v18, v22
	v_add_u32_e32 v18, 8, v18
	s_andn2_b64 exec, exec, s[12:13]
	s_cbranch_execnz .LBB15_118
	s_branch .LBB15_101
.LBB15_119:
	s_and_saveexec_b64 s[2:3], s[0:1]
	s_cbranch_execz .LBB15_128
; %bb.120:
	s_mul_i32 s33, s33, s50
	v_add_u32_e32 v2, s33, v0
	s_cmp_lg_u32 s51, 0
	v_mul_lo_u32 v4, v2, s50
	v_mul_u32_u24_e32 v2, 0x84, v0
	s_movk_i32 s6, 0x1080
	v_cmp_gt_i32_e64 s[0:1], s50, v0
	s_cselect_b64 s[4:5], -1, 0
	v_add3_u32 v5, v2, v6, s6
	s_mov_b64 s[6:7], 0
	v_mov_b32_e32 v6, v1
	s_branch .LBB15_124
.LBB15_121:                             ;   in Loop: Header=BB15_124 Depth=1
	v_add_u32_e32 v2, v4, v6
.LBB15_122:                             ;   in Loop: Header=BB15_124 Depth=1
	v_ashrrev_i32_e32 v3, 31, v2
	v_lshl_add_u64 v[2:3], v[2:3], 2, s[24:25]
	s_waitcnt lgkmcnt(0)
	global_store_dword v[2:3], v7, off
.LBB15_123:                             ;   in Loop: Header=BB15_124 Depth=1
	s_or_b64 exec, exec, s[8:9]
	v_add_u32_e32 v6, 2, v6
	v_cmp_le_i32_e32 vcc, s50, v6
	s_or_b64 s[6:7], vcc, s[6:7]
	v_add_u32_e32 v5, 8, v5
	s_andn2_b64 exec, exec, s[6:7]
	s_cbranch_execz .LBB15_128
.LBB15_124:                             ; =>This Inner Loop Header: Depth=1
	s_and_saveexec_b64 s[8:9], s[0:1]
	s_cbranch_execz .LBB15_123
; %bb.125:                              ;   in Loop: Header=BB15_124 Depth=1
	ds_read_b32 v7, v5
	s_and_b64 vcc, exec, s[4:5]
	s_cbranch_vccz .LBB15_127
; %bb.126:                              ;   in Loop: Header=BB15_124 Depth=1
	v_add_u32_e32 v2, s33, v6
	v_mad_u64_u32 v[2:3], s[12:13], v2, s50, v[0:1]
	s_cbranch_execnz .LBB15_122
	s_branch .LBB15_121
.LBB15_127:                             ;   in Loop: Header=BB15_124 Depth=1
                                        ; implicit-def: $vgpr2
	s_branch .LBB15_121
.LBB15_128:
	s_or_b64 exec, exec, s[2:3]
	v_or_b32_e32 v2, v1, v0
	v_cmp_eq_u32_e32 vcc, 0, v2
	s_and_saveexec_b64 s[0:1], vcc
	s_cbranch_execz .LBB15_130
; %bb.129:
	s_add_u32 s2, s14, s10
	s_addc_u32 s3, s15, s11
	v_mov_b32_e32 v2, 0
	v_mov_b32_e32 v3, 1
	buffer_wbl2 sc1
	s_waitcnt vmcnt(0)
	global_store_dword v2, v3, s[2:3] sc1
.LBB15_130:
	s_or_b64 exec, exec, s[0:1]
.LBB15_131:
	s_endpgm
.LBB15_132:
	s_cbranch_execz .LBB15_131
; %bb.133:
	v_or_b32_e32 v0, v1, v0
	v_cmp_eq_u32_e32 vcc, 0, v0
	s_and_saveexec_b64 s[0:1], vcc
	s_cbranch_execz .LBB15_131
; %bb.134:
	v_mbcnt_lo_u32_b32 v0, exec_lo, 0
	v_mbcnt_hi_u32_b32 v0, exec_hi, v0
	v_cmp_eq_u32_e32 vcc, 0, v0
	s_and_saveexec_b64 s[0:1], vcc
	s_cbranch_execz .LBB15_136
; %bb.135:
	s_add_i32 s2, s16, s17
	v_mov_b32_e32 v0, 0
	v_mov_b32_e32 v1, s2
	global_atomic_smin v0, v1, s[18:19]
.LBB15_136:
	s_or_b64 exec, exec, s[0:1]
	s_add_u32 s0, s14, s10
	s_addc_u32 s1, s15, s11
	v_mov_b32_e32 v0, 0
	v_mov_b32_e32 v1, 1
	buffer_wbl2 sc1
	s_waitcnt vmcnt(0)
	global_store_dword v0, v1, s[0:1] sc1
	s_endpgm
	.section	.rodata,"a",@progbits
	.p2align	6, 0x0
	.amdhsa_kernel _ZN9rocsparseL19bsric0_17_32_kernelILi64ELi64ELi32EfEEv20rocsparse_direction_iiPKiS3_PT2_S3_PiS3_S6_21rocsparse_index_base_
		.amdhsa_group_segment_fixed_size 13440
		.amdhsa_private_segment_fixed_size 0
		.amdhsa_kernarg_size 76
		.amdhsa_user_sgpr_count 2
		.amdhsa_user_sgpr_dispatch_ptr 0
		.amdhsa_user_sgpr_queue_ptr 0
		.amdhsa_user_sgpr_kernarg_segment_ptr 1
		.amdhsa_user_sgpr_dispatch_id 0
		.amdhsa_user_sgpr_kernarg_preload_length 0
		.amdhsa_user_sgpr_kernarg_preload_offset 0
		.amdhsa_user_sgpr_private_segment_size 0
		.amdhsa_uses_dynamic_stack 0
		.amdhsa_enable_private_segment 0
		.amdhsa_system_sgpr_workgroup_id_x 1
		.amdhsa_system_sgpr_workgroup_id_y 0
		.amdhsa_system_sgpr_workgroup_id_z 0
		.amdhsa_system_sgpr_workgroup_info 0
		.amdhsa_system_vgpr_workitem_id 1
		.amdhsa_next_free_vgpr 129
		.amdhsa_next_free_sgpr 96
		.amdhsa_accum_offset 36
		.amdhsa_reserve_vcc 1
		.amdhsa_float_round_mode_32 0
		.amdhsa_float_round_mode_16_64 0
		.amdhsa_float_denorm_mode_32 3
		.amdhsa_float_denorm_mode_16_64 3
		.amdhsa_dx10_clamp 1
		.amdhsa_ieee_mode 1
		.amdhsa_fp16_overflow 0
		.amdhsa_tg_split 0
		.amdhsa_exception_fp_ieee_invalid_op 0
		.amdhsa_exception_fp_denorm_src 0
		.amdhsa_exception_fp_ieee_div_zero 0
		.amdhsa_exception_fp_ieee_overflow 0
		.amdhsa_exception_fp_ieee_underflow 0
		.amdhsa_exception_fp_ieee_inexact 0
		.amdhsa_exception_int_div_zero 0
	.end_amdhsa_kernel
	.section	.text._ZN9rocsparseL19bsric0_17_32_kernelILi64ELi64ELi32EfEEv20rocsparse_direction_iiPKiS3_PT2_S3_PiS3_S6_21rocsparse_index_base_,"axG",@progbits,_ZN9rocsparseL19bsric0_17_32_kernelILi64ELi64ELi32EfEEv20rocsparse_direction_iiPKiS3_PT2_S3_PiS3_S6_21rocsparse_index_base_,comdat
.Lfunc_end15:
	.size	_ZN9rocsparseL19bsric0_17_32_kernelILi64ELi64ELi32EfEEv20rocsparse_direction_iiPKiS3_PT2_S3_PiS3_S6_21rocsparse_index_base_, .Lfunc_end15-_ZN9rocsparseL19bsric0_17_32_kernelILi64ELi64ELi32EfEEv20rocsparse_direction_iiPKiS3_PT2_S3_PiS3_S6_21rocsparse_index_base_
                                        ; -- End function
	.set _ZN9rocsparseL19bsric0_17_32_kernelILi64ELi64ELi32EfEEv20rocsparse_direction_iiPKiS3_PT2_S3_PiS3_S6_21rocsparse_index_base_.num_vgpr, 36
	.set _ZN9rocsparseL19bsric0_17_32_kernelILi64ELi64ELi32EfEEv20rocsparse_direction_iiPKiS3_PT2_S3_PiS3_S6_21rocsparse_index_base_.num_agpr, 0
	.set _ZN9rocsparseL19bsric0_17_32_kernelILi64ELi64ELi32EfEEv20rocsparse_direction_iiPKiS3_PT2_S3_PiS3_S6_21rocsparse_index_base_.numbered_sgpr, 60
	.set _ZN9rocsparseL19bsric0_17_32_kernelILi64ELi64ELi32EfEEv20rocsparse_direction_iiPKiS3_PT2_S3_PiS3_S6_21rocsparse_index_base_.num_named_barrier, 0
	.set _ZN9rocsparseL19bsric0_17_32_kernelILi64ELi64ELi32EfEEv20rocsparse_direction_iiPKiS3_PT2_S3_PiS3_S6_21rocsparse_index_base_.private_seg_size, 0
	.set _ZN9rocsparseL19bsric0_17_32_kernelILi64ELi64ELi32EfEEv20rocsparse_direction_iiPKiS3_PT2_S3_PiS3_S6_21rocsparse_index_base_.uses_vcc, 1
	.set _ZN9rocsparseL19bsric0_17_32_kernelILi64ELi64ELi32EfEEv20rocsparse_direction_iiPKiS3_PT2_S3_PiS3_S6_21rocsparse_index_base_.uses_flat_scratch, 0
	.set _ZN9rocsparseL19bsric0_17_32_kernelILi64ELi64ELi32EfEEv20rocsparse_direction_iiPKiS3_PT2_S3_PiS3_S6_21rocsparse_index_base_.has_dyn_sized_stack, 0
	.set _ZN9rocsparseL19bsric0_17_32_kernelILi64ELi64ELi32EfEEv20rocsparse_direction_iiPKiS3_PT2_S3_PiS3_S6_21rocsparse_index_base_.has_recursion, 0
	.set _ZN9rocsparseL19bsric0_17_32_kernelILi64ELi64ELi32EfEEv20rocsparse_direction_iiPKiS3_PT2_S3_PiS3_S6_21rocsparse_index_base_.has_indirect_call, 0
	.section	.AMDGPU.csdata,"",@progbits
; Kernel info:
; codeLenInByte = 4048
; TotalNumSgprs: 66
; NumVgprs: 36
; NumAgprs: 0
; TotalNumVgprs: 36
; ScratchSize: 0
; MemoryBound: 0
; FloatMode: 240
; IeeeMode: 1
; LDSByteSize: 13440 bytes/workgroup (compile time only)
; SGPRBlocks: 12
; VGPRBlocks: 16
; NumSGPRsForWavesPerEU: 102
; NumVGPRsForWavesPerEU: 129
; AccumOffset: 36
; Occupancy: 3
; WaveLimiterHint : 1
; COMPUTE_PGM_RSRC2:SCRATCH_EN: 0
; COMPUTE_PGM_RSRC2:USER_SGPR: 2
; COMPUTE_PGM_RSRC2:TRAP_HANDLER: 0
; COMPUTE_PGM_RSRC2:TGID_X_EN: 1
; COMPUTE_PGM_RSRC2:TGID_Y_EN: 0
; COMPUTE_PGM_RSRC2:TGID_Z_EN: 0
; COMPUTE_PGM_RSRC2:TIDIG_COMP_CNT: 1
; COMPUTE_PGM_RSRC3_GFX90A:ACCUM_OFFSET: 8
; COMPUTE_PGM_RSRC3_GFX90A:TG_SPLIT: 0
	.section	.text._ZN9rocsparseL17bsric0_2_8_kernelILi64ELi128ELi8EfEEv20rocsparse_direction_iiPKiS3_PT2_S3_PiS3_S6_21rocsparse_index_base_,"axG",@progbits,_ZN9rocsparseL17bsric0_2_8_kernelILi64ELi128ELi8EfEEv20rocsparse_direction_iiPKiS3_PT2_S3_PiS3_S6_21rocsparse_index_base_,comdat
	.globl	_ZN9rocsparseL17bsric0_2_8_kernelILi64ELi128ELi8EfEEv20rocsparse_direction_iiPKiS3_PT2_S3_PiS3_S6_21rocsparse_index_base_ ; -- Begin function _ZN9rocsparseL17bsric0_2_8_kernelILi64ELi128ELi8EfEEv20rocsparse_direction_iiPKiS3_PT2_S3_PiS3_S6_21rocsparse_index_base_
	.p2align	8
	.type	_ZN9rocsparseL17bsric0_2_8_kernelILi64ELi128ELi8EfEEv20rocsparse_direction_iiPKiS3_PT2_S3_PiS3_S6_21rocsparse_index_base_,@function
_ZN9rocsparseL17bsric0_2_8_kernelILi64ELi128ELi8EfEEv20rocsparse_direction_iiPKiS3_PT2_S3_PiS3_S6_21rocsparse_index_base_: ; @_ZN9rocsparseL17bsric0_2_8_kernelILi64ELi128ELi8EfEEv20rocsparse_direction_iiPKiS3_PT2_S3_PiS3_S6_21rocsparse_index_base_
; %bb.0:
	s_load_dwordx8 s[8:15], s[0:1], 0x28
	s_mov_b32 s3, 0
	s_lshl_b64 s[2:3], s[2:3], 2
	v_and_b32_e32 v6, 0x3ff, v0
	v_bfe_u32 v7, v0, 10, 10
	s_waitcnt lgkmcnt(0)
	s_add_u32 s2, s12, s2
	s_addc_u32 s3, s13, s3
	s_load_dword s12, s[2:3], 0x0
	s_waitcnt lgkmcnt(0)
	s_ashr_i32 s13, s12, 31
	s_lshl_b64 s[6:7], s[12:13], 2
	s_add_u32 s2, s8, s6
	s_addc_u32 s3, s9, s7
	s_load_dword s33, s[2:3], 0x0
	s_load_dword s13, s[0:1], 0x48
	s_waitcnt lgkmcnt(0)
	s_cmp_lg_u32 s33, -1
	s_cbranch_scc0 .LBB16_89
; %bb.1:
	s_load_dwordx4 s[16:19], s[0:1], 0x10
	s_load_dwordx2 s[20:21], s[0:1], 0x20
	v_lshlrev_b32_e32 v1, 3, v7
	v_add_u32_e32 v2, v1, v6
	s_waitcnt lgkmcnt(0)
	s_add_u32 s2, s16, s6
	s_addc_u32 s3, s17, s7
	s_load_dword s26, s[2:3], 0x0
	s_waitcnt lgkmcnt(0)
	s_sub_i32 s40, s26, s13
	v_add_u32_e32 v0, s40, v2
	v_cmp_ge_i32_e32 vcc, s33, v0
	s_and_saveexec_b64 s[2:3], vcc
	s_cbranch_execz .LBB16_14
; %bb.2:
	v_add_u32_e32 v2, s26, v2
	v_subrev_u32_e32 v2, s13, v2
	v_add_u32_e32 v2, 64, v2
	s_add_i32 s4, s33, 1
	v_max_i32_e32 v2, s4, v2
	v_not_b32_e32 v3, v6
	v_add3_u32 v2, s13, v2, v3
	v_add_u32_e32 v1, s26, v1
	v_sub_u32_e32 v1, v2, v1
	v_cmp_lt_u32_e32 vcc, 63, v1
	s_mov_b64 s[22:23], -1
	s_and_saveexec_b64 s[4:5], vcc
	s_cbranch_execz .LBB16_11
; %bb.3:
	v_lshrrev_b32_e32 v4, 6, v1
	v_add_u32_e32 v2, -1, v4
	v_add_u32_e32 v1, 64, v0
	v_lshrrev_b32_e32 v3, 1, v2
	v_add_u32_e32 v5, 1, v3
	v_cmp_lt_u32_e32 vcc, 13, v2
	v_mov_b64_e32 v[2:3], v[0:1]
	s_and_saveexec_b64 s[22:23], vcc
	s_cbranch_execz .LBB16_7
; %bb.4:
	v_and_b32_e32 v8, -8, v5
	s_mov_b64 s[24:25], 0
	v_mov_b64_e32 v[2:3], v[0:1]
.LBB16_5:                               ; =>This Inner Loop Header: Depth=1
	v_ashrrev_i32_e32 v13, 31, v2
	v_mov_b32_e32 v12, v2
	v_ashrrev_i32_e32 v11, 31, v3
	v_mov_b32_e32 v10, v3
	v_add_u32_e32 v14, 0x80, v2
	v_add_u32_e32 v16, 0x80, v3
	v_lshl_add_u64 v[12:13], v[12:13], 2, s[18:19]
	v_add_u32_e32 v18, 0x100, v2
	v_add_u32_e32 v20, 0x100, v3
	;; [unrolled: 1-line block ×12, first 2 shown]
	v_lshl_add_u64 v[10:11], v[10:11], 2, s[18:19]
	v_ashrrev_i32_e32 v17, 31, v16
	v_ashrrev_i32_e32 v15, 31, v14
	global_load_dword v1, v[12:13], off
	global_load_dword v9, v[10:11], off
	v_ashrrev_i32_e32 v21, 31, v20
	v_ashrrev_i32_e32 v19, 31, v18
	;; [unrolled: 1-line block ×12, first 2 shown]
	v_lshl_add_u64 v[10:11], v[14:15], 2, s[18:19]
	v_lshl_add_u64 v[12:13], v[16:17], 2, s[18:19]
	;; [unrolled: 1-line block ×13, first 2 shown]
	global_load_dword v15, v[12:13], off
	v_lshl_add_u64 v[12:13], v[40:41], 2, s[18:19]
	global_load_dword v17, v[10:11], off
	global_load_dword v19, v[44:45], off
	;; [unrolled: 1-line block ×13, first 2 shown]
	v_subrev_u32_e32 v11, s40, v2
	v_add_u32_e32 v8, -8, v8
	v_subrev_u32_e32 v10, s40, v3
	v_lshlrev_b32_e32 v11, 2, v11
	v_subrev_u32_e32 v13, s40, v14
	v_cmp_eq_u32_e32 vcc, 0, v8
	v_add_u32_e32 v3, 0x400, v3
	v_add_u32_e32 v2, 0x400, v2
	v_lshlrev_b32_e32 v10, 2, v10
	v_subrev_u32_e32 v12, s40, v16
	v_subrev_u32_e32 v14, s40, v20
	;; [unrolled: 1-line block ×13, first 2 shown]
	v_lshlrev_b32_e32 v13, 2, v13
	s_or_b64 s[24:25], vcc, s[24:25]
	v_lshlrev_b32_e32 v12, 2, v12
	v_lshlrev_b32_e32 v16, 2, v16
	;; [unrolled: 1-line block ×13, first 2 shown]
	s_waitcnt vmcnt(15)
	v_subrev_u32_e32 v1, s13, v1
	s_waitcnt vmcnt(14)
	v_subrev_u32_e32 v9, s13, v9
	ds_write_b32 v11, v1 offset:1024
	ds_write_b32 v10, v9 offset:1024
	s_waitcnt vmcnt(12)
	v_subrev_u32_e32 v9, s13, v17
	s_waitcnt vmcnt(11)
	v_subrev_u32_e32 v10, s13, v19
	;; [unrolled: 2-line block ×8, first 2 shown]
	v_subrev_u32_e32 v1, s13, v15
	v_subrev_u32_e32 v15, s13, v23
	;; [unrolled: 1-line block ×3, first 2 shown]
	s_waitcnt vmcnt(2)
	v_subrev_u32_e32 v29, s13, v37
	s_waitcnt vmcnt(1)
	v_subrev_u32_e32 v31, s13, v39
	s_waitcnt vmcnt(0)
	v_subrev_u32_e32 v33, s13, v41
	ds_write_b32 v13, v9 offset:1024
	ds_write_b32 v12, v1 offset:1024
	;; [unrolled: 1-line block ×14, first 2 shown]
	s_andn2_b64 exec, exec, s[24:25]
	s_cbranch_execnz .LBB16_5
; %bb.6:
	s_or_b64 exec, exec, s[24:25]
.LBB16_7:
	s_or_b64 exec, exec, s[22:23]
	v_and_b32_e32 v1, 7, v5
	v_cmp_ne_u32_e32 vcc, 0, v1
	s_and_saveexec_b64 s[22:23], vcc
	s_cbranch_execz .LBB16_10
; %bb.8:
	s_mov_b64 s[24:25], 0
.LBB16_9:                               ; =>This Inner Loop Header: Depth=1
	v_ashrrev_i32_e32 v9, 31, v3
	v_mov_b32_e32 v8, v3
	v_ashrrev_i32_e32 v11, 31, v2
	v_mov_b32_e32 v10, v2
	v_lshl_add_u64 v[8:9], v[8:9], 2, s[18:19]
	v_lshl_add_u64 v[10:11], v[10:11], 2, s[18:19]
	global_load_dword v5, v[8:9], off
	global_load_dword v12, v[10:11], off
	v_add_u32_e32 v1, -1, v1
	v_subrev_u32_e32 v9, s40, v2
	v_cmp_eq_u32_e32 vcc, 0, v1
	v_subrev_u32_e32 v8, s40, v3
	v_add_u32_e32 v3, 0x80, v3
	v_add_u32_e32 v2, 0x80, v2
	v_lshlrev_b32_e32 v9, 2, v9
	s_or_b64 s[24:25], vcc, s[24:25]
	v_lshlrev_b32_e32 v8, 2, v8
	s_waitcnt vmcnt(1)
	v_subrev_u32_e32 v5, s13, v5
	s_waitcnt vmcnt(0)
	v_subrev_u32_e32 v10, s13, v12
	ds_write_b32 v9, v10 offset:1024
	ds_write_b32 v8, v5 offset:1024
	s_andn2_b64 exec, exec, s[24:25]
	s_cbranch_execnz .LBB16_9
.LBB16_10:
	s_or_b64 exec, exec, s[22:23]
	v_add_u32_e32 v1, 1, v4
	v_and_b32_e32 v2, 0x7fffffe, v1
	v_cmp_ne_u32_e32 vcc, v1, v2
	v_lshl_add_u32 v0, v2, 6, v0
	s_orn2_b64 s[22:23], vcc, exec
.LBB16_11:
	s_or_b64 exec, exec, s[4:5]
	s_and_b64 exec, exec, s[22:23]
	s_cbranch_execz .LBB16_14
; %bb.12:
	v_add_u32_e32 v1, s13, v0
	v_subrev_u32_e32 v1, s26, v1
	v_mov_b32_e32 v2, 0x400
	v_lshl_add_u32 v4, v1, 2, v2
	v_ashrrev_i32_e32 v1, 31, v0
	v_lshl_add_u64 v[2:3], v[0:1], 2, s[18:19]
	s_mov_b64 s[4:5], 0
	s_mov_b64 s[22:23], 0x100
.LBB16_13:                              ; =>This Inner Loop Header: Depth=1
	global_load_dword v1, v[2:3], off
	v_add_u32_e32 v0, 64, v0
	v_cmp_lt_i32_e32 vcc, s33, v0
	v_lshl_add_u64 v[2:3], v[2:3], 0, s[22:23]
	s_or_b64 s[4:5], vcc, s[4:5]
	s_waitcnt vmcnt(0)
	v_subrev_u32_e32 v1, s13, v1
	ds_write_b32 v4, v1
	v_add_u32_e32 v4, 0x100, v4
	s_andn2_b64 exec, exec, s[4:5]
	s_cbranch_execnz .LBB16_13
.LBB16_14:
	s_or_b64 exec, exec, s[2:3]
	s_load_dword s42, s[0:1], 0x0
	s_load_dword s41, s[0:1], 0x8
	v_mov_b32_e32 v0, 0x960
	v_mad_u32_u24 v8, v7, 36, v0
	v_lshl_add_u32 v1, v6, 2, v8
	v_mov_b32_e32 v23, 0
	s_cmp_ge_i32 s40, s33
	ds_write_b32 v1, v23
	s_waitcnt lgkmcnt(0)
	s_cbranch_scc1 .LBB16_67
; %bb.15:
	s_cmp_lg_u32 s42, 0
	s_cselect_b64 s[22:23], -1, 0
	s_cmp_eq_u32 s42, 0
	v_cmp_gt_i32_e64 s[0:1], s41, v6
	v_cmp_gt_i32_e64 s[2:3], s41, v7
	v_mul_u32_u24_e32 v0, 36, v7
	v_lshlrev_b32_e32 v3, 2, v6
	s_movk_i32 s4, 0x600
	s_cselect_b64 vcc, -1, 0
	s_and_b64 s[24:25], s[0:1], s[2:3]
	v_mov_b32_e32 v2, 0x840
	v_add3_u32 v11, v0, v3, s4
	v_mov_b32_e32 v0, 0x720
	v_mad_u32_u24 v9, v7, 36, v2
	s_cmp_gt_i32 s41, 0
	v_mad_u32_u24 v14, v7, 36, v0
	v_or_b32_e32 v0, v6, v7
	v_add_u32_e32 v10, v9, v3
	s_mul_i32 s43, s41, s41
	v_mul_lo_u32 v12, s41, v6
	v_mul_lo_u32 v13, s41, v7
	v_add_u32_e32 v15, v14, v3
	v_cmp_ne_u32_e64 s[4:5], 0, v0
	v_mad_u32_u24 v16, v6, 36, v2
	v_cndmask_b32_e32 v0, v7, v6, vcc
	v_cndmask_b32_e32 v17, v6, v7, vcc
	v_mov_b32_e32 v18, 0
	s_cselect_b64 s[26:27], -1, 0
	s_mov_b32 s28, s40
	s_branch .LBB16_17
.LBB16_16:                              ;   in Loop: Header=BB16_17 Depth=1
	s_or_b64 exec, exec, s[30:31]
	s_add_i32 s28, s28, 1
	s_cmp_ge_i32 s28, s33
	s_cselect_b64 s[30:31], -1, 0
	buffer_wbl2 sc1
	s_waitcnt vmcnt(0)
	buffer_inv sc1
	s_and_b64 vcc, exec, s[30:31]
	s_cbranch_vccnz .LBB16_67
.LBB16_17:                              ; =>This Loop Header: Depth=1
                                        ;     Child Loop BB16_22 Depth 2
                                        ;     Child Loop BB16_33 Depth 2
	;; [unrolled: 1-line block ×4, first 2 shown]
                                        ;       Child Loop BB16_63 Depth 3
	s_ashr_i32 s29, s28, 31
	s_lshl_b64 s[30:31], s[28:29], 2
	s_add_u32 s30, s18, s30
	s_addc_u32 s31, s19, s31
	s_load_dword s29, s[30:31], 0x0
	s_waitcnt lgkmcnt(0)
	s_sub_i32 s34, s29, s13
	s_ashr_i32 s35, s34, 31
	s_lshl_b64 s[30:31], s[34:35], 2
	s_add_u32 s36, s8, s30
	s_addc_u32 s37, s9, s31
	s_load_dword s35, s[36:37], 0x0
	s_waitcnt lgkmcnt(0)
	s_cmp_eq_u32 s35, -1
	s_cbranch_scc1 .LBB16_66
; %bb.18:                               ;   in Loop: Header=BB16_17 Depth=1
	s_add_u32 s36, s16, s30
	s_mul_i32 s38, s28, s41
	s_addc_u32 s37, s17, s31
	v_mov_b32_e32 v2, 0
	v_add_u32_e32 v19, s38, v17
	s_and_saveexec_b64 s[38:39], s[24:25]
	s_cbranch_execz .LBB16_20
; %bb.19:                               ;   in Loop: Header=BB16_17 Depth=1
	v_mad_u64_u32 v[2:3], s[44:45], v19, s41, v[0:1]
	v_ashrrev_i32_e32 v3, 31, v2
	v_lshl_add_u64 v[2:3], v[2:3], 2, s[20:21]
	global_load_dword v2, v[2:3], off
.LBB16_20:                              ;   in Loop: Header=BB16_17 Depth=1
	s_or_b64 exec, exec, s[38:39]
	s_load_dword s36, s[36:37], 0x0
	ds_read_b32 v3, v18 offset:1024
	s_mov_b32 s37, 0
	s_waitcnt vmcnt(0)
	ds_write_b32 v10, v2
	s_waitcnt lgkmcnt(0)
	s_sub_i32 s36, s36, s13
	s_cmp_le_i32 s36, s35
	v_cmp_ge_i32_e32 vcc, s34, v3
	s_cselect_b64 s[38:39], -1, 0
	s_and_b64 s[38:39], s[38:39], vcc
	s_andn2_b64 vcc, exec, s[38:39]
	s_cbranch_vccnz .LBB16_32
; %bb.21:                               ;   in Loop: Header=BB16_17 Depth=1
	s_mov_b32 s44, 0
	s_mov_b32 s45, 0
.LBB16_22:                              ;   Parent Loop BB16_17 Depth=1
                                        ; =>  This Inner Loop Header: Depth=2
	s_ashr_i32 s37, s36, 31
	s_lshl_b64 s[38:39], s[36:37], 2
	s_add_u32 s38, s18, s38
	s_addc_u32 s39, s19, s39
	s_load_dword s37, s[38:39], 0x0
	s_lshl_b32 s38, s45, 2
	v_mov_b32_e32 v2, s38
	ds_read_b32 v2, v2 offset:1024
	s_mov_b64 s[38:39], -1
	s_waitcnt lgkmcnt(0)
	s_sub_i32 s49, s37, s13
                                        ; implicit-def: $sgpr37
                                        ; implicit-def: $sgpr48
                                        ; implicit-def: $sgpr47
	v_cmp_ge_i32_e32 vcc, s49, v2
	v_readfirstlane_b32 s46, v2
	s_cbranch_vccz .LBB16_28
; %bb.23:                               ;   in Loop: Header=BB16_22 Depth=2
	s_cmp_le_i32 s49, s46
                                        ; implicit-def: $sgpr37
                                        ; implicit-def: $sgpr48
                                        ; implicit-def: $sgpr47
	s_cbranch_scc0 .LBB16_25
; %bb.24:                               ;   in Loop: Header=BB16_22 Depth=2
	s_add_i32 s37, s45, s40
	s_mul_i32 s37, s37, s43
	s_lshl_b32 s38, s44, 2
	v_mov_b32_e32 v3, s37
	s_mul_i32 s37, s36, s43
	v_mov_b32_e32 v2, s38
	v_mov_b32_e32 v4, s37
	ds_write2st64_b32 v2, v4, v3 offset1:2
	s_add_i32 s47, s45, 1
	s_add_i32 s48, s36, 1
	;; [unrolled: 1-line block ×3, first 2 shown]
	s_mov_b64 s[38:39], 0
.LBB16_25:                              ;   in Loop: Header=BB16_22 Depth=2
	s_andn2_b64 vcc, exec, s[38:39]
	s_cbranch_vccnz .LBB16_27
; %bb.26:                               ;   in Loop: Header=BB16_22 Depth=2
	s_add_i32 s47, s45, 1
	s_mov_b32 s37, s44
	s_mov_b32 s48, s36
.LBB16_27:                              ;   in Loop: Header=BB16_22 Depth=2
	s_mov_b64 s[38:39], 0
.LBB16_28:                              ;   in Loop: Header=BB16_22 Depth=2
	s_andn2_b64 vcc, exec, s[38:39]
	s_cbranch_vccnz .LBB16_30
; %bb.29:                               ;   in Loop: Header=BB16_22 Depth=2
	s_add_i32 s48, s36, 1
	s_mov_b32 s47, s45
	s_mov_b32 s37, s44
.LBB16_30:                              ;   in Loop: Header=BB16_22 Depth=2
	s_cmp_le_i32 s48, s35
	s_cselect_b64 s[38:39], -1, 0
	s_cmp_le_i32 s46, s34
	s_cselect_b64 s[44:45], -1, 0
	s_and_b64 s[38:39], s[38:39], s[44:45]
	s_and_b64 vcc, exec, s[38:39]
	s_cbranch_vccz .LBB16_32
; %bb.31:                               ;   in Loop: Header=BB16_22 Depth=2
	s_mov_b32 s44, s37
	s_mov_b32 s36, s48
	;; [unrolled: 1-line block ×3, first 2 shown]
	s_branch .LBB16_22
.LBB16_32:                              ;   in Loop: Header=BB16_17 Depth=1
	s_add_u32 s30, s10, s30
	s_addc_u32 s31, s11, s31
	s_waitcnt lgkmcnt(0)
.LBB16_33:                              ;   Parent Loop BB16_17 Depth=1
                                        ; =>  This Inner Loop Header: Depth=2
	global_load_dword v2, v18, s[30:31] sc1
	s_waitcnt vmcnt(0)
	v_cmp_eq_u32_e32 vcc, 0, v2
	s_cbranch_vccnz .LBB16_33
; %bb.34:                               ;   in Loop: Header=BB16_17 Depth=1
	v_mov_b32_e32 v3, 0
	v_mov_b32_e32 v2, 0
	buffer_inv sc1
	s_and_saveexec_b64 s[30:31], s[24:25]
	s_cbranch_execz .LBB16_36
; %bb.35:                               ;   in Loop: Header=BB16_17 Depth=1
	s_mul_i32 s35, s35, s41
	v_add_u32_e32 v2, s35, v17
	v_mad_u64_u32 v[4:5], s[34:35], v2, s41, v[0:1]
	v_ashrrev_i32_e32 v5, 31, v4
	v_lshl_add_u64 v[4:5], v[4:5], 2, s[20:21]
	global_load_dword v2, v[4:5], off
.LBB16_36:                              ;   in Loop: Header=BB16_17 Depth=1
	s_or_b64 exec, exec, s[30:31]
	s_cmp_lt_i32 s37, 2
	s_waitcnt vmcnt(0)
	ds_write_b32 v11, v2
	s_waitcnt lgkmcnt(0)
	s_cbranch_scc1 .LBB16_55
; %bb.37:                               ;   in Loop: Header=BB16_17 Depth=1
	s_add_i32 s34, s37, -2
	s_mov_b32 s35, 0
	v_mov_b32_e32 v20, 0
	s_andn2_b64 vcc, exec, s[26:27]
	s_cbranch_vccz .LBB16_40
	s_branch .LBB16_39
.LBB16_38:                              ;   in Loop: Header=BB16_17 Depth=1
	v_mov_b32_e32 v20, v3
	s_mov_b32 s35, s30
	s_andn2_b64 vcc, exec, s[26:27]
	s_cbranch_vccz .LBB16_40
.LBB16_39:                              ;   in Loop: Header=BB16_17 Depth=1
	v_mov_b32_e32 v3, v20
	s_branch .LBB16_54
.LBB16_40:                              ;   in Loop: Header=BB16_17 Depth=1
	s_lshl_b32 s30, s35, 2
	v_mov_b32_e32 v2, s30
	ds_read2st64_b32 v[4:5], v2 offset1:2
	s_mov_b32 s36, 0
	s_waitcnt lgkmcnt(0)
	v_add_u32_e32 v21, v4, v12
	v_add_u32_e32 v22, v5, v13
	;; [unrolled: 1-line block ×4, first 2 shown]
	s_mov_b64 s[30:31], -1
	s_and_b64 vcc, exec, s[22:23]
                                        ; implicit-def: $vgpr3
	s_cbranch_vccz .LBB16_47
	s_branch .LBB16_42
.LBB16_41:                              ;   in Loop: Header=BB16_47 Depth=2
	v_mov_b32_e32 v20, v3
	s_mov_b64 s[30:31], -1
	s_and_b64 vcc, exec, s[22:23]
                                        ; implicit-def: $vgpr3
	s_cbranch_vccz .LBB16_47
.LBB16_42:                              ;   in Loop: Header=BB16_17 Depth=1
	v_mov_b32_e32 v3, 0
	v_mov_b32_e32 v5, 0
	s_and_saveexec_b64 s[30:31], s[0:1]
	s_cbranch_execz .LBB16_44
; %bb.43:                               ;   in Loop: Header=BB16_17 Depth=1
	v_ashrrev_i32_e32 v5, 31, v4
	v_lshl_add_u64 v[24:25], v[4:5], 2, s[20:21]
	global_load_dword v5, v[24:25], off
.LBB16_44:                              ;   in Loop: Header=BB16_17 Depth=1
	s_or_b64 exec, exec, s[30:31]
	s_and_saveexec_b64 s[30:31], s[2:3]
	s_cbranch_execz .LBB16_46
; %bb.45:                               ;   in Loop: Header=BB16_17 Depth=1
	v_ashrrev_i32_e32 v3, 31, v2
	v_lshl_add_u64 v[24:25], v[2:3], 2, s[20:21]
	global_load_dword v3, v[24:25], off
.LBB16_46:                              ;   in Loop: Header=BB16_17 Depth=1
	s_or_b64 exec, exec, s[30:31]
	s_waitcnt vmcnt(0)
	v_fma_f32 v3, v5, v3, v20
	s_mov_b64 s[30:31], 0
.LBB16_47:                              ;   Parent Loop BB16_17 Depth=1
                                        ; =>  This Inner Loop Header: Depth=2
	s_and_b64 vcc, exec, s[30:31]
	s_cbranch_vccz .LBB16_53
; %bb.48:                               ;   in Loop: Header=BB16_47 Depth=2
	v_mov_b32_e32 v3, 0
	v_mov_b32_e32 v5, 0
	s_and_saveexec_b64 s[30:31], s[0:1]
	s_cbranch_execz .LBB16_50
; %bb.49:                               ;   in Loop: Header=BB16_47 Depth=2
	v_add_u32_e32 v24, s36, v21
	v_ashrrev_i32_e32 v25, 31, v24
	v_lshl_add_u64 v[24:25], v[24:25], 2, s[20:21]
	global_load_dword v5, v[24:25], off
.LBB16_50:                              ;   in Loop: Header=BB16_47 Depth=2
	s_or_b64 exec, exec, s[30:31]
	s_and_saveexec_b64 s[30:31], s[2:3]
	s_cbranch_execz .LBB16_52
; %bb.51:                               ;   in Loop: Header=BB16_47 Depth=2
	v_add_u32_e32 v24, s36, v22
	v_ashrrev_i32_e32 v25, 31, v24
	v_lshl_add_u64 v[24:25], v[24:25], 2, s[20:21]
	global_load_dword v3, v[24:25], off
.LBB16_52:                              ;   in Loop: Header=BB16_47 Depth=2
	s_or_b64 exec, exec, s[30:31]
	s_waitcnt vmcnt(0)
	v_fmac_f32_e32 v20, v5, v3
	v_mov_b32_e32 v3, v20
.LBB16_53:                              ;   in Loop: Header=BB16_47 Depth=2
	s_add_i32 s36, s36, 1
	v_add_u32_e32 v2, s41, v2
	s_cmp_eq_u32 s41, s36
	v_add_u32_e32 v4, s41, v4
	s_cbranch_scc0 .LBB16_41
.LBB16_54:                              ;   in Loop: Header=BB16_17 Depth=1
	s_add_i32 s30, s35, 1
	s_cmp_eq_u32 s35, s34
	s_cbranch_scc0 .LBB16_38
.LBB16_55:                              ;   in Loop: Header=BB16_17 Depth=1
	s_andn2_b64 vcc, exec, s[26:27]
	ds_write_b32 v15, v3
	s_waitcnt lgkmcnt(0)
	s_cbranch_vccnz .LBB16_64
; %bb.56:                               ;   in Loop: Header=BB16_17 Depth=1
	s_mov_b32 s36, 0
	s_movk_i32 s37, 0x600
	v_mov_b32_e32 v21, s29
	s_branch .LBB16_58
.LBB16_57:                              ;   in Loop: Header=BB16_58 Depth=2
	s_waitcnt lgkmcnt(0)
	v_sub_f32_e32 v3, v3, v5
	v_div_scale_f32 v5, s[30:31], v4, v4, v3
	v_rcp_f32_e32 v20, v5
	v_div_scale_f32 v22, vcc, v3, v4, v3
	s_add_i32 s37, s37, 36
	v_fma_f32 v24, -v5, v20, 1.0
	v_fmac_f32_e32 v20, v24, v20
	v_mul_f32_e32 v24, v22, v20
	v_fma_f32 v25, -v5, v24, v22
	v_fmac_f32_e32 v24, v25, v20
	v_fma_f32 v5, -v5, v24, v22
	v_div_fmas_f32 v5, v5, v20, v24
	v_div_fixup_f32 v3, v5, v4, v3
	ds_write_b32 v2, v3
	v_lshl_add_u32 v2, s36, 2, v16
	s_waitcnt lgkmcnt(0)
	ds_read_b32 v2, v2
	ds_read_b32 v4, v1
	s_add_i32 s36, s36, 1
	s_cmp_eq_u32 s36, s41
	s_waitcnt lgkmcnt(0)
	v_fmac_f32_e32 v4, v3, v2
	ds_write_b32 v1, v4
	s_waitcnt lgkmcnt(0)
	s_cbranch_scc1 .LBB16_64
.LBB16_58:                              ;   Parent Loop BB16_17 Depth=1
                                        ; =>  This Loop Header: Depth=2
                                        ;       Child Loop BB16_63 Depth 3
	s_lshl_b32 s29, s36, 2
	s_mul_i32 s30, s36, 36
	s_add_i32 s30, s30, s29
	v_mov_b32_e32 v2, s30
	ds_read_b32 v4, v2 offset:1536
	v_add_u32_e32 v2, s29, v9
	ds_read_b32 v3, v2
	s_waitcnt lgkmcnt(1)
	v_cmp_neq_f32_e32 vcc, 0, v4
	s_nop 1
	v_cndmask_b32_e32 v4, 1.0, v4, vcc
	s_nor_b64 s[34:35], vcc, s[4:5]
	s_and_saveexec_b64 s[30:31], s[34:35]
	s_cbranch_execz .LBB16_62
; %bb.59:                               ;   in Loop: Header=BB16_58 Depth=2
	v_mbcnt_lo_u32_b32 v4, exec_lo, 0
	v_mbcnt_hi_u32_b32 v4, exec_hi, v4
	v_cmp_eq_u32_e32 vcc, 0, v4
	s_and_saveexec_b64 s[34:35], vcc
	s_cbranch_execz .LBB16_61
; %bb.60:                               ;   in Loop: Header=BB16_58 Depth=2
	global_atomic_smin v18, v21, s[14:15]
.LBB16_61:                              ;   in Loop: Header=BB16_58 Depth=2
	s_or_b64 exec, exec, s[34:35]
	v_mov_b32_e32 v4, 1.0
.LBB16_62:                              ;   in Loop: Header=BB16_58 Depth=2
	s_or_b64 exec, exec, s[30:31]
	v_lshl_add_u32 v5, s36, 2, v14
	ds_read_b32 v5, v5
	s_cmp_eq_u32 s36, 0
	v_mov_b32_e32 v20, v9
	s_mov_b32 s29, s37
	s_mov_b32 s30, s36
	s_cbranch_scc1 .LBB16_57
.LBB16_63:                              ;   Parent Loop BB16_17 Depth=1
                                        ;     Parent Loop BB16_58 Depth=2
                                        ; =>    This Inner Loop Header: Depth=3
	v_mov_b32_e32 v22, s29
	ds_read_b32 v24, v20
	ds_read_b32 v22, v22
	s_add_i32 s30, s30, -1
	s_add_i32 s29, s29, 4
	v_add_u32_e32 v20, 4, v20
	s_cmp_eq_u32 s30, 0
	s_waitcnt lgkmcnt(0)
	v_fmac_f32_e32 v5, v22, v24
	s_cbranch_scc0 .LBB16_63
	s_branch .LBB16_57
.LBB16_64:                              ;   in Loop: Header=BB16_17 Depth=1
	s_and_saveexec_b64 s[30:31], s[24:25]
	s_cbranch_execz .LBB16_16
; %bb.65:                               ;   in Loop: Header=BB16_17 Depth=1
	ds_read_b32 v4, v10
	v_mad_u64_u32 v[2:3], s[34:35], v19, s41, v[0:1]
	v_ashrrev_i32_e32 v3, 31, v2
	v_lshl_add_u64 v[2:3], v[2:3], 2, s[20:21]
	s_waitcnt lgkmcnt(0)
	global_store_dword v[2:3], v4, off
	s_branch .LBB16_16
.LBB16_66:                              ;   in Loop: Header=BB16_17 Depth=1
                                        ; implicit-def: $sgpr28
	s_cbranch_execz .LBB16_17
.LBB16_67:
	s_cmp_eq_u32 s42, 0
	s_cselect_b64 vcc, -1, 0
	v_max_i32_e32 v0, v6, v7
	v_cndmask_b32_e32 v2, v6, v7, vcc
	s_mul_i32 s33, s33, s41
	v_cmp_gt_i32_e64 s[0:1], s41, v0
	v_cndmask_b32_e32 v0, v7, v6, vcc
	v_add_u32_e32 v2, s33, v2
	s_and_saveexec_b64 s[2:3], s[0:1]
	s_cbranch_execz .LBB16_69
; %bb.68:
	v_mad_u64_u32 v[4:5], s[4:5], v2, s41, v[0:1]
	v_ashrrev_i32_e32 v5, 31, v4
	v_lshl_add_u64 v[4:5], v[4:5], 2, s[20:21]
	global_load_dword v23, v[4:5], off
.LBB16_69:
	s_or_b64 exec, exec, s[2:3]
	v_mov_b32_e32 v3, 0x840
	v_mad_u32_u24 v4, v7, 36, v3
	v_lshl_add_u32 v3, v6, 2, v4
	s_cmp_lt_i32 s41, 1
	s_waitcnt vmcnt(0)
	ds_write_b32 v3, v23
	s_waitcnt lgkmcnt(0)
	s_cbranch_scc1 .LBB16_102
; %bb.70:
	v_or_b32_e32 v5, v6, v7
	s_add_i32 s16, s12, s13
	v_lshlrev_b32_e32 v9, 2, v7
	s_mov_b32 s17, 0
	v_cmp_ne_u32_e64 s[2:3], 0, v5
	v_add_u32_e32 v5, v4, v9
	s_cmp_eq_u32 s41, 1
	v_add_u32_e32 v9, v8, v9
	s_cbranch_scc1 .LBB16_92
; %bb.71:
	v_mov_b32_e32 v10, 0x840
	s_and_b32 s17, s41, 0x7ffffffe
	s_movk_i32 s18, 0x840
	v_mad_u32_u24 v10, v6, 36, v10
	s_mov_b32 s4, 0
	s_mov_b32 s19, 0xf800000
	v_mov_b32_e32 v11, 0x260
	v_mov_b32_e32 v12, 0
	;; [unrolled: 1-line block ×4, first 2 shown]
	s_branch .LBB16_73
.LBB16_72:                              ;   in Loop: Header=BB16_73 Depth=1
	s_or_b64 exec, exec, s[4:5]
	s_addk_i32 s18, 0x50
	s_add_i32 s4, s23, 1
	v_add_u32_e32 v10, 8, v10
	s_cmp_eq_u32 s4, s17
	v_add_u32_e32 v13, 8, v13
	s_waitcnt lgkmcnt(0)
	s_cbranch_scc1 .LBB16_91
.LBB16_73:                              ; =>This Inner Loop Header: Depth=1
	s_mov_b32 s22, s4
	v_cmp_eq_u32_e32 vcc, s22, v7
	s_and_saveexec_b64 s[8:9], vcc
	s_cbranch_execz .LBB16_75
; %bb.74:                               ;   in Loop: Header=BB16_73 Depth=1
	ds_read_b32 v14, v5
	ds_read_b32 v16, v9
	s_waitcnt lgkmcnt(0)
	v_sub_f32_e32 v14, v14, v16
	v_cmp_gt_f32_e32 vcc, 0, v14
	s_nop 1
	v_cndmask_b32_e64 v14, v14, -v14, vcc
	v_mul_f32_e32 v16, 0x4f800000, v14
	v_cmp_gt_f32_e32 vcc, s19, v14
	s_nop 1
	v_cndmask_b32_e32 v14, v14, v16, vcc
	v_sqrt_f32_e32 v16, v14
	s_nop 0
	v_add_u32_e32 v17, -1, v16
	v_add_u32_e32 v18, 1, v16
	v_fma_f32 v19, -v17, v16, v14
	v_fma_f32 v20, -v18, v16, v14
	v_cmp_ge_f32_e64 s[4:5], 0, v19
	s_nop 1
	v_cndmask_b32_e64 v16, v16, v17, s[4:5]
	v_cmp_lt_f32_e64 s[4:5], 0, v20
	s_nop 1
	v_cndmask_b32_e64 v16, v16, v18, s[4:5]
	v_mul_f32_e32 v17, 0x37800000, v16
	v_cndmask_b32_e32 v16, v16, v17, vcc
	v_cmp_class_f32_e32 vcc, v14, v11
	s_nop 1
	v_cndmask_b32_e32 v14, v16, v14, vcc
	ds_write_b32 v5, v14
.LBB16_75:                              ;   in Loop: Header=BB16_73 Depth=1
	s_or_b64 exec, exec, s[8:9]
	v_mov_b32_e32 v14, s18
	s_waitcnt lgkmcnt(0)
	ds_read_b32 v14, v14
	s_waitcnt lgkmcnt(0)
	v_cmp_neq_f32_e32 vcc, 0, v14
	s_nop 1
	v_cndmask_b32_e32 v14, 1.0, v14, vcc
	s_nor_b64 s[8:9], vcc, s[2:3]
	s_and_saveexec_b64 s[4:5], s[8:9]
	s_cbranch_execz .LBB16_79
; %bb.76:                               ;   in Loop: Header=BB16_73 Depth=1
	v_mbcnt_lo_u32_b32 v14, exec_lo, 0
	v_mbcnt_hi_u32_b32 v14, exec_hi, v14
	v_cmp_eq_u32_e32 vcc, 0, v14
	s_and_saveexec_b64 s[8:9], vcc
	s_cbranch_execz .LBB16_78
; %bb.77:                               ;   in Loop: Header=BB16_73 Depth=1
	global_atomic_smin v12, v15, s[14:15]
.LBB16_78:                              ;   in Loop: Header=BB16_73 Depth=1
	s_or_b64 exec, exec, s[8:9]
	v_mov_b32_e32 v14, 1.0
.LBB16_79:                              ;   in Loop: Header=BB16_73 Depth=1
	s_or_b64 exec, exec, s[4:5]
	v_cmp_lt_u32_e32 vcc, s22, v7
	s_and_saveexec_b64 s[4:5], vcc
	s_cbranch_execz .LBB16_81
; %bb.80:                               ;   in Loop: Header=BB16_73 Depth=1
	ds_read2_b32 v[16:17], v13 offset1:72
	s_waitcnt lgkmcnt(0)
	v_sub_f32_e32 v16, v16, v17
	v_div_scale_f32 v17, s[8:9], v14, v14, v16
	v_rcp_f32_e32 v18, v17
	v_div_scale_f32 v19, vcc, v16, v14, v16
	v_fma_f32 v20, -v17, v18, 1.0
	v_fmac_f32_e32 v18, v20, v18
	v_mul_f32_e32 v20, v19, v18
	v_fma_f32 v21, -v17, v20, v19
	v_fmac_f32_e32 v20, v21, v18
	v_fma_f32 v17, -v17, v20, v19
	v_div_fmas_f32 v17, v17, v18, v20
	v_div_fixup_f32 v14, v17, v14, v16
	ds_write_b32 v13, v14
	s_waitcnt lgkmcnt(0)
	ds_read_b32 v16, v10
	ds_read_b32 v17, v1
	s_waitcnt lgkmcnt(0)
	v_fmac_f32_e32 v17, v14, v16
	ds_write_b32 v1, v17
.LBB16_81:                              ;   in Loop: Header=BB16_73 Depth=1
	s_or_b64 exec, exec, s[4:5]
	s_add_i32 s23, s22, 1
	v_cmp_eq_u32_e32 vcc, s23, v7
	s_waitcnt lgkmcnt(0)
	s_and_saveexec_b64 s[8:9], vcc
	s_cbranch_execz .LBB16_83
; %bb.82:                               ;   in Loop: Header=BB16_73 Depth=1
	ds_read_b32 v14, v5
	ds_read_b32 v16, v9
	s_waitcnt lgkmcnt(0)
	v_sub_f32_e32 v14, v14, v16
	v_cmp_gt_f32_e32 vcc, 0, v14
	s_nop 1
	v_cndmask_b32_e64 v14, v14, -v14, vcc
	v_mul_f32_e32 v16, 0x4f800000, v14
	v_cmp_gt_f32_e32 vcc, s19, v14
	s_nop 1
	v_cndmask_b32_e32 v14, v14, v16, vcc
	v_sqrt_f32_e32 v16, v14
	s_nop 0
	v_add_u32_e32 v17, -1, v16
	v_add_u32_e32 v18, 1, v16
	v_fma_f32 v19, -v17, v16, v14
	v_fma_f32 v20, -v18, v16, v14
	v_cmp_ge_f32_e64 s[4:5], 0, v19
	s_nop 1
	v_cndmask_b32_e64 v16, v16, v17, s[4:5]
	v_cmp_lt_f32_e64 s[4:5], 0, v20
	s_nop 1
	v_cndmask_b32_e64 v16, v16, v18, s[4:5]
	v_mul_f32_e32 v17, 0x37800000, v16
	v_cndmask_b32_e32 v16, v16, v17, vcc
	v_cmp_class_f32_e32 vcc, v14, v11
	s_nop 1
	v_cndmask_b32_e32 v14, v16, v14, vcc
	ds_write_b32 v5, v14
.LBB16_83:                              ;   in Loop: Header=BB16_73 Depth=1
	s_or_b64 exec, exec, s[8:9]
	v_mov_b32_e32 v14, s18
	s_waitcnt lgkmcnt(0)
	ds_read_b32 v14, v14 offset:40
	s_waitcnt lgkmcnt(0)
	v_cmp_neq_f32_e32 vcc, 0, v14
	s_nop 1
	v_cndmask_b32_e32 v14, 1.0, v14, vcc
	s_nor_b64 s[8:9], vcc, s[2:3]
	s_and_saveexec_b64 s[4:5], s[8:9]
	s_cbranch_execz .LBB16_87
; %bb.84:                               ;   in Loop: Header=BB16_73 Depth=1
	v_mbcnt_lo_u32_b32 v14, exec_lo, 0
	v_mbcnt_hi_u32_b32 v14, exec_hi, v14
	v_cmp_eq_u32_e32 vcc, 0, v14
	s_and_saveexec_b64 s[8:9], vcc
	s_cbranch_execz .LBB16_86
; %bb.85:                               ;   in Loop: Header=BB16_73 Depth=1
	global_atomic_smin v12, v15, s[14:15]
.LBB16_86:                              ;   in Loop: Header=BB16_73 Depth=1
	s_or_b64 exec, exec, s[8:9]
	v_mov_b32_e32 v14, 1.0
.LBB16_87:                              ;   in Loop: Header=BB16_73 Depth=1
	s_or_b64 exec, exec, s[4:5]
	v_cmp_lt_u32_e32 vcc, s23, v7
	s_and_saveexec_b64 s[4:5], vcc
	s_cbranch_execz .LBB16_72
; %bb.88:                               ;   in Loop: Header=BB16_73 Depth=1
	ds_read2_b32 v[16:17], v13 offset0:1 offset1:73
	s_waitcnt lgkmcnt(0)
	v_sub_f32_e32 v16, v16, v17
	v_div_scale_f32 v17, s[8:9], v14, v14, v16
	v_rcp_f32_e32 v18, v17
	v_div_scale_f32 v19, vcc, v16, v14, v16
	v_fma_f32 v20, -v17, v18, 1.0
	v_fmac_f32_e32 v18, v20, v18
	v_mul_f32_e32 v20, v19, v18
	v_fma_f32 v21, -v17, v20, v19
	v_fmac_f32_e32 v20, v21, v18
	v_fma_f32 v17, -v17, v20, v19
	v_div_fmas_f32 v17, v17, v18, v20
	v_div_fixup_f32 v14, v17, v14, v16
	ds_write_b32 v13, v14 offset:4
	s_waitcnt lgkmcnt(0)
	ds_read_b32 v16, v10 offset:4
	ds_read_b32 v17, v1
	s_waitcnt lgkmcnt(0)
	v_fmac_f32_e32 v17, v14, v16
	ds_write_b32 v1, v17
	s_branch .LBB16_72
.LBB16_89:
	s_cbranch_execnz .LBB16_107
.LBB16_90:
	s_endpgm
.LBB16_91:
	s_add_i32 s17, s22, 2
.LBB16_92:
	s_bitcmp0_b32 s41, 0
	s_cbranch_scc1 .LBB16_102
; %bb.93:
	v_cmp_eq_u32_e32 vcc, s17, v7
	s_and_saveexec_b64 s[8:9], vcc
	s_cbranch_execz .LBB16_95
; %bb.94:
	ds_read_b32 v10, v5
	ds_read_b32 v9, v9
	s_mov_b32 s4, 0xf800000
	s_waitcnt lgkmcnt(0)
	v_sub_f32_e32 v9, v10, v9
	v_cmp_gt_f32_e32 vcc, 0, v9
	s_nop 1
	v_cndmask_b32_e64 v9, v9, -v9, vcc
	v_mul_f32_e32 v10, 0x4f800000, v9
	v_cmp_gt_f32_e32 vcc, s4, v9
	s_nop 1
	v_cndmask_b32_e32 v9, v9, v10, vcc
	v_sqrt_f32_e32 v10, v9
	s_nop 0
	v_add_u32_e32 v11, -1, v10
	v_add_u32_e32 v12, 1, v10
	v_fma_f32 v13, -v11, v10, v9
	v_fma_f32 v14, -v12, v10, v9
	v_cmp_ge_f32_e64 s[4:5], 0, v13
	s_nop 1
	v_cndmask_b32_e64 v10, v10, v11, s[4:5]
	v_cmp_lt_f32_e64 s[4:5], 0, v14
	s_nop 1
	v_cndmask_b32_e64 v10, v10, v12, s[4:5]
	v_mul_f32_e32 v11, 0x37800000, v10
	v_cndmask_b32_e32 v10, v10, v11, vcc
	v_mov_b32_e32 v11, 0x260
	v_cmp_class_f32_e32 vcc, v9, v11
	s_nop 1
	v_cndmask_b32_e32 v9, v10, v9, vcc
	ds_write_b32 v5, v9
.LBB16_95:
	s_or_b64 exec, exec, s[8:9]
	s_mul_i32 s4, s17, 36
	s_lshl_b32 s8, s17, 2
	s_add_i32 s4, s4, s8
	v_mov_b32_e32 v5, s4
	s_waitcnt lgkmcnt(0)
	ds_read_b32 v5, v5 offset:2112
	s_waitcnt lgkmcnt(0)
	v_cmp_neq_f32_e32 vcc, 0, v5
	s_nop 1
	v_cndmask_b32_e32 v5, 1.0, v5, vcc
	s_nor_b64 s[4:5], vcc, s[2:3]
	s_and_saveexec_b64 s[2:3], s[4:5]
	s_cbranch_execz .LBB16_99
; %bb.96:
	v_mbcnt_lo_u32_b32 v5, exec_lo, 0
	v_mbcnt_hi_u32_b32 v5, exec_hi, v5
	v_cmp_eq_u32_e32 vcc, 0, v5
	s_and_saveexec_b64 s[4:5], vcc
	s_cbranch_execz .LBB16_98
; %bb.97:
	v_mov_b32_e32 v5, 0
	v_mov_b32_e32 v9, s16
	global_atomic_smin v5, v9, s[14:15]
.LBB16_98:
	s_or_b64 exec, exec, s[4:5]
	v_mov_b32_e32 v5, 1.0
.LBB16_99:
	s_or_b64 exec, exec, s[2:3]
	v_cmp_lt_u32_e32 vcc, s17, v7
	s_and_saveexec_b64 s[2:3], vcc
	s_cbranch_execz .LBB16_101
; %bb.100:
	v_add_u32_e32 v4, s8, v4
	v_add_u32_e32 v8, s8, v8
	ds_read_b32 v9, v4
	ds_read_b32 v8, v8
	s_waitcnt lgkmcnt(0)
	v_sub_f32_e32 v8, v9, v8
	v_div_scale_f32 v9, s[4:5], v5, v5, v8
	v_rcp_f32_e32 v10, v9
	v_div_scale_f32 v11, vcc, v8, v5, v8
	v_fma_f32 v12, -v9, v10, 1.0
	v_fmac_f32_e32 v10, v12, v10
	v_mul_f32_e32 v12, v11, v10
	v_fma_f32 v13, -v9, v12, v11
	v_fmac_f32_e32 v12, v13, v10
	v_fma_f32 v9, -v9, v12, v11
	v_div_fmas_f32 v9, v9, v10, v12
	v_div_fixup_f32 v5, v9, v5, v8
	ds_write_b32 v4, v5
	v_mad_u32_u24 v4, v6, 36, s8
	s_waitcnt lgkmcnt(0)
	ds_read_b32 v4, v4 offset:2112
	ds_read_b32 v8, v1
	s_waitcnt lgkmcnt(0)
	v_fmac_f32_e32 v8, v5, v4
	ds_write_b32 v1, v8
.LBB16_101:
	s_or_b64 exec, exec, s[2:3]
	s_waitcnt lgkmcnt(0)
.LBB16_102:
	s_and_saveexec_b64 s[2:3], s[0:1]
	s_cbranch_execz .LBB16_104
; %bb.103:
	ds_read_b32 v3, v3
	v_mad_u64_u32 v[0:1], s[0:1], v2, s41, v[0:1]
	v_ashrrev_i32_e32 v1, 31, v0
	v_lshl_add_u64 v[0:1], v[0:1], 2, s[20:21]
	s_waitcnt lgkmcnt(0)
	global_store_dword v[0:1], v3, off
.LBB16_104:
	s_or_b64 exec, exec, s[2:3]
	v_or_b32_e32 v0, v6, v7
	v_cmp_eq_u32_e32 vcc, 0, v0
	s_and_saveexec_b64 s[0:1], vcc
	s_cbranch_execz .LBB16_106
; %bb.105:
	s_add_u32 s2, s10, s6
	s_addc_u32 s3, s11, s7
	v_mov_b32_e32 v0, 0
	v_mov_b32_e32 v1, 1
	buffer_wbl2 sc1
	s_waitcnt vmcnt(0)
	global_store_dword v0, v1, s[2:3] sc1
.LBB16_106:
	s_or_b64 exec, exec, s[0:1]
	s_branch .LBB16_90
.LBB16_107:
	v_or_b32_e32 v0, v6, v7
	v_cmp_eq_u32_e32 vcc, 0, v0
	s_and_saveexec_b64 s[0:1], vcc
	s_cbranch_execz .LBB16_90
; %bb.108:
	v_mbcnt_lo_u32_b32 v0, exec_lo, 0
	v_mbcnt_hi_u32_b32 v0, exec_hi, v0
	v_cmp_eq_u32_e32 vcc, 0, v0
	s_and_saveexec_b64 s[0:1], vcc
	s_cbranch_execz .LBB16_110
; %bb.109:
	s_add_i32 s2, s12, s13
	v_mov_b32_e32 v0, 0
	v_mov_b32_e32 v1, s2
	global_atomic_smin v0, v1, s[14:15]
.LBB16_110:
	s_or_b64 exec, exec, s[0:1]
	s_add_u32 s0, s10, s6
	s_addc_u32 s1, s11, s7
	v_mov_b32_e32 v0, 0
	v_mov_b32_e32 v1, 1
	buffer_wbl2 sc1
	s_waitcnt vmcnt(0)
	global_store_dword v0, v1, s[0:1] sc1
	s_endpgm
	.section	.rodata,"a",@progbits
	.p2align	6, 0x0
	.amdhsa_kernel _ZN9rocsparseL17bsric0_2_8_kernelILi64ELi128ELi8EfEEv20rocsparse_direction_iiPKiS3_PT2_S3_PiS3_S6_21rocsparse_index_base_
		.amdhsa_group_segment_fixed_size 2688
		.amdhsa_private_segment_fixed_size 0
		.amdhsa_kernarg_size 76
		.amdhsa_user_sgpr_count 2
		.amdhsa_user_sgpr_dispatch_ptr 0
		.amdhsa_user_sgpr_queue_ptr 0
		.amdhsa_user_sgpr_kernarg_segment_ptr 1
		.amdhsa_user_sgpr_dispatch_id 0
		.amdhsa_user_sgpr_kernarg_preload_length 0
		.amdhsa_user_sgpr_kernarg_preload_offset 0
		.amdhsa_user_sgpr_private_segment_size 0
		.amdhsa_uses_dynamic_stack 0
		.amdhsa_enable_private_segment 0
		.amdhsa_system_sgpr_workgroup_id_x 1
		.amdhsa_system_sgpr_workgroup_id_y 0
		.amdhsa_system_sgpr_workgroup_id_z 0
		.amdhsa_system_sgpr_workgroup_info 0
		.amdhsa_system_vgpr_workitem_id 1
		.amdhsa_next_free_vgpr 64
		.amdhsa_next_free_sgpr 50
		.amdhsa_accum_offset 64
		.amdhsa_reserve_vcc 1
		.amdhsa_float_round_mode_32 0
		.amdhsa_float_round_mode_16_64 0
		.amdhsa_float_denorm_mode_32 3
		.amdhsa_float_denorm_mode_16_64 3
		.amdhsa_dx10_clamp 1
		.amdhsa_ieee_mode 1
		.amdhsa_fp16_overflow 0
		.amdhsa_tg_split 0
		.amdhsa_exception_fp_ieee_invalid_op 0
		.amdhsa_exception_fp_denorm_src 0
		.amdhsa_exception_fp_ieee_div_zero 0
		.amdhsa_exception_fp_ieee_overflow 0
		.amdhsa_exception_fp_ieee_underflow 0
		.amdhsa_exception_fp_ieee_inexact 0
		.amdhsa_exception_int_div_zero 0
	.end_amdhsa_kernel
	.section	.text._ZN9rocsparseL17bsric0_2_8_kernelILi64ELi128ELi8EfEEv20rocsparse_direction_iiPKiS3_PT2_S3_PiS3_S6_21rocsparse_index_base_,"axG",@progbits,_ZN9rocsparseL17bsric0_2_8_kernelILi64ELi128ELi8EfEEv20rocsparse_direction_iiPKiS3_PT2_S3_PiS3_S6_21rocsparse_index_base_,comdat
.Lfunc_end16:
	.size	_ZN9rocsparseL17bsric0_2_8_kernelILi64ELi128ELi8EfEEv20rocsparse_direction_iiPKiS3_PT2_S3_PiS3_S6_21rocsparse_index_base_, .Lfunc_end16-_ZN9rocsparseL17bsric0_2_8_kernelILi64ELi128ELi8EfEEv20rocsparse_direction_iiPKiS3_PT2_S3_PiS3_S6_21rocsparse_index_base_
                                        ; -- End function
	.set _ZN9rocsparseL17bsric0_2_8_kernelILi64ELi128ELi8EfEEv20rocsparse_direction_iiPKiS3_PT2_S3_PiS3_S6_21rocsparse_index_base_.num_vgpr, 64
	.set _ZN9rocsparseL17bsric0_2_8_kernelILi64ELi128ELi8EfEEv20rocsparse_direction_iiPKiS3_PT2_S3_PiS3_S6_21rocsparse_index_base_.num_agpr, 0
	.set _ZN9rocsparseL17bsric0_2_8_kernelILi64ELi128ELi8EfEEv20rocsparse_direction_iiPKiS3_PT2_S3_PiS3_S6_21rocsparse_index_base_.numbered_sgpr, 50
	.set _ZN9rocsparseL17bsric0_2_8_kernelILi64ELi128ELi8EfEEv20rocsparse_direction_iiPKiS3_PT2_S3_PiS3_S6_21rocsparse_index_base_.num_named_barrier, 0
	.set _ZN9rocsparseL17bsric0_2_8_kernelILi64ELi128ELi8EfEEv20rocsparse_direction_iiPKiS3_PT2_S3_PiS3_S6_21rocsparse_index_base_.private_seg_size, 0
	.set _ZN9rocsparseL17bsric0_2_8_kernelILi64ELi128ELi8EfEEv20rocsparse_direction_iiPKiS3_PT2_S3_PiS3_S6_21rocsparse_index_base_.uses_vcc, 1
	.set _ZN9rocsparseL17bsric0_2_8_kernelILi64ELi128ELi8EfEEv20rocsparse_direction_iiPKiS3_PT2_S3_PiS3_S6_21rocsparse_index_base_.uses_flat_scratch, 0
	.set _ZN9rocsparseL17bsric0_2_8_kernelILi64ELi128ELi8EfEEv20rocsparse_direction_iiPKiS3_PT2_S3_PiS3_S6_21rocsparse_index_base_.has_dyn_sized_stack, 0
	.set _ZN9rocsparseL17bsric0_2_8_kernelILi64ELi128ELi8EfEEv20rocsparse_direction_iiPKiS3_PT2_S3_PiS3_S6_21rocsparse_index_base_.has_recursion, 0
	.set _ZN9rocsparseL17bsric0_2_8_kernelILi64ELi128ELi8EfEEv20rocsparse_direction_iiPKiS3_PT2_S3_PiS3_S6_21rocsparse_index_base_.has_indirect_call, 0
	.section	.AMDGPU.csdata,"",@progbits
; Kernel info:
; codeLenInByte = 4860
; TotalNumSgprs: 56
; NumVgprs: 64
; NumAgprs: 0
; TotalNumVgprs: 64
; ScratchSize: 0
; MemoryBound: 0
; FloatMode: 240
; IeeeMode: 1
; LDSByteSize: 2688 bytes/workgroup (compile time only)
; SGPRBlocks: 6
; VGPRBlocks: 7
; NumSGPRsForWavesPerEU: 56
; NumVGPRsForWavesPerEU: 64
; AccumOffset: 64
; Occupancy: 8
; WaveLimiterHint : 1
; COMPUTE_PGM_RSRC2:SCRATCH_EN: 0
; COMPUTE_PGM_RSRC2:USER_SGPR: 2
; COMPUTE_PGM_RSRC2:TRAP_HANDLER: 0
; COMPUTE_PGM_RSRC2:TGID_X_EN: 1
; COMPUTE_PGM_RSRC2:TGID_Y_EN: 0
; COMPUTE_PGM_RSRC2:TGID_Z_EN: 0
; COMPUTE_PGM_RSRC2:TIDIG_COMP_CNT: 1
; COMPUTE_PGM_RSRC3_GFX90A:ACCUM_OFFSET: 15
; COMPUTE_PGM_RSRC3_GFX90A:TG_SPLIT: 0
	.section	.text._ZN9rocsparseL18bsric0_9_16_kernelILi64ELi128ELi16EfEEv20rocsparse_direction_iiPKiS3_PT2_S3_PiS3_S6_21rocsparse_index_base_,"axG",@progbits,_ZN9rocsparseL18bsric0_9_16_kernelILi64ELi128ELi16EfEEv20rocsparse_direction_iiPKiS3_PT2_S3_PiS3_S6_21rocsparse_index_base_,comdat
	.globl	_ZN9rocsparseL18bsric0_9_16_kernelILi64ELi128ELi16EfEEv20rocsparse_direction_iiPKiS3_PT2_S3_PiS3_S6_21rocsparse_index_base_ ; -- Begin function _ZN9rocsparseL18bsric0_9_16_kernelILi64ELi128ELi16EfEEv20rocsparse_direction_iiPKiS3_PT2_S3_PiS3_S6_21rocsparse_index_base_
	.p2align	8
	.type	_ZN9rocsparseL18bsric0_9_16_kernelILi64ELi128ELi16EfEEv20rocsparse_direction_iiPKiS3_PT2_S3_PiS3_S6_21rocsparse_index_base_,@function
_ZN9rocsparseL18bsric0_9_16_kernelILi64ELi128ELi16EfEEv20rocsparse_direction_iiPKiS3_PT2_S3_PiS3_S6_21rocsparse_index_base_: ; @_ZN9rocsparseL18bsric0_9_16_kernelILi64ELi128ELi16EfEEv20rocsparse_direction_iiPKiS3_PT2_S3_PiS3_S6_21rocsparse_index_base_
; %bb.0:
	s_load_dwordx8 s[12:19], s[0:1], 0x28
	s_mov_b32 s3, 0
	s_lshl_b64 s[2:3], s[2:3], 2
	v_and_b32_e32 v6, 0x3ff, v0
	v_bfe_u32 v0, v0, 10, 10
	s_waitcnt lgkmcnt(0)
	s_add_u32 s2, s16, s2
	s_addc_u32 s3, s17, s3
	s_load_dword s16, s[2:3], 0x0
	s_waitcnt lgkmcnt(0)
	s_ashr_i32 s17, s16, 31
	s_lshl_b64 s[10:11], s[16:17], 2
	s_add_u32 s2, s12, s10
	s_addc_u32 s3, s13, s11
	s_load_dword s33, s[2:3], 0x0
	s_load_dword s17, s[0:1], 0x48
	s_waitcnt lgkmcnt(0)
	s_cmp_lg_u32 s33, -1
	s_cbranch_scc0 .LBB17_146
; %bb.1:
	s_load_dwordx4 s[20:23], s[0:1], 0x10
	s_load_dwordx2 s[24:25], s[0:1], 0x20
	v_lshlrev_b32_e32 v8, 2, v0
	v_lshlrev_b32_e32 v7, 2, v6
	s_waitcnt lgkmcnt(0)
	s_add_u32 s2, s20, s10
	s_addc_u32 s3, s21, s11
	s_load_dword s2, s[2:3], 0x0
	s_waitcnt lgkmcnt(0)
	s_sub_i32 s50, s2, s17
	v_add3_u32 v2, v8, v6, s50
	v_cmp_ge_i32_e32 vcc, s33, v2
	s_and_saveexec_b64 s[2:3], vcc
	s_cbranch_execz .LBB17_4
; %bb.2:
	v_lshlrev_b32_e32 v1, 4, v0
	v_lshlrev_b32_e32 v3, 2, v6
	s_movk_i32 s4, 0x1500
	v_add3_u32 v1, v1, v3, s4
	s_mov_b64 s[4:5], 0
.LBB17_3:                               ; =>This Inner Loop Header: Depth=1
	v_ashrrev_i32_e32 v3, 31, v2
	v_lshl_add_u64 v[4:5], v[2:3], 2, s[22:23]
	global_load_dword v3, v[4:5], off
	v_add_u32_e32 v2, 64, v2
	v_cmp_lt_i32_e32 vcc, s33, v2
	s_or_b64 s[4:5], vcc, s[4:5]
	s_waitcnt vmcnt(0)
	v_subrev_u32_e32 v3, s17, v3
	ds_write_b32 v1, v3
	v_add_u32_e32 v1, 0x100, v1
	s_andn2_b64 exec, exec, s[4:5]
	s_cbranch_execnz .LBB17_3
.LBB17_4:
	s_or_b64 exec, exec, s[2:3]
	v_cmp_gt_u32_e32 vcc, 16, v6
	s_and_saveexec_b64 s[4:5], vcc
	s_cbranch_execz .LBB17_11
; %bb.5:
	v_sub_u32_e64 v1, 12, v6 clamp
	v_add_u32_e32 v1, 3, v1
	v_lshrrev_b32_e32 v2, 2, v1
	v_add_u32_e32 v1, 2, v2
	v_mul_u32_u24_e32 v4, 0x44, v0
	v_lshlrev_b32_e32 v5, 2, v6
	s_movk_i32 s2, 0xcc0
	s_mov_b32 s6, 0
	v_and_b32_e32 v3, 14, v1
	v_mov_b32_e32 v1, v2
	v_add3_u32 v4, v4, v5, s2
	s_mov_b32 s7, 1
	s_mov_b64 s[8:9], 0
	v_mov_b32_e32 v5, 0
	s_mov_b32 s26, s6
	s_branch .LBB17_7
.LBB17_6:                               ;   in Loop: Header=BB17_7 Depth=1
	s_or_b64 exec, exec, s[2:3]
	s_add_i32 s26, s26, 2
	v_cmp_eq_u32_e32 vcc, s26, v3
	s_or_b64 s[8:9], vcc, s[8:9]
	v_add_u32_e32 v4, 32, v4
	s_andn2_b64 exec, exec, s[8:9]
	s_cbranch_execz .LBB17_11
.LBB17_7:                               ; =>This Inner Loop Header: Depth=1
	s_mov_b32 s27, s26
	s_or_b64 s[2:3], s[26:27], s[6:7]
	v_cmp_le_u32_e32 vcc, s3, v1
	v_cmp_le_u32_e64 s[2:3], s2, v2
	s_and_saveexec_b64 s[28:29], s[2:3]
; %bb.8:                                ;   in Loop: Header=BB17_7 Depth=1
	ds_write_b32 v4, v5
; %bb.9:                                ;   in Loop: Header=BB17_7 Depth=1
	s_or_b64 exec, exec, s[28:29]
	s_and_saveexec_b64 s[2:3], vcc
	s_cbranch_execz .LBB17_6
; %bb.10:                               ;   in Loop: Header=BB17_7 Depth=1
	ds_write_b32 v4, v5 offset:16
	s_branch .LBB17_6
.LBB17_11:
	s_or_b64 exec, exec, s[4:5]
	s_load_dword s48, s[0:1], 0x8
	s_load_dword s49, s[0:1], 0x0
	s_cmp_ge_i32 s50, s33
	s_waitcnt lgkmcnt(0)
	v_cmp_gt_i32_e64 s[0:1], s48, v6
	v_xad_u32 v1, v6, -1, s48
	s_cbranch_scc1 .LBB17_100
; %bb.12:
	s_movk_i32 s51, 0x44
	v_mov_b32_e32 v3, 0x440
	v_mad_u32_u24 v10, v0, s51, v3
	v_or_b32_e32 v3, v6, v0
	v_cmp_ne_u32_e64 s[4:5], 0, v3
	v_lshrrev_b32_e32 v3, 2, v1
	v_add_u32_e32 v3, 1, v3
	s_cmp_lg_u32 s49, 0
	v_mov_b32_e32 v2, 0x880
	v_and_b32_e32 v12, 0x7ffffffc, v3
	v_lshlrev_b32_e32 v14, 2, v6
	s_mul_i32 s30, s48, s50
	s_cselect_b64 s[26:27], -1, 0
	v_mad_u32_u24 v9, v0, s51, v2
	s_cmp_gt_i32 s48, 0
	v_cmp_ne_u32_e64 s[8:9], v3, v12
	v_mad_u32_u24 v15, v0, s51, v14
	v_add_u32_e32 v3, s30, v0
	v_mad_u32_u24 v20, v6, s51, v2
	v_mov_b32_e32 v2, 0xcc0
	v_cmp_gt_i32_e64 s[2:3], s48, v0
	s_mul_i32 s52, s48, s48
	v_mul_lo_u32 v11, s48, v0
	s_cselect_b64 s[28:29], -1, 0
	v_cmp_lt_u32_e64 s[6:7], 11, v1
	v_lshl_add_u32 v13, v12, 2, v6
	v_add_u32_e32 v16, 0x440, v15
	v_mul_lo_u32 v18, s48, v3
	v_mul_lo_u32 v17, v6, s48
	s_lshl_b32 s53, s48, 2
	v_mul_u32_u24_e32 v19, 0x44, v6
	v_add_u32_e32 v21, 0xcc0, v15
	v_mad_u32_u24 v22, v0, s51, v2
	v_add_u32_e32 v23, 0x880, v15
	v_mov_b32_e32 v24, 0
	s_mov_b32 s30, s50
	s_branch .LBB17_14
.LBB17_13:                              ;   in Loop: Header=BB17_14 Depth=1
	s_or_b64 exec, exec, s[34:35]
	s_add_i32 s30, s30, 1
	s_cmp_ge_i32 s30, s33
	buffer_wbl2 sc1
	s_waitcnt vmcnt(0)
	buffer_inv sc1
	v_add_u32_e32 v18, s52, v18
	s_cselect_b64 s[34:35], -1, 0
	s_and_b64 vcc, exec, s[34:35]
	s_cbranch_vccnz .LBB17_100
.LBB17_14:                              ; =>This Loop Header: Depth=1
                                        ;     Child Loop BB17_18 Depth 2
                                        ;     Child Loop BB17_30 Depth 2
	;; [unrolled: 1-line block ×5, first 2 shown]
                                        ;       Child Loop BB17_60 Depth 3
                                        ;     Child Loop BB17_74 Depth 2
                                        ;       Child Loop BB17_79 Depth 3
                                        ;       Child Loop BB17_83 Depth 3
	;; [unrolled: 1-line block ×3, first 2 shown]
                                        ;     Child Loop BB17_95 Depth 2
	s_ashr_i32 s31, s30, 31
	s_lshl_b64 s[34:35], s[30:31], 2
	s_add_u32 s34, s22, s34
	s_addc_u32 s35, s23, s35
	s_load_dword s54, s[34:35], 0x0
	s_waitcnt lgkmcnt(0)
	s_sub_i32 s36, s54, s17
	s_ashr_i32 s37, s36, 31
	s_lshl_b64 s[34:35], s[36:37], 2
	s_add_u32 s38, s12, s34
	s_addc_u32 s39, s13, s35
	s_load_dword s37, s[38:39], 0x0
	s_waitcnt lgkmcnt(0)
	s_cmp_eq_u32 s37, -1
	s_cbranch_scc1 .LBB17_99
; %bb.15:                               ;   in Loop: Header=BB17_14 Depth=1
	s_add_u32 s38, s20, s34
	s_addc_u32 s39, s21, s35
	s_load_dword s55, s[38:39], 0x0
	s_mul_i32 s31, s30, s48
	s_and_saveexec_b64 s[38:39], s[0:1]
	s_cbranch_execz .LBB17_28
; %bb.16:                               ;   in Loop: Header=BB17_14 Depth=1
	s_mov_b64 s[40:41], 0
	v_mov_b32_e32 v4, v16
	v_mov_b32_e32 v5, v6
	s_branch .LBB17_18
.LBB17_17:                              ;   in Loop: Header=BB17_18 Depth=2
	s_or_b64 exec, exec, s[44:45]
	v_add_u32_e32 v5, 4, v5
	v_cmp_le_i32_e32 vcc, s48, v5
	s_waitcnt vmcnt(0)
	ds_write_b32 v4, v3 offset:1088
	ds_write_b32 v4, v24
	s_or_b64 s[40:41], vcc, s[40:41]
	v_add_u32_e32 v4, 16, v4
	s_andn2_b64 exec, exec, s[40:41]
	s_cbranch_execz .LBB17_28
.LBB17_18:                              ;   Parent Loop BB17_14 Depth=1
                                        ; =>  This Inner Loop Header: Depth=2
	s_and_b64 vcc, exec, s[26:27]
	s_cbranch_vccz .LBB17_25
; %bb.19:                               ;   in Loop: Header=BB17_18 Depth=2
	s_mov_b64 s[44:45], 0
	s_mov_b64 s[42:43], 0
                                        ; implicit-def: $vgpr2
	s_and_saveexec_b64 s[46:47], s[2:3]
	s_xor_b64 s[46:47], exec, s[46:47]
; %bb.20:                               ;   in Loop: Header=BB17_18 Depth=2
	v_add_u32_e32 v2, s31, v5
	s_mov_b64 s[42:43], exec
	v_mad_u64_u32 v[2:3], s[56:57], v2, s48, v[0:1]
; %bb.21:                               ;   in Loop: Header=BB17_18 Depth=2
	s_or_b64 exec, exec, s[46:47]
	s_and_b64 vcc, exec, s[44:45]
	s_cbranch_vccz .LBB17_26
.LBB17_22:                              ;   in Loop: Header=BB17_18 Depth=2
                                        ; implicit-def: $vgpr2
	s_and_saveexec_b64 s[44:45], s[2:3]
; %bb.23:                               ;   in Loop: Header=BB17_18 Depth=2
	v_add_u32_e32 v2, v18, v5
	s_or_b64 s[42:43], s[42:43], exec
; %bb.24:                               ;   in Loop: Header=BB17_18 Depth=2
	s_or_b64 exec, exec, s[44:45]
	v_mov_b32_e32 v3, 0
	s_and_saveexec_b64 s[44:45], s[42:43]
	s_cbranch_execz .LBB17_17
	s_branch .LBB17_27
.LBB17_25:                              ;   in Loop: Header=BB17_18 Depth=2
	s_mov_b64 s[42:43], 0
                                        ; implicit-def: $vgpr2
	s_cbranch_execnz .LBB17_22
.LBB17_26:                              ;   in Loop: Header=BB17_18 Depth=2
	v_mov_b32_e32 v3, 0
	s_and_saveexec_b64 s[44:45], s[42:43]
	s_cbranch_execz .LBB17_17
.LBB17_27:                              ;   in Loop: Header=BB17_18 Depth=2
	v_ashrrev_i32_e32 v3, 31, v2
	v_lshl_add_u64 v[2:3], v[2:3], 2, s[24:25]
	global_load_dword v3, v[2:3], off
	s_branch .LBB17_17
.LBB17_28:                              ;   in Loop: Header=BB17_14 Depth=1
	s_or_b64 exec, exec, s[38:39]
	ds_read_b32 v2, v24 offset:5376
	s_waitcnt lgkmcnt(0)
	s_sub_i32 s38, s55, s17
	s_cmp_le_i32 s38, s37
	s_cselect_b64 s[40:41], -1, 0
	s_mov_b32 s44, 0
	v_cmp_ge_i32_e32 vcc, s36, v2
	s_and_b64 s[40:41], s[40:41], vcc
	s_andn2_b64 vcc, exec, s[40:41]
	s_cbranch_vccnz .LBB17_40
; %bb.29:                               ;   in Loop: Header=BB17_14 Depth=1
	s_mov_b32 s42, 0
	s_mov_b32 s43, 0
.LBB17_30:                              ;   Parent Loop BB17_14 Depth=1
                                        ; =>  This Inner Loop Header: Depth=2
	s_ashr_i32 s39, s38, 31
	s_lshl_b64 s[40:41], s[38:39], 2
	s_add_u32 s40, s22, s40
	s_addc_u32 s41, s23, s41
	s_load_dword s39, s[40:41], 0x0
	s_lshl_b32 s40, s43, 2
	v_mov_b32_e32 v2, s40
	ds_read_b32 v2, v2 offset:5376
	s_mov_b64 s[40:41], -1
	s_waitcnt lgkmcnt(0)
	s_sub_i32 s47, s39, s17
                                        ; implicit-def: $sgpr44
                                        ; implicit-def: $sgpr46
                                        ; implicit-def: $sgpr45
	v_cmp_ge_i32_e32 vcc, s47, v2
	v_readfirstlane_b32 s39, v2
	s_cbranch_vccz .LBB17_36
; %bb.31:                               ;   in Loop: Header=BB17_30 Depth=2
	s_cmp_le_i32 s47, s39
                                        ; implicit-def: $sgpr44
                                        ; implicit-def: $sgpr46
                                        ; implicit-def: $sgpr45
	s_cbranch_scc0 .LBB17_33
; %bb.32:                               ;   in Loop: Header=BB17_30 Depth=2
	s_add_i32 s40, s43, s50
	s_mul_i32 s40, s40, s52
	s_lshl_b32 s41, s42, 2
	v_mov_b32_e32 v3, s40
	s_mul_i32 s40, s38, s52
	v_mov_b32_e32 v2, s41
	v_mov_b32_e32 v4, s40
	ds_write2st64_b32 v2, v4, v3 offset0:17 offset1:19
	s_add_i32 s45, s43, 1
	s_add_i32 s46, s38, 1
	;; [unrolled: 1-line block ×3, first 2 shown]
	s_mov_b64 s[40:41], 0
.LBB17_33:                              ;   in Loop: Header=BB17_30 Depth=2
	s_andn2_b64 vcc, exec, s[40:41]
	s_cbranch_vccnz .LBB17_35
; %bb.34:                               ;   in Loop: Header=BB17_30 Depth=2
	s_add_i32 s45, s43, 1
	s_mov_b32 s44, s42
	s_mov_b32 s46, s38
.LBB17_35:                              ;   in Loop: Header=BB17_30 Depth=2
	s_mov_b64 s[40:41], 0
.LBB17_36:                              ;   in Loop: Header=BB17_30 Depth=2
	s_andn2_b64 vcc, exec, s[40:41]
	s_cbranch_vccnz .LBB17_38
; %bb.37:                               ;   in Loop: Header=BB17_30 Depth=2
	s_add_i32 s46, s38, 1
	s_mov_b32 s45, s43
	s_mov_b32 s44, s42
.LBB17_38:                              ;   in Loop: Header=BB17_30 Depth=2
	s_cmp_le_i32 s46, s37
	s_cselect_b64 s[40:41], -1, 0
	s_cmp_le_i32 s39, s36
	s_cselect_b64 s[38:39], -1, 0
	s_and_b64 s[38:39], s[40:41], s[38:39]
	s_and_b64 vcc, exec, s[38:39]
	s_cbranch_vccz .LBB17_40
; %bb.39:                               ;   in Loop: Header=BB17_30 Depth=2
	s_mov_b32 s42, s44
	s_mov_b32 s38, s46
	;; [unrolled: 1-line block ×3, first 2 shown]
	s_branch .LBB17_30
.LBB17_40:                              ;   in Loop: Header=BB17_14 Depth=1
	s_add_u32 s34, s14, s34
	s_addc_u32 s35, s15, s35
	s_waitcnt lgkmcnt(0)
.LBB17_41:                              ;   Parent Loop BB17_14 Depth=1
                                        ; =>  This Inner Loop Header: Depth=2
	global_load_dword v2, v24, s[34:35] sc1
	s_waitcnt vmcnt(0)
	v_cmp_eq_u32_e32 vcc, 0, v2
	s_cbranch_vccnz .LBB17_41
; %bb.42:                               ;   in Loop: Header=BB17_14 Depth=1
	buffer_inv sc1
	s_and_saveexec_b64 s[34:35], s[0:1]
	s_cbranch_execz .LBB17_55
; %bb.43:                               ;   in Loop: Header=BB17_14 Depth=1
	s_mul_i32 s45, s37, s48
	v_add_u32_e32 v2, s45, v0
	v_mul_lo_u32 v4, v2, s48
	s_mov_b64 s[36:37], 0
	v_mov_b32_e32 v5, v15
	v_mov_b32_e32 v25, v6
	s_branch .LBB17_45
.LBB17_44:                              ;   in Loop: Header=BB17_45 Depth=2
	s_or_b64 exec, exec, s[40:41]
	v_add_u32_e32 v25, 4, v25
	v_cmp_le_i32_e32 vcc, s48, v25
	s_waitcnt vmcnt(0)
	ds_write_b32 v5, v3
	s_or_b64 s[36:37], vcc, s[36:37]
	v_add_u32_e32 v5, 16, v5
	s_andn2_b64 exec, exec, s[36:37]
	s_cbranch_execz .LBB17_55
.LBB17_45:                              ;   Parent Loop BB17_14 Depth=1
                                        ; =>  This Inner Loop Header: Depth=2
	s_and_b64 vcc, exec, s[26:27]
	s_cbranch_vccz .LBB17_52
; %bb.46:                               ;   in Loop: Header=BB17_45 Depth=2
	s_mov_b64 s[40:41], 0
	s_mov_b64 s[38:39], 0
                                        ; implicit-def: $vgpr2
	s_and_saveexec_b64 s[42:43], s[2:3]
	s_xor_b64 s[42:43], exec, s[42:43]
; %bb.47:                               ;   in Loop: Header=BB17_45 Depth=2
	v_add_u32_e32 v2, s45, v25
	s_mov_b64 s[38:39], exec
	v_mad_u64_u32 v[2:3], s[46:47], v2, s48, v[0:1]
; %bb.48:                               ;   in Loop: Header=BB17_45 Depth=2
	s_or_b64 exec, exec, s[42:43]
	s_and_b64 vcc, exec, s[40:41]
	s_cbranch_vccz .LBB17_53
.LBB17_49:                              ;   in Loop: Header=BB17_45 Depth=2
                                        ; implicit-def: $vgpr2
	s_and_saveexec_b64 s[40:41], s[2:3]
; %bb.50:                               ;   in Loop: Header=BB17_45 Depth=2
	v_add_u32_e32 v2, v4, v25
	s_or_b64 s[38:39], s[38:39], exec
; %bb.51:                               ;   in Loop: Header=BB17_45 Depth=2
	s_or_b64 exec, exec, s[40:41]
	v_mov_b32_e32 v3, 0
	s_and_saveexec_b64 s[40:41], s[38:39]
	s_cbranch_execz .LBB17_44
	s_branch .LBB17_54
.LBB17_52:                              ;   in Loop: Header=BB17_45 Depth=2
	s_mov_b64 s[38:39], 0
                                        ; implicit-def: $vgpr2
	s_cbranch_execnz .LBB17_49
.LBB17_53:                              ;   in Loop: Header=BB17_45 Depth=2
	v_mov_b32_e32 v3, 0
	s_and_saveexec_b64 s[40:41], s[38:39]
	s_cbranch_execz .LBB17_44
.LBB17_54:                              ;   in Loop: Header=BB17_45 Depth=2
	v_ashrrev_i32_e32 v3, 31, v2
	v_lshl_add_u64 v[2:3], v[2:3], 2, s[24:25]
	global_load_dword v3, v[2:3], off
	s_branch .LBB17_44
.LBB17_55:                              ;   in Loop: Header=BB17_14 Depth=1
	s_or_b64 exec, exec, s[34:35]
	s_cmp_lt_i32 s44, 2
	s_cbranch_scc1 .LBB17_71
; %bb.56:                               ;   in Loop: Header=BB17_14 Depth=1
	s_add_i32 s40, s44, -2
	s_mov_b32 s41, 0
	s_branch .LBB17_58
.LBB17_57:                              ;   in Loop: Header=BB17_58 Depth=2
	s_or_b64 exec, exec, s[34:35]
	s_add_i32 s34, s41, 1
	s_cmp_eq_u32 s41, s40
	s_mov_b32 s41, s34
	s_cbranch_scc1 .LBB17_71
.LBB17_58:                              ;   Parent Loop BB17_14 Depth=1
                                        ; =>  This Loop Header: Depth=2
                                        ;       Child Loop BB17_60 Depth 3
	s_and_saveexec_b64 s[34:35], s[0:1]
	s_cbranch_execz .LBB17_57
; %bb.59:                               ;   in Loop: Header=BB17_58 Depth=2
	s_lshl_b32 s36, s41, 2
	v_mov_b32_e32 v2, s36
	ds_read2st64_b32 v[2:3], v2 offset0:17 offset1:19
	s_mov_b64 s[36:37], 0
	v_mov_b32_e32 v29, v6
	s_waitcnt lgkmcnt(0)
	v_add_u32_e32 v25, v3, v11
	v_add_u32_e32 v26, v0, v3
	;; [unrolled: 1-line block ×4, first 2 shown]
.LBB17_60:                              ;   Parent Loop BB17_14 Depth=1
                                        ;     Parent Loop BB17_58 Depth=2
                                        ; =>    This Inner Loop Header: Depth=3
	v_mov_b32_e32 v30, 0
	s_mov_b32 s42, 0
	v_mov_b32_e32 v2, v27
	v_mov_b32_e32 v4, v26
	s_and_b64 vcc, exec, s[26:27]
	s_cbranch_vccnz .LBB17_63
	s_branch .LBB17_62
.LBB17_61:                              ;   in Loop: Header=BB17_60 Depth=3
	v_mov_b32_e32 v30, v3
	s_and_b64 vcc, exec, s[26:27]
	s_cbranch_vccnz .LBB17_63
.LBB17_62:                              ;   in Loop: Header=BB17_60 Depth=3
                                        ; implicit-def: $vgpr3
	s_cbranch_execz .LBB17_69
	s_branch .LBB17_66
.LBB17_63:                              ;   in Loop: Header=BB17_60 Depth=3
	v_ashrrev_i32_e32 v3, 31, v2
	v_lshl_add_u64 v[32:33], v[2:3], 2, s[24:25]
	global_load_dword v3, v[32:33], off
	v_mov_b32_e32 v5, 0
	s_and_saveexec_b64 s[38:39], s[2:3]
	s_cbranch_execz .LBB17_65
; %bb.64:                               ;   in Loop: Header=BB17_60 Depth=3
	v_ashrrev_i32_e32 v5, 31, v4
	v_lshl_add_u64 v[32:33], v[4:5], 2, s[24:25]
	global_load_dword v5, v[32:33], off
.LBB17_65:                              ;   in Loop: Header=BB17_60 Depth=3
	s_or_b64 exec, exec, s[38:39]
	s_waitcnt vmcnt(0)
	v_fma_f32 v3, v3, v5, v30
	s_branch .LBB17_69
.LBB17_66:                              ;   in Loop: Header=BB17_60 Depth=3
	v_add_u32_e32 v32, s42, v28
	v_ashrrev_i32_e32 v33, 31, v32
	v_lshl_add_u64 v[32:33], v[32:33], 2, s[24:25]
	global_load_dword v3, v[32:33], off
	v_mov_b32_e32 v5, 0
	s_and_saveexec_b64 s[38:39], s[2:3]
	s_cbranch_execz .LBB17_68
; %bb.67:                               ;   in Loop: Header=BB17_60 Depth=3
	v_add_u32_e32 v32, s42, v25
	v_ashrrev_i32_e32 v33, 31, v32
	v_lshl_add_u64 v[32:33], v[32:33], 2, s[24:25]
	global_load_dword v5, v[32:33], off
.LBB17_68:                              ;   in Loop: Header=BB17_60 Depth=3
	s_or_b64 exec, exec, s[38:39]
	s_waitcnt vmcnt(0)
	v_fmac_f32_e32 v30, v3, v5
	v_mov_b32_e32 v3, v30
.LBB17_69:                              ;   in Loop: Header=BB17_60 Depth=3
	s_add_i32 s42, s42, 1
	v_add_u32_e32 v4, s48, v4
	s_cmp_eq_u32 s48, s42
	v_add_u32_e32 v2, s48, v2
	s_cbranch_scc0 .LBB17_61
; %bb.70:                               ;   in Loop: Header=BB17_60 Depth=3
	v_lshl_add_u32 v2, v29, 2, v10
	ds_read_b32 v4, v2
	v_add_u32_e32 v29, 4, v29
	v_cmp_le_i32_e32 vcc, s48, v29
	v_add_u32_e32 v27, 4, v27
	s_or_b64 s[36:37], vcc, s[36:37]
	s_waitcnt lgkmcnt(0)
	v_add_f32_e32 v3, v3, v4
	v_add_u32_e32 v28, s53, v28
	ds_write_b32 v2, v3
	s_andn2_b64 exec, exec, s[36:37]
	s_cbranch_execnz .LBB17_60
	s_branch .LBB17_57
.LBB17_71:                              ;   in Loop: Header=BB17_14 Depth=1
	s_andn2_b64 vcc, exec, s[28:29]
	s_waitcnt lgkmcnt(0)
	s_cbranch_vccnz .LBB17_90
; %bb.72:                               ;   in Loop: Header=BB17_14 Depth=1
	s_mov_b32 s42, 0
	s_movk_i32 s43, 0x880
	v_mov_b32_e32 v27, s54
	v_mov_b32_e32 v4, v20
	s_mov_b32 s44, 0
	s_branch .LBB17_74
.LBB17_73:                              ;   in Loop: Header=BB17_74 Depth=2
	s_or_b64 exec, exec, s[34:35]
	s_add_i32 s44, s44, 1
	s_addk_i32 s42, 0x44
	s_add_i32 s43, s43, 4
	s_cmp_eq_u32 s44, s48
	v_add_u32_e32 v4, 4, v4
	s_waitcnt lgkmcnt(0)
	s_cbranch_scc1 .LBB17_90
.LBB17_74:                              ;   Parent Loop BB17_14 Depth=1
                                        ; =>  This Loop Header: Depth=2
                                        ;       Child Loop BB17_79 Depth 3
                                        ;       Child Loop BB17_83 Depth 3
	;; [unrolled: 1-line block ×3, first 2 shown]
	s_lshl_b32 s34, s44, 2
	s_mul_i32 s35, s44, 0x44
	s_add_i32 s35, s35, s34
	v_mov_b32_e32 v2, s35
	ds_read_b32 v5, v2
	v_add_u32_e32 v3, s34, v9
	ds_read_b32 v2, v3
	s_waitcnt lgkmcnt(1)
	v_cmp_neq_f32_e32 vcc, 0, v5
	s_nop 1
	v_cndmask_b32_e32 v5, 1.0, v5, vcc
	s_nor_b64 s[36:37], vcc, s[4:5]
	s_and_saveexec_b64 s[34:35], s[36:37]
	s_cbranch_execz .LBB17_78
; %bb.75:                               ;   in Loop: Header=BB17_74 Depth=2
	v_mbcnt_lo_u32_b32 v5, exec_lo, 0
	v_mbcnt_hi_u32_b32 v5, exec_hi, v5
	v_cmp_eq_u32_e32 vcc, 0, v5
	s_and_saveexec_b64 s[36:37], vcc
	s_cbranch_execz .LBB17_77
; %bb.76:                               ;   in Loop: Header=BB17_74 Depth=2
	global_atomic_smin v24, v27, s[18:19]
.LBB17_77:                              ;   in Loop: Header=BB17_74 Depth=2
	s_or_b64 exec, exec, s[36:37]
	v_mov_b32_e32 v5, 1.0
.LBB17_78:                              ;   in Loop: Header=BB17_74 Depth=2
	s_or_b64 exec, exec, s[34:35]
	v_lshl_add_u32 v25, s44, 2, v10
	ds_read_b32 v25, v25
	s_cmp_eq_u32 s44, 0
	v_mov_b32_e32 v26, v9
	s_mov_b32 s34, s42
	s_mov_b32 s35, s44
	s_cbranch_scc1 .LBB17_80
.LBB17_79:                              ;   Parent Loop BB17_14 Depth=1
                                        ;     Parent Loop BB17_74 Depth=2
                                        ; =>    This Inner Loop Header: Depth=3
	v_mov_b32_e32 v28, s34
	ds_read_b32 v29, v26
	ds_read_b32 v28, v28
	s_add_i32 s35, s35, -1
	s_add_i32 s34, s34, 4
	v_add_u32_e32 v26, 4, v26
	s_cmp_eq_u32 s35, 0
	s_waitcnt lgkmcnt(0)
	v_fmac_f32_e32 v25, v28, v29
	s_cbranch_scc0 .LBB17_79
.LBB17_80:                              ;   in Loop: Header=BB17_74 Depth=2
	s_waitcnt lgkmcnt(0)
	v_sub_f32_e32 v2, v2, v25
	v_div_scale_f32 v25, s[34:35], v5, v5, v2
	v_rcp_f32_e32 v26, v25
	v_div_scale_f32 v28, vcc, v2, v5, v2
	v_fma_f32 v29, -v25, v26, 1.0
	v_fmac_f32_e32 v26, v29, v26
	v_mul_f32_e32 v29, v28, v26
	v_fma_f32 v30, -v25, v29, v28
	v_fmac_f32_e32 v29, v30, v26
	v_fma_f32 v25, -v25, v29, v28
	v_div_fmas_f32 v25, v25, v26, v29
	v_div_fixup_f32 v2, v25, v5, v2
	ds_write_b32 v3, v2
	s_waitcnt lgkmcnt(0)
	s_and_saveexec_b64 s[34:35], s[0:1]
	s_cbranch_execz .LBB17_73
; %bb.81:                               ;   in Loop: Header=BB17_74 Depth=2
	s_mov_b64 s[38:39], -1
	v_mov_b32_e32 v3, v6
	v_mov_b32_e32 v5, v14
	;; [unrolled: 1-line block ×3, first 2 shown]
	s_and_saveexec_b64 s[36:37], s[6:7]
	s_cbranch_execz .LBB17_87
; %bb.82:                               ;   in Loop: Header=BB17_74 Depth=2
	v_mov_b32_e32 v3, v2
	s_mov_b64 s[38:39], 0
	v_mov_b32_e32 v5, v12
	v_mov_b32_e32 v25, v21
	;; [unrolled: 1-line block ×3, first 2 shown]
.LBB17_83:                              ;   Parent Loop BB17_14 Depth=1
                                        ;     Parent Loop BB17_74 Depth=2
                                        ; =>    This Inner Loop Header: Depth=3
	ds_read2_b32 v[28:29], v26 offset1:68
	ds_read2_b32 v[30:31], v26 offset0:136 offset1:204
	ds_read2_b32 v[32:33], v25 offset1:4
	ds_read2_b32 v[34:35], v25 offset0:8 offset1:12
	v_add_u32_e32 v5, -4, v5
	v_cmp_eq_u32_e32 vcc, 0, v5
	v_add_u32_e32 v26, 0x440, v26
	s_waitcnt lgkmcnt(1)
	v_pk_fma_f32 v[28:29], v[2:3], v[28:29], v[32:33]
	s_waitcnt lgkmcnt(0)
	v_pk_fma_f32 v[30:31], v[2:3], v[30:31], v[34:35]
	ds_write2_b32 v25, v28, v29 offset1:4
	ds_write2_b32 v25, v30, v31 offset0:8 offset1:12
	s_or_b64 s[38:39], vcc, s[38:39]
	v_add_u32_e32 v25, 64, v25
	s_andn2_b64 exec, exec, s[38:39]
	s_cbranch_execnz .LBB17_83
; %bb.84:                               ;   in Loop: Header=BB17_74 Depth=2
	s_or_b64 exec, exec, s[38:39]
	s_mov_b64 s[38:39], 0
                                        ; implicit-def: $vgpr5
                                        ; implicit-def: $vgpr25
	s_and_saveexec_b64 s[40:41], s[8:9]
; %bb.85:                               ;   in Loop: Header=BB17_74 Depth=2
	s_mov_b64 s[38:39], exec
	v_lshlrev_b32_e32 v5, 2, v13
	v_mul_lo_u32 v25, v13, s51
; %bb.86:                               ;   in Loop: Header=BB17_74 Depth=2
	s_or_b64 exec, exec, s[40:41]
	s_orn2_b64 s[38:39], s[38:39], exec
	v_mov_b32_e32 v3, v13
.LBB17_87:                              ;   in Loop: Header=BB17_74 Depth=2
	s_or_b64 exec, exec, s[36:37]
	s_and_b64 exec, exec, s[38:39]
	s_cbranch_execz .LBB17_73
; %bb.88:                               ;   in Loop: Header=BB17_74 Depth=2
	v_add_u32_e32 v5, v22, v5
	v_add_u32_e32 v25, s43, v25
	s_mov_b64 s[36:37], 0
.LBB17_89:                              ;   Parent Loop BB17_14 Depth=1
                                        ;     Parent Loop BB17_74 Depth=2
                                        ; =>    This Inner Loop Header: Depth=3
	ds_read_b32 v26, v25
	ds_read_b32 v28, v5
	v_add_u32_e32 v3, 4, v3
	v_cmp_le_i32_e32 vcc, s48, v3
	s_or_b64 s[36:37], vcc, s[36:37]
	v_add_u32_e32 v25, 0x110, v25
	s_waitcnt lgkmcnt(0)
	v_fmac_f32_e32 v28, v2, v26
	ds_write_b32 v5, v28
	v_add_u32_e32 v5, 16, v5
	s_andn2_b64 exec, exec, s[36:37]
	s_cbranch_execnz .LBB17_89
	s_branch .LBB17_73
.LBB17_90:                              ;   in Loop: Header=BB17_14 Depth=1
	s_and_saveexec_b64 s[34:35], s[0:1]
	s_cbranch_execz .LBB17_13
; %bb.91:                               ;   in Loop: Header=BB17_14 Depth=1
	s_mov_b64 s[36:37], 0
	v_mov_b32_e32 v4, v23
	v_mov_b32_e32 v5, v6
	s_branch .LBB17_95
.LBB17_92:                              ;   in Loop: Header=BB17_95 Depth=2
	v_add_u32_e32 v2, v18, v5
.LBB17_93:                              ;   in Loop: Header=BB17_95 Depth=2
	v_ashrrev_i32_e32 v3, 31, v2
	v_lshl_add_u64 v[2:3], v[2:3], 2, s[24:25]
	s_waitcnt lgkmcnt(0)
	global_store_dword v[2:3], v25, off
.LBB17_94:                              ;   in Loop: Header=BB17_95 Depth=2
	s_or_b64 exec, exec, s[38:39]
	v_add_u32_e32 v5, 4, v5
	v_cmp_le_i32_e32 vcc, s48, v5
	s_or_b64 s[36:37], vcc, s[36:37]
	v_add_u32_e32 v4, 16, v4
	s_andn2_b64 exec, exec, s[36:37]
	s_cbranch_execz .LBB17_13
.LBB17_95:                              ;   Parent Loop BB17_14 Depth=1
                                        ; =>  This Inner Loop Header: Depth=2
	s_and_saveexec_b64 s[38:39], s[2:3]
	s_cbranch_execz .LBB17_94
; %bb.96:                               ;   in Loop: Header=BB17_95 Depth=2
	ds_read_b32 v25, v4
	s_and_b64 vcc, exec, s[26:27]
	s_cbranch_vccz .LBB17_98
; %bb.97:                               ;   in Loop: Header=BB17_95 Depth=2
	v_add_u32_e32 v2, s31, v5
	v_mad_u64_u32 v[2:3], s[40:41], v2, s48, v[0:1]
	s_cbranch_execnz .LBB17_93
	s_branch .LBB17_92
.LBB17_98:                              ;   in Loop: Header=BB17_95 Depth=2
                                        ; implicit-def: $vgpr2
	s_branch .LBB17_92
.LBB17_99:                              ;   in Loop: Header=BB17_14 Depth=1
                                        ; implicit-def: $sgpr30
                                        ; implicit-def: $vgpr18
	s_cbranch_execz .LBB17_14
.LBB17_100:
	v_cmp_gt_i32_e64 s[0:1], s48, v6
	s_and_saveexec_b64 s[4:5], s[0:1]
	s_cbranch_execz .LBB17_113
; %bb.101:
	s_mul_i32 s26, s33, s48
	v_add_u32_e32 v2, s26, v0
	s_cmp_lg_u32 s49, 0
	v_mul_lo_u32 v4, v2, s48
	v_mul_u32_u24_e32 v2, 0x44, v0
	v_lshlrev_b32_e32 v3, 2, v6
	s_movk_i32 s8, 0x880
	s_cselect_b64 s[6:7], -1, 0
	v_cmp_gt_i32_e64 s[2:3], s48, v0
	v_add3_u32 v5, v2, v3, s8
	s_mov_b64 s[8:9], 0
	v_mov_b32_e32 v9, v6
	s_branch .LBB17_103
.LBB17_102:                             ;   in Loop: Header=BB17_103 Depth=1
	s_or_b64 exec, exec, s[20:21]
	v_add_u32_e32 v9, 4, v9
	v_cmp_le_i32_e32 vcc, s48, v9
	s_waitcnt vmcnt(0)
	ds_write_b32 v5, v3
	s_or_b64 s[8:9], vcc, s[8:9]
	v_add_u32_e32 v5, 16, v5
	s_andn2_b64 exec, exec, s[8:9]
	s_cbranch_execz .LBB17_113
.LBB17_103:                             ; =>This Inner Loop Header: Depth=1
	s_and_b64 vcc, exec, s[6:7]
	s_cbranch_vccz .LBB17_110
; %bb.104:                              ;   in Loop: Header=BB17_103 Depth=1
	s_mov_b64 s[20:21], 0
	s_mov_b64 s[12:13], 0
                                        ; implicit-def: $vgpr2
	s_and_saveexec_b64 s[22:23], s[2:3]
	s_xor_b64 s[22:23], exec, s[22:23]
; %bb.105:                              ;   in Loop: Header=BB17_103 Depth=1
	v_add_u32_e32 v2, s26, v9
	s_mov_b64 s[12:13], exec
	v_mad_u64_u32 v[2:3], s[28:29], v2, s48, v[0:1]
; %bb.106:                              ;   in Loop: Header=BB17_103 Depth=1
	s_or_b64 exec, exec, s[22:23]
	s_and_b64 vcc, exec, s[20:21]
	s_cbranch_vccz .LBB17_111
.LBB17_107:                             ;   in Loop: Header=BB17_103 Depth=1
                                        ; implicit-def: $vgpr2
	s_and_saveexec_b64 s[20:21], s[2:3]
; %bb.108:                              ;   in Loop: Header=BB17_103 Depth=1
	v_add_u32_e32 v2, v4, v9
	s_or_b64 s[12:13], s[12:13], exec
; %bb.109:                              ;   in Loop: Header=BB17_103 Depth=1
	s_or_b64 exec, exec, s[20:21]
	v_mov_b32_e32 v3, 0
	s_and_saveexec_b64 s[20:21], s[12:13]
	s_cbranch_execz .LBB17_102
	s_branch .LBB17_112
.LBB17_110:                             ;   in Loop: Header=BB17_103 Depth=1
	s_mov_b64 s[12:13], 0
                                        ; implicit-def: $vgpr2
	s_cbranch_execnz .LBB17_107
.LBB17_111:                             ;   in Loop: Header=BB17_103 Depth=1
	v_mov_b32_e32 v3, 0
	s_and_saveexec_b64 s[20:21], s[12:13]
	s_cbranch_execz .LBB17_102
.LBB17_112:                             ;   in Loop: Header=BB17_103 Depth=1
	v_ashrrev_i32_e32 v3, 31, v2
	v_lshl_add_u64 v[2:3], v[2:3], 2, s[24:25]
	global_load_dword v3, v[2:3], off
	s_branch .LBB17_102
.LBB17_113:
	s_or_b64 exec, exec, s[4:5]
	s_cmp_lt_i32 s48, 1
	s_waitcnt lgkmcnt(0)
	s_cbranch_scc1 .LBB17_133
; %bb.114:
	v_lshrrev_b32_e32 v10, 2, v1
	v_or_b32_e32 v5, v6, v0
	v_add_u32_e32 v11, 1, v10
	s_movk_i32 s8, 0x44
	v_mov_b32_e32 v2, 0x880
	v_cmp_ne_u32_e64 s[2:3], 0, v5
	v_mov_b32_e32 v5, 0xcc0
	v_cmp_lt_u32_e64 s[4:5], 11, v1
	v_and_b32_e32 v1, 0x7ffffffc, v11
	v_mad_u32_u24 v4, v0, s8, v2
	v_mul_u32_u24_e32 v3, 0x44, v0
	s_add_i32 s9, s16, s17
	s_movk_i32 s12, 0xcc0
	v_mad_u32_u24 v5, v0, s8, v5
	v_lshl_add_u32 v10, v1, 2, v6
	s_movk_i32 s26, 0x880
	s_mov_b32 s27, 0
	v_add_u32_e32 v9, v4, v8
	v_add_u32_e32 v8, v5, v8
	v_cmp_ne_u32_e64 s[6:7], v11, v1
	v_mul_u32_u24_e32 v11, 0x44, v6
	v_mad_u32_u24 v12, v6, s8, v2
	v_add3_u32 v13, v3, v7, s12
	s_mov_b32 s28, 0xf800000
	v_mov_b32_e32 v14, 0x260
	v_mov_b32_e32 v15, 0
	;; [unrolled: 1-line block ×3, first 2 shown]
	v_lshlrev_b32_e32 v16, 2, v10
	v_mul_lo_u32 v17, v10, s8
	s_branch .LBB17_116
.LBB17_115:                             ;   in Loop: Header=BB17_116 Depth=1
	s_or_b64 exec, exec, s[8:9]
	s_add_i32 s27, s27, 1
	s_add_i32 s26, s26, 4
	s_cmp_eq_u32 s27, s48
	v_add_u32_e32 v12, 4, v12
	s_waitcnt lgkmcnt(0)
	s_cbranch_scc1 .LBB17_133
.LBB17_116:                             ; =>This Loop Header: Depth=1
                                        ;     Child Loop BB17_126 Depth 2
                                        ;     Child Loop BB17_132 Depth 2
	v_cmp_eq_u32_e32 vcc, s27, v0
	s_and_saveexec_b64 s[12:13], vcc
	s_cbranch_execz .LBB17_118
; %bb.117:                              ;   in Loop: Header=BB17_116 Depth=1
	ds_read_b32 v2, v9
	ds_read_b32 v3, v8
	s_waitcnt lgkmcnt(0)
	v_sub_f32_e32 v2, v2, v3
	v_cmp_gt_f32_e32 vcc, 0, v2
	s_nop 1
	v_cndmask_b32_e64 v2, v2, -v2, vcc
	v_mul_f32_e32 v3, 0x4f800000, v2
	v_cmp_gt_f32_e32 vcc, s28, v2
	s_nop 1
	v_cndmask_b32_e32 v2, v2, v3, vcc
	v_sqrt_f32_e32 v3, v2
	s_nop 0
	v_add_u32_e32 v18, -1, v3
	v_add_u32_e32 v19, 1, v3
	v_fma_f32 v20, -v18, v3, v2
	v_fma_f32 v22, -v19, v3, v2
	v_cmp_ge_f32_e64 s[8:9], 0, v20
	s_nop 1
	v_cndmask_b32_e64 v3, v3, v18, s[8:9]
	v_cmp_lt_f32_e64 s[8:9], 0, v22
	s_nop 1
	v_cndmask_b32_e64 v3, v3, v19, s[8:9]
	v_mul_f32_e32 v18, 0x37800000, v3
	v_cndmask_b32_e32 v3, v3, v18, vcc
	v_cmp_class_f32_e32 vcc, v2, v14
	s_nop 1
	v_cndmask_b32_e32 v2, v3, v2, vcc
	ds_write_b32 v9, v2
.LBB17_118:                             ;   in Loop: Header=BB17_116 Depth=1
	s_or_b64 exec, exec, s[12:13]
	s_lshl_b32 s8, s27, 2
	s_mul_i32 s9, s27, 0x44
	s_add_i32 s9, s9, s8
	v_mov_b32_e32 v2, s9
	s_waitcnt lgkmcnt(0)
	ds_read_b32 v18, v2 offset:2176
	v_add_u32_e32 v3, s8, v4
	ds_read_b32 v2, v3
	s_waitcnt lgkmcnt(1)
	v_cmp_neq_f32_e32 vcc, 0, v18
	s_nop 1
	v_cndmask_b32_e32 v18, 1.0, v18, vcc
	s_nor_b64 s[12:13], vcc, s[2:3]
	s_and_saveexec_b64 s[8:9], s[12:13]
	s_cbranch_execz .LBB17_122
; %bb.119:                              ;   in Loop: Header=BB17_116 Depth=1
	v_mbcnt_lo_u32_b32 v18, exec_lo, 0
	v_mbcnt_hi_u32_b32 v18, exec_hi, v18
	v_cmp_eq_u32_e32 vcc, 0, v18
	s_and_saveexec_b64 s[12:13], vcc
	s_cbranch_execz .LBB17_121
; %bb.120:                              ;   in Loop: Header=BB17_116 Depth=1
	global_atomic_smin v15, v21, s[18:19]
.LBB17_121:                             ;   in Loop: Header=BB17_116 Depth=1
	s_or_b64 exec, exec, s[12:13]
	v_mov_b32_e32 v18, 1.0
.LBB17_122:                             ;   in Loop: Header=BB17_116 Depth=1
	s_or_b64 exec, exec, s[8:9]
	v_cmp_lt_u32_e32 vcc, s27, v0
	s_and_saveexec_b64 s[8:9], vcc
	s_cbranch_execz .LBB17_115
; %bb.123:                              ;   in Loop: Header=BB17_116 Depth=1
	v_lshl_add_u32 v19, s27, 2, v5
	ds_read_b32 v19, v19
	s_waitcnt lgkmcnt(0)
	v_sub_f32_e32 v2, v2, v19
	v_div_scale_f32 v19, s[12:13], v18, v18, v2
	v_rcp_f32_e32 v20, v19
	v_div_scale_f32 v22, vcc, v2, v18, v2
	v_fma_f32 v23, -v19, v20, 1.0
	v_fmac_f32_e32 v20, v23, v20
	v_mul_f32_e32 v23, v22, v20
	v_fma_f32 v24, -v19, v23, v22
	v_fmac_f32_e32 v23, v24, v20
	v_fma_f32 v19, -v19, v23, v22
	v_div_fmas_f32 v19, v19, v20, v23
	v_div_fixup_f32 v2, v19, v18, v2
	ds_write_b32 v3, v2
	s_waitcnt lgkmcnt(0)
	s_and_b64 exec, exec, s[0:1]
	s_cbranch_execz .LBB17_115
; %bb.124:                              ;   in Loop: Header=BB17_116 Depth=1
	s_mov_b64 s[20:21], -1
	v_mov_b32_e32 v3, v6
	v_mov_b32_e32 v18, v7
	;; [unrolled: 1-line block ×3, first 2 shown]
	s_and_saveexec_b64 s[12:13], s[4:5]
	s_cbranch_execz .LBB17_130
; %bb.125:                              ;   in Loop: Header=BB17_116 Depth=1
	v_mov_b32_e32 v3, v2
	s_mov_b64 s[20:21], 0
	v_mov_b32_e32 v18, v1
	v_mov_b32_e32 v19, v13
	;; [unrolled: 1-line block ×3, first 2 shown]
.LBB17_126:                             ;   Parent Loop BB17_116 Depth=1
                                        ; =>  This Inner Loop Header: Depth=2
	ds_read2_b32 v[22:23], v20 offset1:68
	ds_read2_b32 v[24:25], v20 offset0:136 offset1:204
	ds_read2_b32 v[26:27], v19 offset1:4
	ds_read2_b32 v[28:29], v19 offset0:8 offset1:12
	v_add_u32_e32 v18, -4, v18
	v_cmp_eq_u32_e32 vcc, 0, v18
	v_add_u32_e32 v20, 0x440, v20
	s_waitcnt lgkmcnt(1)
	v_pk_fma_f32 v[22:23], v[2:3], v[22:23], v[26:27]
	s_waitcnt lgkmcnt(0)
	v_pk_fma_f32 v[24:25], v[2:3], v[24:25], v[28:29]
	ds_write2_b32 v19, v22, v23 offset1:4
	ds_write2_b32 v19, v24, v25 offset0:8 offset1:12
	s_or_b64 s[20:21], vcc, s[20:21]
	v_add_u32_e32 v19, 64, v19
	s_andn2_b64 exec, exec, s[20:21]
	s_cbranch_execnz .LBB17_126
; %bb.127:                              ;   in Loop: Header=BB17_116 Depth=1
	s_or_b64 exec, exec, s[20:21]
	s_mov_b64 s[20:21], 0
	s_and_saveexec_b64 s[22:23], s[6:7]
; %bb.128:                              ;   in Loop: Header=BB17_116 Depth=1
	s_mov_b64 s[20:21], exec
; %bb.129:                              ;   in Loop: Header=BB17_116 Depth=1
	s_or_b64 exec, exec, s[22:23]
	s_orn2_b64 s[20:21], s[20:21], exec
	v_mov_b32_e32 v3, v10
	v_mov_b32_e32 v18, v16
	;; [unrolled: 1-line block ×3, first 2 shown]
.LBB17_130:                             ;   in Loop: Header=BB17_116 Depth=1
	s_or_b64 exec, exec, s[12:13]
	s_and_b64 exec, exec, s[20:21]
	s_cbranch_execz .LBB17_115
; %bb.131:                              ;   in Loop: Header=BB17_116 Depth=1
	v_add_u32_e32 v18, v5, v18
	v_add_u32_e32 v19, s26, v19
	s_mov_b64 s[12:13], 0
.LBB17_132:                             ;   Parent Loop BB17_116 Depth=1
                                        ; =>  This Inner Loop Header: Depth=2
	ds_read_b32 v20, v19
	ds_read_b32 v22, v18
	v_add_u32_e32 v3, 4, v3
	v_cmp_le_i32_e32 vcc, s48, v3
	s_or_b64 s[12:13], vcc, s[12:13]
	v_add_u32_e32 v19, 0x110, v19
	s_waitcnt lgkmcnt(0)
	v_fmac_f32_e32 v22, v2, v20
	ds_write_b32 v18, v22
	v_add_u32_e32 v18, 16, v18
	s_andn2_b64 exec, exec, s[12:13]
	s_cbranch_execnz .LBB17_132
	s_branch .LBB17_115
.LBB17_133:
	s_and_saveexec_b64 s[2:3], s[0:1]
	s_cbranch_execz .LBB17_142
; %bb.134:
	s_mul_i32 s33, s33, s48
	s_cmp_lg_u32 s49, 0
	v_add_u32_e32 v1, s33, v0
	v_mul_u32_u24_e32 v2, 0x44, v0
	s_movk_i32 s6, 0x880
	v_cmp_gt_i32_e64 s[0:1], s48, v0
	s_cselect_b64 s[4:5], -1, 0
	v_mul_lo_u32 v1, v1, s48
	v_add3_u32 v4, v2, v7, s6
	s_mov_b64 s[6:7], 0
	v_mov_b32_e32 v5, v6
	s_branch .LBB17_138
.LBB17_135:                             ;   in Loop: Header=BB17_138 Depth=1
	v_add_u32_e32 v2, v1, v5
.LBB17_136:                             ;   in Loop: Header=BB17_138 Depth=1
	v_ashrrev_i32_e32 v3, 31, v2
	v_lshl_add_u64 v[2:3], v[2:3], 2, s[24:25]
	s_waitcnt lgkmcnt(0)
	global_store_dword v[2:3], v7, off
.LBB17_137:                             ;   in Loop: Header=BB17_138 Depth=1
	s_or_b64 exec, exec, s[8:9]
	v_add_u32_e32 v5, 4, v5
	v_cmp_le_i32_e32 vcc, s48, v5
	s_or_b64 s[6:7], vcc, s[6:7]
	v_add_u32_e32 v4, 16, v4
	s_andn2_b64 exec, exec, s[6:7]
	s_cbranch_execz .LBB17_142
.LBB17_138:                             ; =>This Inner Loop Header: Depth=1
	s_and_saveexec_b64 s[8:9], s[0:1]
	s_cbranch_execz .LBB17_137
; %bb.139:                              ;   in Loop: Header=BB17_138 Depth=1
	ds_read_b32 v7, v4
	s_and_b64 vcc, exec, s[4:5]
	s_cbranch_vccz .LBB17_141
; %bb.140:                              ;   in Loop: Header=BB17_138 Depth=1
	v_add_u32_e32 v2, s33, v5
	v_mad_u64_u32 v[2:3], s[12:13], v2, s48, v[0:1]
	s_cbranch_execnz .LBB17_136
	s_branch .LBB17_135
.LBB17_141:                             ;   in Loop: Header=BB17_138 Depth=1
                                        ; implicit-def: $vgpr2
	s_branch .LBB17_135
.LBB17_142:
	s_or_b64 exec, exec, s[2:3]
	v_or_b32_e32 v1, v6, v0
	v_cmp_eq_u32_e32 vcc, 0, v1
	s_and_saveexec_b64 s[0:1], vcc
	s_cbranch_execz .LBB17_144
; %bb.143:
	s_add_u32 s2, s14, s10
	s_addc_u32 s3, s15, s11
	v_mov_b32_e32 v1, 0
	v_mov_b32_e32 v2, 1
	buffer_wbl2 sc1
	s_waitcnt vmcnt(0)
	global_store_dword v1, v2, s[2:3] sc1
.LBB17_144:
	s_or_b64 exec, exec, s[0:1]
.LBB17_145:
	s_endpgm
.LBB17_146:
	s_cbranch_execz .LBB17_145
; %bb.147:
	v_or_b32_e32 v0, v6, v0
	v_cmp_eq_u32_e32 vcc, 0, v0
	s_and_saveexec_b64 s[0:1], vcc
	s_cbranch_execz .LBB17_145
; %bb.148:
	v_mbcnt_lo_u32_b32 v0, exec_lo, 0
	v_mbcnt_hi_u32_b32 v0, exec_hi, v0
	v_cmp_eq_u32_e32 vcc, 0, v0
	s_and_saveexec_b64 s[0:1], vcc
	s_cbranch_execz .LBB17_150
; %bb.149:
	s_add_i32 s2, s16, s17
	v_mov_b32_e32 v0, 0
	v_mov_b32_e32 v1, s2
	global_atomic_smin v0, v1, s[18:19]
.LBB17_150:
	s_or_b64 exec, exec, s[0:1]
	s_add_u32 s0, s14, s10
	s_addc_u32 s1, s15, s11
	v_mov_b32_e32 v0, 0
	v_mov_b32_e32 v1, 1
	buffer_wbl2 sc1
	s_waitcnt vmcnt(0)
	global_store_dword v0, v1, s[0:1] sc1
	s_endpgm
	.section	.rodata,"a",@progbits
	.p2align	6, 0x0
	.amdhsa_kernel _ZN9rocsparseL18bsric0_9_16_kernelILi64ELi128ELi16EfEEv20rocsparse_direction_iiPKiS3_PT2_S3_PiS3_S6_21rocsparse_index_base_
		.amdhsa_group_segment_fixed_size 5888
		.amdhsa_private_segment_fixed_size 0
		.amdhsa_kernarg_size 76
		.amdhsa_user_sgpr_count 2
		.amdhsa_user_sgpr_dispatch_ptr 0
		.amdhsa_user_sgpr_queue_ptr 0
		.amdhsa_user_sgpr_kernarg_segment_ptr 1
		.amdhsa_user_sgpr_dispatch_id 0
		.amdhsa_user_sgpr_kernarg_preload_length 0
		.amdhsa_user_sgpr_kernarg_preload_offset 0
		.amdhsa_user_sgpr_private_segment_size 0
		.amdhsa_uses_dynamic_stack 0
		.amdhsa_enable_private_segment 0
		.amdhsa_system_sgpr_workgroup_id_x 1
		.amdhsa_system_sgpr_workgroup_id_y 0
		.amdhsa_system_sgpr_workgroup_id_z 0
		.amdhsa_system_sgpr_workgroup_info 0
		.amdhsa_system_vgpr_workitem_id 1
		.amdhsa_next_free_vgpr 65
		.amdhsa_next_free_sgpr 75
		.amdhsa_accum_offset 36
		.amdhsa_reserve_vcc 1
		.amdhsa_float_round_mode_32 0
		.amdhsa_float_round_mode_16_64 0
		.amdhsa_float_denorm_mode_32 3
		.amdhsa_float_denorm_mode_16_64 3
		.amdhsa_dx10_clamp 1
		.amdhsa_ieee_mode 1
		.amdhsa_fp16_overflow 0
		.amdhsa_tg_split 0
		.amdhsa_exception_fp_ieee_invalid_op 0
		.amdhsa_exception_fp_denorm_src 0
		.amdhsa_exception_fp_ieee_div_zero 0
		.amdhsa_exception_fp_ieee_overflow 0
		.amdhsa_exception_fp_ieee_underflow 0
		.amdhsa_exception_fp_ieee_inexact 0
		.amdhsa_exception_int_div_zero 0
	.end_amdhsa_kernel
	.section	.text._ZN9rocsparseL18bsric0_9_16_kernelILi64ELi128ELi16EfEEv20rocsparse_direction_iiPKiS3_PT2_S3_PiS3_S6_21rocsparse_index_base_,"axG",@progbits,_ZN9rocsparseL18bsric0_9_16_kernelILi64ELi128ELi16EfEEv20rocsparse_direction_iiPKiS3_PT2_S3_PiS3_S6_21rocsparse_index_base_,comdat
.Lfunc_end17:
	.size	_ZN9rocsparseL18bsric0_9_16_kernelILi64ELi128ELi16EfEEv20rocsparse_direction_iiPKiS3_PT2_S3_PiS3_S6_21rocsparse_index_base_, .Lfunc_end17-_ZN9rocsparseL18bsric0_9_16_kernelILi64ELi128ELi16EfEEv20rocsparse_direction_iiPKiS3_PT2_S3_PiS3_S6_21rocsparse_index_base_
                                        ; -- End function
	.set _ZN9rocsparseL18bsric0_9_16_kernelILi64ELi128ELi16EfEEv20rocsparse_direction_iiPKiS3_PT2_S3_PiS3_S6_21rocsparse_index_base_.num_vgpr, 36
	.set _ZN9rocsparseL18bsric0_9_16_kernelILi64ELi128ELi16EfEEv20rocsparse_direction_iiPKiS3_PT2_S3_PiS3_S6_21rocsparse_index_base_.num_agpr, 0
	.set _ZN9rocsparseL18bsric0_9_16_kernelILi64ELi128ELi16EfEEv20rocsparse_direction_iiPKiS3_PT2_S3_PiS3_S6_21rocsparse_index_base_.numbered_sgpr, 58
	.set _ZN9rocsparseL18bsric0_9_16_kernelILi64ELi128ELi16EfEEv20rocsparse_direction_iiPKiS3_PT2_S3_PiS3_S6_21rocsparse_index_base_.num_named_barrier, 0
	.set _ZN9rocsparseL18bsric0_9_16_kernelILi64ELi128ELi16EfEEv20rocsparse_direction_iiPKiS3_PT2_S3_PiS3_S6_21rocsparse_index_base_.private_seg_size, 0
	.set _ZN9rocsparseL18bsric0_9_16_kernelILi64ELi128ELi16EfEEv20rocsparse_direction_iiPKiS3_PT2_S3_PiS3_S6_21rocsparse_index_base_.uses_vcc, 1
	.set _ZN9rocsparseL18bsric0_9_16_kernelILi64ELi128ELi16EfEEv20rocsparse_direction_iiPKiS3_PT2_S3_PiS3_S6_21rocsparse_index_base_.uses_flat_scratch, 0
	.set _ZN9rocsparseL18bsric0_9_16_kernelILi64ELi128ELi16EfEEv20rocsparse_direction_iiPKiS3_PT2_S3_PiS3_S6_21rocsparse_index_base_.has_dyn_sized_stack, 0
	.set _ZN9rocsparseL18bsric0_9_16_kernelILi64ELi128ELi16EfEEv20rocsparse_direction_iiPKiS3_PT2_S3_PiS3_S6_21rocsparse_index_base_.has_recursion, 0
	.set _ZN9rocsparseL18bsric0_9_16_kernelILi64ELi128ELi16EfEEv20rocsparse_direction_iiPKiS3_PT2_S3_PiS3_S6_21rocsparse_index_base_.has_indirect_call, 0
	.section	.AMDGPU.csdata,"",@progbits
; Kernel info:
; codeLenInByte = 4260
; TotalNumSgprs: 64
; NumVgprs: 36
; NumAgprs: 0
; TotalNumVgprs: 36
; ScratchSize: 0
; MemoryBound: 0
; FloatMode: 240
; IeeeMode: 1
; LDSByteSize: 5888 bytes/workgroup (compile time only)
; SGPRBlocks: 10
; VGPRBlocks: 8
; NumSGPRsForWavesPerEU: 81
; NumVGPRsForWavesPerEU: 65
; AccumOffset: 36
; Occupancy: 7
; WaveLimiterHint : 1
; COMPUTE_PGM_RSRC2:SCRATCH_EN: 0
; COMPUTE_PGM_RSRC2:USER_SGPR: 2
; COMPUTE_PGM_RSRC2:TRAP_HANDLER: 0
; COMPUTE_PGM_RSRC2:TGID_X_EN: 1
; COMPUTE_PGM_RSRC2:TGID_Y_EN: 0
; COMPUTE_PGM_RSRC2:TGID_Z_EN: 0
; COMPUTE_PGM_RSRC2:TIDIG_COMP_CNT: 1
; COMPUTE_PGM_RSRC3_GFX90A:ACCUM_OFFSET: 8
; COMPUTE_PGM_RSRC3_GFX90A:TG_SPLIT: 0
	.section	.text._ZN9rocsparseL19bsric0_17_32_kernelILi64ELi128ELi32EfEEv20rocsparse_direction_iiPKiS3_PT2_S3_PiS3_S6_21rocsparse_index_base_,"axG",@progbits,_ZN9rocsparseL19bsric0_17_32_kernelILi64ELi128ELi32EfEEv20rocsparse_direction_iiPKiS3_PT2_S3_PiS3_S6_21rocsparse_index_base_,comdat
	.globl	_ZN9rocsparseL19bsric0_17_32_kernelILi64ELi128ELi32EfEEv20rocsparse_direction_iiPKiS3_PT2_S3_PiS3_S6_21rocsparse_index_base_ ; -- Begin function _ZN9rocsparseL19bsric0_17_32_kernelILi64ELi128ELi32EfEEv20rocsparse_direction_iiPKiS3_PT2_S3_PiS3_S6_21rocsparse_index_base_
	.p2align	8
	.type	_ZN9rocsparseL19bsric0_17_32_kernelILi64ELi128ELi32EfEEv20rocsparse_direction_iiPKiS3_PT2_S3_PiS3_S6_21rocsparse_index_base_,@function
_ZN9rocsparseL19bsric0_17_32_kernelILi64ELi128ELi32EfEEv20rocsparse_direction_iiPKiS3_PT2_S3_PiS3_S6_21rocsparse_index_base_: ; @_ZN9rocsparseL19bsric0_17_32_kernelILi64ELi128ELi32EfEEv20rocsparse_direction_iiPKiS3_PT2_S3_PiS3_S6_21rocsparse_index_base_
; %bb.0:
	s_load_dwordx8 s[12:19], s[0:1], 0x28
	s_mov_b32 s3, 0
	s_lshl_b64 s[2:3], s[2:3], 2
	v_and_b32_e32 v1, 0x3ff, v0
	v_bfe_u32 v0, v0, 10, 10
	s_waitcnt lgkmcnt(0)
	s_add_u32 s2, s16, s2
	s_addc_u32 s3, s17, s3
	s_load_dword s16, s[2:3], 0x0
	s_waitcnt lgkmcnt(0)
	s_ashr_i32 s17, s16, 31
	s_lshl_b64 s[10:11], s[16:17], 2
	s_add_u32 s2, s12, s10
	s_addc_u32 s3, s13, s11
	s_load_dword s33, s[2:3], 0x0
	s_load_dword s17, s[0:1], 0x48
	s_waitcnt lgkmcnt(0)
	s_cmp_lg_u32 s33, -1
	s_cbranch_scc0 .LBB18_132
; %bb.1:
	s_load_dwordx4 s[20:23], s[0:1], 0x10
	s_load_dwordx2 s[24:25], s[0:1], 0x20
	v_lshlrev_b32_e32 v2, 1, v0
	v_lshlrev_b32_e32 v6, 2, v1
	s_waitcnt lgkmcnt(0)
	s_add_u32 s2, s20, s10
	s_addc_u32 s3, s21, s11
	s_load_dword s2, s[2:3], 0x0
	s_waitcnt lgkmcnt(0)
	s_sub_i32 s52, s2, s17
	v_add3_u32 v2, v2, v1, s52
	v_cmp_ge_i32_e32 vcc, s33, v2
	s_and_saveexec_b64 s[2:3], vcc
	s_cbranch_execz .LBB18_4
; %bb.2:
	v_lshlrev_b32_e32 v3, 3, v0
	v_lshlrev_b32_e32 v4, 2, v1
	s_movk_i32 s4, 0x3580
	v_add3_u32 v4, v3, v4, s4
	s_mov_b64 s[4:5], 0
.LBB18_3:                               ; =>This Inner Loop Header: Depth=1
	v_ashrrev_i32_e32 v3, 31, v2
	v_lshl_add_u64 v[8:9], v[2:3], 2, s[22:23]
	global_load_dword v3, v[8:9], off
	v_add_u32_e32 v2, 64, v2
	v_cmp_lt_i32_e32 vcc, s33, v2
	s_or_b64 s[4:5], vcc, s[4:5]
	s_waitcnt vmcnt(0)
	v_subrev_u32_e32 v3, s17, v3
	ds_write_b32 v4, v3
	v_add_u32_e32 v4, 0x100, v4
	s_andn2_b64 exec, exec, s[4:5]
	s_cbranch_execnz .LBB18_3
.LBB18_4:
	s_or_b64 exec, exec, s[2:3]
	v_cmp_gt_u32_e32 vcc, 32, v1
	s_and_saveexec_b64 s[2:3], vcc
	s_cbranch_execz .LBB18_7
; %bb.5:
	v_mul_u32_u24_e32 v3, 0x84, v0
	v_lshlrev_b32_e32 v4, 2, v1
	s_movk_i32 s4, 0x2100
	v_add_u32_e32 v2, -2, v1
	v_add3_u32 v3, v3, v4, s4
	s_mov_b64 s[4:5], 0
	v_mov_b32_e32 v4, 0
.LBB18_6:                               ; =>This Inner Loop Header: Depth=1
	v_add_u32_e32 v2, 2, v2
	v_cmp_lt_u32_e32 vcc, 29, v2
	ds_write_b32 v3, v4
	s_or_b64 s[4:5], vcc, s[4:5]
	v_add_u32_e32 v3, 8, v3
	s_andn2_b64 exec, exec, s[4:5]
	s_cbranch_execnz .LBB18_6
.LBB18_7:
	s_or_b64 exec, exec, s[2:3]
	s_load_dword s50, s[0:1], 0x8
	s_load_dword s51, s[0:1], 0x0
	s_cmp_ge_i32 s52, s33
	s_waitcnt lgkmcnt(0)
	v_cmp_gt_i32_e64 s[0:1], s50, v1
	v_xad_u32 v7, v1, -1, s50
	s_cbranch_scc1 .LBB18_86
; %bb.8:
	v_or_b32_e32 v3, v1, v0
	v_cmp_ne_u32_e64 s[4:5], 0, v3
	v_lshrrev_b32_e32 v3, 1, v7
	s_cmp_eq_u32 s51, 0
	v_add_u32_e32 v3, 1, v3
	s_cselect_b64 s[26:27], -1, 0
	s_cmp_lg_u32 s51, 0
	s_movk_i32 s34, 0x84
	v_mov_b32_e32 v2, 0x1080
	v_and_b32_e32 v11, -4, v3
	v_lshlrev_b32_e32 v13, 2, v1
	s_mul_i32 s35, s50, s52
	s_cselect_b64 s[28:29], -1, 0
	v_mad_u32_u24 v9, v0, s34, v2
	s_cmp_gt_i32 s50, 0
	v_lshl_add_u32 v12, v11, 1, v1
	v_cmp_ne_u32_e64 s[8:9], v3, v11
	v_mad_u32_u24 v14, v0, s34, v13
	v_add_u32_e32 v3, s35, v0
	v_mad_u32_u24 v18, v1, s34, v2
	v_mov_b32_e32 v2, 0x2100
	s_mul_i32 s53, s50, s50
	v_cmp_gt_i32_e64 s[2:3], s50, v0
	v_mul_u32_u24_e32 v8, 0x84, v0
	v_mul_lo_u32 v10, s50, v0
	s_cselect_b64 s[30:31], -1, 0
	v_cmp_lt_u32_e64 s[6:7], 5, v7
	v_mul_lo_u32 v16, s50, v3
	v_mul_lo_u32 v15, v1, s50
	s_lshl_b32 s54, s50, 1
	v_mul_u32_u24_e32 v17, 0x84, v1
	v_add_u32_e32 v19, 0x2100, v14
	v_mad_u32_u24 v20, v0, s34, v2
	v_add_u32_e32 v21, 0x1080, v14
	v_mov_b32_e32 v22, 0
	v_lshlrev_b32_e32 v23, 2, v12
	v_mul_lo_u32 v24, v12, s34
	s_mov_b32 s34, s52
	s_branch .LBB18_10
.LBB18_9:                               ;   in Loop: Header=BB18_10 Depth=1
	s_or_b64 exec, exec, s[36:37]
	s_add_i32 s34, s34, 1
	s_cmp_ge_i32 s34, s33
	buffer_wbl2 sc1
	s_waitcnt vmcnt(0)
	buffer_inv sc1
	v_add_u32_e32 v16, s53, v16
	s_cselect_b64 s[36:37], -1, 0
	s_and_b64 vcc, exec, s[36:37]
	s_cbranch_vccnz .LBB18_86
.LBB18_10:                              ; =>This Loop Header: Depth=1
                                        ;     Child Loop BB18_14 Depth 2
                                        ;     Child Loop BB18_26 Depth 2
                                        ;     Child Loop BB18_37 Depth 2
                                        ;     Child Loop BB18_41 Depth 2
                                        ;       Child Loop BB18_43 Depth 3
                                        ;         Child Loop BB18_48 Depth 4
                                        ;     Child Loop BB18_57 Depth 2
                                        ;       Child Loop BB18_64 Depth 3
                                        ;       Child Loop BB18_69 Depth 3
	;; [unrolled: 1-line block ×3, first 2 shown]
                                        ;     Child Loop BB18_80 Depth 2
	s_ashr_i32 s35, s34, 31
	s_lshl_b64 s[36:37], s[34:35], 2
	s_add_u32 s36, s22, s36
	s_addc_u32 s37, s23, s37
	s_load_dword s55, s[36:37], 0x0
	s_waitcnt lgkmcnt(0)
	s_sub_i32 s38, s55, s17
	s_ashr_i32 s39, s38, 31
	s_lshl_b64 s[36:37], s[38:39], 2
	s_add_u32 s40, s12, s36
	s_addc_u32 s41, s13, s37
	s_load_dword s56, s[40:41], 0x0
	s_waitcnt lgkmcnt(0)
	s_cmp_eq_u32 s56, -1
	s_cbranch_scc1 .LBB18_85
; %bb.11:                               ;   in Loop: Header=BB18_10 Depth=1
	s_add_u32 s40, s20, s36
	s_addc_u32 s41, s21, s37
	s_load_dword s39, s[40:41], 0x0
	s_mul_i32 s35, s34, s50
	s_and_saveexec_b64 s[40:41], s[0:1]
	s_cbranch_execz .LBB18_24
; %bb.12:                               ;   in Loop: Header=BB18_10 Depth=1
	s_mov_b64 s[42:43], 0
	v_mov_b32_e32 v4, v14
	v_mov_b32_e32 v5, v1
	s_branch .LBB18_14
.LBB18_13:                              ;   in Loop: Header=BB18_14 Depth=2
	s_or_b64 exec, exec, s[46:47]
	v_add_u32_e32 v5, 2, v5
	v_cmp_le_i32_e32 vcc, s50, v5
	s_waitcnt vmcnt(0)
	ds_write_b32 v4, v3 offset:4224
	ds_write_b32 v4, v22
	s_or_b64 s[42:43], vcc, s[42:43]
	v_add_u32_e32 v4, 8, v4
	s_andn2_b64 exec, exec, s[42:43]
	s_cbranch_execz .LBB18_24
.LBB18_14:                              ;   Parent Loop BB18_10 Depth=1
                                        ; =>  This Inner Loop Header: Depth=2
	s_mov_b64 s[46:47], -1
	s_and_b64 vcc, exec, s[28:29]
	s_mov_b64 s[44:45], 0
                                        ; implicit-def: $vgpr2
	s_cbranch_vccz .LBB18_19
; %bb.15:                               ;   in Loop: Header=BB18_14 Depth=2
	s_mov_b64 s[46:47], 0
                                        ; implicit-def: $vgpr2
	s_and_saveexec_b64 s[48:49], s[2:3]
	s_xor_b64 s[48:49], exec, s[48:49]
; %bb.16:                               ;   in Loop: Header=BB18_14 Depth=2
	v_add_u32_e32 v2, s35, v5
	s_mov_b64 s[44:45], exec
	v_mad_u64_u32 v[2:3], s[58:59], v2, s50, v[0:1]
; %bb.17:                               ;   in Loop: Header=BB18_14 Depth=2
	s_or_b64 exec, exec, s[48:49]
	s_and_b64 vcc, exec, s[46:47]
	s_cbranch_vccnz .LBB18_20
.LBB18_18:                              ;   in Loop: Header=BB18_14 Depth=2
	v_mov_b32_e32 v3, 0
	s_and_saveexec_b64 s[46:47], s[44:45]
	s_cbranch_execz .LBB18_13
	s_branch .LBB18_23
.LBB18_19:                              ;   in Loop: Header=BB18_14 Depth=2
	s_and_b64 vcc, exec, s[46:47]
	s_cbranch_vccz .LBB18_18
.LBB18_20:                              ;   in Loop: Header=BB18_14 Depth=2
                                        ; implicit-def: $vgpr2
	s_and_saveexec_b64 s[46:47], s[2:3]
; %bb.21:                               ;   in Loop: Header=BB18_14 Depth=2
	v_add_u32_e32 v2, v16, v5
	s_or_b64 s[44:45], s[44:45], exec
; %bb.22:                               ;   in Loop: Header=BB18_14 Depth=2
	s_or_b64 exec, exec, s[46:47]
	v_mov_b32_e32 v3, 0
	s_and_saveexec_b64 s[46:47], s[44:45]
	s_cbranch_execz .LBB18_13
.LBB18_23:                              ;   in Loop: Header=BB18_14 Depth=2
	v_ashrrev_i32_e32 v3, 31, v2
	v_lshl_add_u64 v[2:3], v[2:3], 2, s[24:25]
	global_load_dword v3, v[2:3], off
	s_branch .LBB18_13
.LBB18_24:                              ;   in Loop: Header=BB18_10 Depth=1
	s_or_b64 exec, exec, s[40:41]
	ds_read_b32 v2, v22 offset:13696
	s_waitcnt lgkmcnt(0)
	s_sub_i32 s40, s39, s17
	s_cmp_le_i32 s40, s56
	s_cselect_b64 s[42:43], -1, 0
	s_mov_b32 s41, 0
	v_cmp_ge_i32_e32 vcc, s38, v2
	s_and_b64 s[42:43], s[42:43], vcc
	s_andn2_b64 vcc, exec, s[42:43]
	s_cbranch_vccnz .LBB18_36
; %bb.25:                               ;   in Loop: Header=BB18_10 Depth=1
	s_mov_b32 s39, 0
	s_mov_b32 s44, 0
.LBB18_26:                              ;   Parent Loop BB18_10 Depth=1
                                        ; =>  This Inner Loop Header: Depth=2
	s_ashr_i32 s41, s40, 31
	s_lshl_b64 s[42:43], s[40:41], 2
	s_add_u32 s42, s22, s42
	s_addc_u32 s43, s23, s43
	s_load_dword s41, s[42:43], 0x0
	s_lshl_b32 s42, s44, 2
	v_mov_b32_e32 v2, s42
	ds_read_b32 v2, v2 offset:13696
	s_mov_b64 s[42:43], -1
	s_waitcnt lgkmcnt(0)
	s_sub_i32 s48, s41, s17
                                        ; implicit-def: $sgpr41
                                        ; implicit-def: $sgpr47
                                        ; implicit-def: $sgpr46
	v_cmp_ge_i32_e32 vcc, s48, v2
	v_readfirstlane_b32 s45, v2
	s_cbranch_vccz .LBB18_32
; %bb.27:                               ;   in Loop: Header=BB18_26 Depth=2
	s_cmp_le_i32 s48, s45
                                        ; implicit-def: $sgpr41
                                        ; implicit-def: $sgpr47
                                        ; implicit-def: $sgpr46
	s_cbranch_scc0 .LBB18_29
; %bb.28:                               ;   in Loop: Header=BB18_26 Depth=2
	s_add_i32 s41, s44, s52
	s_mul_i32 s41, s41, s53
	s_lshl_b32 s42, s39, 2
	v_mov_b32_e32 v2, s42
	v_mov_b32_e32 v3, s41
	s_mul_i32 s41, s40, s53
	v_mov_b32_e32 v4, s41
	v_add_u32_e32 v2, 0x80, v2
	ds_write2st64_b32 v2, v4, v3 offset0:49 offset1:51
	s_add_i32 s46, s44, 1
	s_add_i32 s47, s40, 1
	;; [unrolled: 1-line block ×3, first 2 shown]
	s_mov_b64 s[42:43], 0
.LBB18_29:                              ;   in Loop: Header=BB18_26 Depth=2
	s_andn2_b64 vcc, exec, s[42:43]
	s_cbranch_vccnz .LBB18_31
; %bb.30:                               ;   in Loop: Header=BB18_26 Depth=2
	s_add_i32 s46, s44, 1
	s_mov_b32 s41, s39
	s_mov_b32 s47, s40
.LBB18_31:                              ;   in Loop: Header=BB18_26 Depth=2
	s_mov_b64 s[42:43], 0
.LBB18_32:                              ;   in Loop: Header=BB18_26 Depth=2
	s_andn2_b64 vcc, exec, s[42:43]
	s_cbranch_vccnz .LBB18_34
; %bb.33:                               ;   in Loop: Header=BB18_26 Depth=2
	s_add_i32 s47, s40, 1
	s_mov_b32 s46, s44
	s_mov_b32 s41, s39
.LBB18_34:                              ;   in Loop: Header=BB18_26 Depth=2
	s_cmp_le_i32 s47, s56
	s_cselect_b64 s[42:43], -1, 0
	s_cmp_le_i32 s45, s38
	s_cselect_b64 s[44:45], -1, 0
	s_and_b64 s[42:43], s[42:43], s[44:45]
	s_and_b64 vcc, exec, s[42:43]
	s_cbranch_vccz .LBB18_36
; %bb.35:                               ;   in Loop: Header=BB18_26 Depth=2
	s_mov_b32 s39, s41
	s_mov_b32 s40, s47
	s_mov_b32 s44, s46
	s_branch .LBB18_26
.LBB18_36:                              ;   in Loop: Header=BB18_10 Depth=1
	s_add_u32 s36, s14, s36
	s_addc_u32 s37, s15, s37
	s_waitcnt lgkmcnt(0)
.LBB18_37:                              ;   Parent Loop BB18_10 Depth=1
                                        ; =>  This Inner Loop Header: Depth=2
	global_load_dword v2, v22, s[36:37] sc1
	s_waitcnt vmcnt(0)
	v_cmp_eq_u32_e32 vcc, 0, v2
	s_cbranch_vccnz .LBB18_37
; %bb.38:                               ;   in Loop: Header=BB18_10 Depth=1
	s_cmp_lt_i32 s41, 2
	buffer_inv sc1
	s_cbranch_scc1 .LBB18_54
; %bb.39:                               ;   in Loop: Header=BB18_10 Depth=1
	s_add_i32 s42, s41, -2
	s_mov_b32 s43, 0
	s_branch .LBB18_41
.LBB18_40:                              ;   in Loop: Header=BB18_41 Depth=2
	s_or_b64 exec, exec, s[36:37]
	s_add_i32 s36, s43, 1
	s_cmp_eq_u32 s43, s42
	s_mov_b32 s43, s36
	s_cbranch_scc1 .LBB18_54
.LBB18_41:                              ;   Parent Loop BB18_10 Depth=1
                                        ; =>  This Loop Header: Depth=2
                                        ;       Child Loop BB18_43 Depth 3
                                        ;         Child Loop BB18_48 Depth 4
	s_and_saveexec_b64 s[36:37], s[0:1]
	s_cbranch_execz .LBB18_40
; %bb.42:                               ;   in Loop: Header=BB18_41 Depth=2
	s_lshl_b32 s38, s43, 2
	v_mov_b32_e32 v2, s38
	v_add_u32_e32 v2, 0x80, v2
	ds_read2st64_b32 v[2:3], v2 offset0:49 offset1:51
	s_mov_b64 s[38:39], 0
	v_mov_b32_e32 v29, v1
	s_waitcnt lgkmcnt(0)
	v_add_u32_e32 v25, v3, v10
	v_add_u32_e32 v26, v0, v3
	;; [unrolled: 1-line block ×4, first 2 shown]
.LBB18_43:                              ;   Parent Loop BB18_10 Depth=1
                                        ;     Parent Loop BB18_41 Depth=2
                                        ; =>    This Loop Header: Depth=3
                                        ;         Child Loop BB18_48 Depth 4
	v_mov_b32_e32 v30, 0
	s_mov_b32 s44, 0
	v_mov_b32_e32 v2, v27
	v_mov_b32_e32 v4, v26
	s_mov_b64 s[40:41], -1
	s_and_b64 vcc, exec, s[28:29]
                                        ; implicit-def: $vgpr3
	s_cbranch_vccz .LBB18_48
	s_branch .LBB18_45
.LBB18_44:                              ;   in Loop: Header=BB18_48 Depth=4
	v_mov_b32_e32 v30, v3
	s_mov_b64 s[40:41], -1
	s_and_b64 vcc, exec, s[28:29]
                                        ; implicit-def: $vgpr3
	s_cbranch_vccz .LBB18_48
.LBB18_45:                              ;   in Loop: Header=BB18_43 Depth=3
	v_ashrrev_i32_e32 v3, 31, v2
	v_lshl_add_u64 v[32:33], v[2:3], 2, s[24:25]
	global_load_dword v3, v[32:33], off
	v_mov_b32_e32 v5, 0
	s_and_saveexec_b64 s[40:41], s[2:3]
	s_cbranch_execz .LBB18_47
; %bb.46:                               ;   in Loop: Header=BB18_43 Depth=3
	v_ashrrev_i32_e32 v5, 31, v4
	v_lshl_add_u64 v[32:33], v[4:5], 2, s[24:25]
	global_load_dword v5, v[32:33], off
.LBB18_47:                              ;   in Loop: Header=BB18_43 Depth=3
	s_or_b64 exec, exec, s[40:41]
	s_waitcnt vmcnt(0)
	v_fma_f32 v3, v3, v5, v30
	s_mov_b64 s[40:41], 0
.LBB18_48:                              ;   Parent Loop BB18_10 Depth=1
                                        ;     Parent Loop BB18_41 Depth=2
                                        ;       Parent Loop BB18_43 Depth=3
                                        ; =>      This Inner Loop Header: Depth=4
	s_and_b64 vcc, exec, s[40:41]
	s_cbranch_vccz .LBB18_52
; %bb.49:                               ;   in Loop: Header=BB18_48 Depth=4
	v_add_u32_e32 v32, s44, v28
	v_ashrrev_i32_e32 v33, 31, v32
	v_lshl_add_u64 v[32:33], v[32:33], 2, s[24:25]
	global_load_dword v3, v[32:33], off
	v_mov_b32_e32 v5, 0
	s_and_saveexec_b64 s[40:41], s[2:3]
	s_cbranch_execz .LBB18_51
; %bb.50:                               ;   in Loop: Header=BB18_48 Depth=4
	v_add_u32_e32 v32, s44, v25
	v_ashrrev_i32_e32 v33, 31, v32
	v_lshl_add_u64 v[32:33], v[32:33], 2, s[24:25]
	global_load_dword v5, v[32:33], off
.LBB18_51:                              ;   in Loop: Header=BB18_48 Depth=4
	s_or_b64 exec, exec, s[40:41]
	s_waitcnt vmcnt(0)
	v_fmac_f32_e32 v30, v3, v5
	v_mov_b32_e32 v3, v30
.LBB18_52:                              ;   in Loop: Header=BB18_48 Depth=4
	s_add_i32 s44, s44, 1
	v_add_u32_e32 v4, s50, v4
	s_cmp_eq_u32 s50, s44
	v_add_u32_e32 v2, s50, v2
	s_cbranch_scc0 .LBB18_44
; %bb.53:                               ;   in Loop: Header=BB18_43 Depth=3
	v_lshl_add_u32 v2, v29, 2, v8
	ds_read_b32 v4, v2
	v_add_u32_e32 v29, 2, v29
	v_cmp_le_i32_e32 vcc, s50, v29
	v_add_u32_e32 v27, 2, v27
	s_or_b64 s[38:39], vcc, s[38:39]
	s_waitcnt lgkmcnt(0)
	v_add_f32_e32 v3, v3, v4
	v_add_u32_e32 v28, s54, v28
	ds_write_b32 v2, v3
	s_andn2_b64 exec, exec, s[38:39]
	s_cbranch_execnz .LBB18_43
	s_branch .LBB18_40
.LBB18_54:                              ;   in Loop: Header=BB18_10 Depth=1
	s_andn2_b64 vcc, exec, s[30:31]
	s_waitcnt lgkmcnt(0)
	s_cbranch_vccnz .LBB18_76
; %bb.55:                               ;   in Loop: Header=BB18_10 Depth=1
	s_mul_i32 s44, s53, s56
	s_mov_b32 s45, 0
	s_movk_i32 s46, 0x1080
	v_mov_b32_e32 v27, s55
	v_mov_b32_e32 v4, v18
	s_mov_b32 s47, s44
	s_branch .LBB18_57
.LBB18_56:                              ;   in Loop: Header=BB18_57 Depth=2
	s_or_b64 exec, exec, s[36:37]
	s_add_i32 s45, s45, 1
	s_add_i32 s47, s47, 1
	;; [unrolled: 1-line block ×3, first 2 shown]
	s_cmp_eq_u32 s45, s50
	v_add_u32_e32 v4, 4, v4
	s_waitcnt lgkmcnt(0)
	s_cbranch_scc1 .LBB18_76
.LBB18_57:                              ;   Parent Loop BB18_10 Depth=1
                                        ; =>  This Loop Header: Depth=2
                                        ;       Child Loop BB18_64 Depth 3
                                        ;       Child Loop BB18_69 Depth 3
	;; [unrolled: 1-line block ×3, first 2 shown]
	s_mul_i32 s40, s45, s50
	s_add_i32 s40, s40, s44
	s_add_i32 s36, s40, s45
	s_ashr_i32 s37, s36, 31
	s_lshl_b64 s[36:37], s[36:37], 2
	s_add_u32 s36, s24, s36
	s_addc_u32 s37, s25, s37
	global_load_dword v5, v22, s[36:37]
	v_lshl_add_u32 v3, s45, 2, v9
	ds_read_b32 v2, v3
	s_waitcnt vmcnt(0)
	v_cmp_neq_f32_e32 vcc, 0, v5
	s_nop 1
	v_cndmask_b32_e32 v5, 1.0, v5, vcc
	s_nor_b64 s[38:39], vcc, s[4:5]
	s_and_saveexec_b64 s[36:37], s[38:39]
	s_cbranch_execz .LBB18_61
; %bb.58:                               ;   in Loop: Header=BB18_57 Depth=2
	v_mbcnt_lo_u32_b32 v5, exec_lo, 0
	v_mbcnt_hi_u32_b32 v5, exec_hi, v5
	v_cmp_eq_u32_e32 vcc, 0, v5
	s_and_saveexec_b64 s[38:39], vcc
	s_cbranch_execz .LBB18_60
; %bb.59:                               ;   in Loop: Header=BB18_57 Depth=2
	global_atomic_smin v22, v27, s[18:19]
.LBB18_60:                              ;   in Loop: Header=BB18_57 Depth=2
	s_or_b64 exec, exec, s[38:39]
	v_mov_b32_e32 v5, 1.0
.LBB18_61:                              ;   in Loop: Header=BB18_57 Depth=2
	s_or_b64 exec, exec, s[36:37]
	v_lshl_add_u32 v25, s45, 2, v8
	ds_read_b32 v25, v25
	s_cmp_eq_u32 s45, 0
	s_cbranch_scc1 .LBB18_66
; %bb.62:                               ;   in Loop: Header=BB18_57 Depth=2
	s_mov_b32 s38, 0
	s_mov_b32 s39, s45
	;; [unrolled: 1-line block ×3, first 2 shown]
	v_mov_b32_e32 v26, v9
	s_branch .LBB18_64
.LBB18_63:                              ;   in Loop: Header=BB18_64 Depth=3
	s_ashr_i32 s37, s36, 31
	s_lshl_b64 s[36:37], s[36:37], 2
	s_add_u32 s36, s24, s36
	s_addc_u32 s37, s25, s37
	global_load_dword v28, v22, s[36:37]
	ds_read_b32 v29, v26
	s_add_i32 s38, s38, 1
	s_add_i32 s41, s41, s50
	s_add_i32 s39, s39, -1
	s_cmp_eq_u32 s39, 0
	v_add_u32_e32 v26, 4, v26
	s_waitcnt vmcnt(0) lgkmcnt(0)
	v_fmac_f32_e32 v25, v28, v29
	s_cbranch_scc1 .LBB18_66
.LBB18_64:                              ;   Parent Loop BB18_10 Depth=1
                                        ;     Parent Loop BB18_57 Depth=2
                                        ; =>    This Inner Loop Header: Depth=3
	s_andn2_b64 vcc, exec, s[26:27]
	s_mov_b32 s36, s41
	s_cbranch_vccnz .LBB18_63
; %bb.65:                               ;   in Loop: Header=BB18_64 Depth=3
	s_add_i32 s36, s38, s40
	s_branch .LBB18_63
.LBB18_66:                              ;   in Loop: Header=BB18_57 Depth=2
	s_waitcnt lgkmcnt(0)
	v_sub_f32_e32 v2, v2, v25
	v_div_scale_f32 v25, s[36:37], v5, v5, v2
	v_rcp_f32_e32 v26, v25
	v_div_scale_f32 v28, vcc, v2, v5, v2
	v_fma_f32 v29, -v25, v26, 1.0
	v_fmac_f32_e32 v26, v29, v26
	v_mul_f32_e32 v29, v28, v26
	v_fma_f32 v30, -v25, v29, v28
	v_fmac_f32_e32 v29, v30, v26
	v_fma_f32 v25, -v25, v29, v28
	v_div_fmas_f32 v25, v25, v26, v29
	v_div_fixup_f32 v2, v25, v5, v2
	ds_write_b32 v3, v2
	s_waitcnt lgkmcnt(0)
	s_and_saveexec_b64 s[36:37], s[0:1]
	s_cbranch_execz .LBB18_56
; %bb.67:                               ;   in Loop: Header=BB18_57 Depth=2
	s_mov_b64 s[40:41], -1
	v_mov_b32_e32 v3, v1
	v_mov_b32_e32 v5, v13
	;; [unrolled: 1-line block ×3, first 2 shown]
	s_and_saveexec_b64 s[38:39], s[6:7]
	s_cbranch_execz .LBB18_73
; %bb.68:                               ;   in Loop: Header=BB18_57 Depth=2
	v_mov_b32_e32 v3, v2
	s_mov_b64 s[40:41], 0
	v_mov_b32_e32 v5, v11
	v_mov_b32_e32 v25, v19
	;; [unrolled: 1-line block ×3, first 2 shown]
.LBB18_69:                              ;   Parent Loop BB18_10 Depth=1
                                        ;     Parent Loop BB18_57 Depth=2
                                        ; =>    This Inner Loop Header: Depth=3
	ds_read2_b32 v[28:29], v26 offset1:66
	ds_read2_b32 v[30:31], v26 offset0:132 offset1:198
	ds_read2_b32 v[32:33], v25 offset1:2
	ds_read2_b32 v[34:35], v25 offset0:4 offset1:6
	v_add_u32_e32 v5, -4, v5
	v_cmp_eq_u32_e32 vcc, 0, v5
	v_add_u32_e32 v26, 0x420, v26
	s_waitcnt lgkmcnt(1)
	v_pk_fma_f32 v[28:29], v[2:3], v[28:29], v[32:33]
	s_waitcnt lgkmcnt(0)
	v_pk_fma_f32 v[30:31], v[2:3], v[30:31], v[34:35]
	ds_write2_b32 v25, v28, v29 offset1:2
	ds_write2_b32 v25, v30, v31 offset0:4 offset1:6
	s_or_b64 s[40:41], vcc, s[40:41]
	v_add_u32_e32 v25, 32, v25
	s_andn2_b64 exec, exec, s[40:41]
	s_cbranch_execnz .LBB18_69
; %bb.70:                               ;   in Loop: Header=BB18_57 Depth=2
	s_or_b64 exec, exec, s[40:41]
	s_mov_b64 s[40:41], 0
	s_and_saveexec_b64 s[42:43], s[8:9]
; %bb.71:                               ;   in Loop: Header=BB18_57 Depth=2
	s_mov_b64 s[40:41], exec
; %bb.72:                               ;   in Loop: Header=BB18_57 Depth=2
	s_or_b64 exec, exec, s[42:43]
	s_orn2_b64 s[40:41], s[40:41], exec
	v_mov_b32_e32 v3, v12
	v_mov_b32_e32 v5, v23
	;; [unrolled: 1-line block ×3, first 2 shown]
.LBB18_73:                              ;   in Loop: Header=BB18_57 Depth=2
	s_or_b64 exec, exec, s[38:39]
	s_and_b64 exec, exec, s[40:41]
	s_cbranch_execz .LBB18_56
; %bb.74:                               ;   in Loop: Header=BB18_57 Depth=2
	v_add_u32_e32 v5, v20, v5
	v_add_u32_e32 v25, s46, v25
	s_mov_b64 s[38:39], 0
.LBB18_75:                              ;   Parent Loop BB18_10 Depth=1
                                        ;     Parent Loop BB18_57 Depth=2
                                        ; =>    This Inner Loop Header: Depth=3
	ds_read_b32 v26, v25
	ds_read_b32 v28, v5
	v_add_u32_e32 v3, 2, v3
	v_cmp_le_i32_e32 vcc, s50, v3
	s_or_b64 s[38:39], vcc, s[38:39]
	v_add_u32_e32 v25, 0x108, v25
	s_waitcnt lgkmcnt(0)
	v_fmac_f32_e32 v28, v2, v26
	ds_write_b32 v5, v28
	v_add_u32_e32 v5, 8, v5
	s_andn2_b64 exec, exec, s[38:39]
	s_cbranch_execnz .LBB18_75
	s_branch .LBB18_56
.LBB18_76:                              ;   in Loop: Header=BB18_10 Depth=1
	s_and_saveexec_b64 s[36:37], s[0:1]
	s_cbranch_execz .LBB18_9
; %bb.77:                               ;   in Loop: Header=BB18_10 Depth=1
	s_mov_b64 s[38:39], 0
	v_mov_b32_e32 v4, v21
	v_mov_b32_e32 v5, v1
	s_branch .LBB18_80
.LBB18_78:                              ;   in Loop: Header=BB18_80 Depth=2
	v_ashrrev_i32_e32 v3, 31, v2
	v_lshl_add_u64 v[2:3], v[2:3], 2, s[24:25]
	s_waitcnt lgkmcnt(0)
	global_store_dword v[2:3], v25, off
.LBB18_79:                              ;   in Loop: Header=BB18_80 Depth=2
	s_or_b64 exec, exec, s[40:41]
	v_add_u32_e32 v5, 2, v5
	v_cmp_le_i32_e32 vcc, s50, v5
	s_or_b64 s[38:39], vcc, s[38:39]
	v_add_u32_e32 v4, 8, v4
	s_andn2_b64 exec, exec, s[38:39]
	s_cbranch_execz .LBB18_9
.LBB18_80:                              ;   Parent Loop BB18_10 Depth=1
                                        ; =>  This Inner Loop Header: Depth=2
	s_and_saveexec_b64 s[40:41], s[2:3]
	s_cbranch_execz .LBB18_79
; %bb.81:                               ;   in Loop: Header=BB18_80 Depth=2
	ds_read_b32 v25, v4
	s_mov_b64 s[42:43], -1
	s_and_b64 vcc, exec, s[28:29]
                                        ; implicit-def: $vgpr2
	s_cbranch_vccz .LBB18_83
; %bb.82:                               ;   in Loop: Header=BB18_80 Depth=2
	v_add_u32_e32 v2, s35, v5
	v_mad_u64_u32 v[2:3], s[42:43], v2, s50, v[0:1]
	s_mov_b64 s[42:43], 0
.LBB18_83:                              ;   in Loop: Header=BB18_80 Depth=2
	s_andn2_b64 vcc, exec, s[42:43]
	s_cbranch_vccnz .LBB18_78
; %bb.84:                               ;   in Loop: Header=BB18_80 Depth=2
	v_add_u32_e32 v2, v16, v5
	s_branch .LBB18_78
.LBB18_85:                              ;   in Loop: Header=BB18_10 Depth=1
                                        ; implicit-def: $sgpr34
                                        ; implicit-def: $vgpr16
	s_cbranch_execz .LBB18_10
.LBB18_86:
	v_cmp_gt_i32_e64 s[0:1], s50, v1
	s_and_saveexec_b64 s[4:5], s[0:1]
	s_cbranch_execz .LBB18_99
; %bb.87:
	s_mul_i32 s26, s33, s50
	v_add_u32_e32 v2, s26, v0
	s_cmp_lg_u32 s51, 0
	v_mul_lo_u32 v4, v2, s50
	v_mul_u32_u24_e32 v2, 0x84, v0
	v_lshlrev_b32_e32 v3, 2, v1
	s_movk_i32 s8, 0x1080
	s_cselect_b64 s[6:7], -1, 0
	v_cmp_gt_i32_e64 s[2:3], s50, v0
	v_add3_u32 v5, v2, v3, s8
	s_mov_b64 s[8:9], 0
	v_mov_b32_e32 v8, v1
	s_branch .LBB18_89
.LBB18_88:                              ;   in Loop: Header=BB18_89 Depth=1
	s_or_b64 exec, exec, s[20:21]
	v_add_u32_e32 v8, 2, v8
	v_cmp_le_i32_e32 vcc, s50, v8
	s_waitcnt vmcnt(0)
	ds_write_b32 v5, v3
	s_or_b64 s[8:9], vcc, s[8:9]
	v_add_u32_e32 v5, 8, v5
	s_andn2_b64 exec, exec, s[8:9]
	s_cbranch_execz .LBB18_99
.LBB18_89:                              ; =>This Inner Loop Header: Depth=1
	s_and_b64 vcc, exec, s[6:7]
	s_cbranch_vccz .LBB18_96
; %bb.90:                               ;   in Loop: Header=BB18_89 Depth=1
	s_mov_b64 s[20:21], 0
	s_mov_b64 s[12:13], 0
                                        ; implicit-def: $vgpr2
	s_and_saveexec_b64 s[22:23], s[2:3]
	s_xor_b64 s[22:23], exec, s[22:23]
; %bb.91:                               ;   in Loop: Header=BB18_89 Depth=1
	v_add_u32_e32 v2, s26, v8
	s_mov_b64 s[12:13], exec
	v_mad_u64_u32 v[2:3], s[28:29], v2, s50, v[0:1]
; %bb.92:                               ;   in Loop: Header=BB18_89 Depth=1
	s_or_b64 exec, exec, s[22:23]
	s_and_b64 vcc, exec, s[20:21]
	s_cbranch_vccz .LBB18_97
.LBB18_93:                              ;   in Loop: Header=BB18_89 Depth=1
                                        ; implicit-def: $vgpr2
	s_and_saveexec_b64 s[20:21], s[2:3]
; %bb.94:                               ;   in Loop: Header=BB18_89 Depth=1
	v_add_u32_e32 v2, v4, v8
	s_or_b64 s[12:13], s[12:13], exec
; %bb.95:                               ;   in Loop: Header=BB18_89 Depth=1
	s_or_b64 exec, exec, s[20:21]
	v_mov_b32_e32 v3, 0
	s_and_saveexec_b64 s[20:21], s[12:13]
	s_cbranch_execz .LBB18_88
	s_branch .LBB18_98
.LBB18_96:                              ;   in Loop: Header=BB18_89 Depth=1
	s_mov_b64 s[12:13], 0
                                        ; implicit-def: $vgpr2
	s_cbranch_execnz .LBB18_93
.LBB18_97:                              ;   in Loop: Header=BB18_89 Depth=1
	v_mov_b32_e32 v3, 0
	s_and_saveexec_b64 s[20:21], s[12:13]
	s_cbranch_execz .LBB18_88
.LBB18_98:                              ;   in Loop: Header=BB18_89 Depth=1
	v_ashrrev_i32_e32 v3, 31, v2
	v_lshl_add_u64 v[2:3], v[2:3], 2, s[24:25]
	global_load_dword v3, v[2:3], off
	s_branch .LBB18_88
.LBB18_99:
	s_or_b64 exec, exec, s[4:5]
	s_cmp_lt_i32 s50, 1
	s_waitcnt lgkmcnt(0)
	s_cbranch_scc1 .LBB18_119
; %bb.100:
	v_lshrrev_b32_e32 v10, 1, v7
	v_or_b32_e32 v5, v1, v0
	v_add_u32_e32 v11, 1, v10
	s_movk_i32 s8, 0x84
	v_mov_b32_e32 v2, 0x1080
	v_cmp_ne_u32_e64 s[2:3], 0, v5
	v_mov_b32_e32 v5, 0x2100
	v_cmp_lt_u32_e64 s[4:5], 5, v7
	v_and_b32_e32 v7, -4, v11
	v_mad_u32_u24 v4, v0, s8, v2
	v_mul_u32_u24_e32 v3, 0x84, v0
	s_add_i32 s9, s16, s17
	s_movk_i32 s12, 0x2100
	v_mad_u32_u24 v5, v0, s8, v5
	v_lshlrev_b32_e32 v9, 2, v0
	v_lshl_add_u32 v10, v7, 1, v1
	s_movk_i32 s26, 0x1080
	s_mov_b32 s27, 0
	v_add_u32_e32 v8, v4, v9
	v_add_u32_e32 v9, v5, v9
	v_cmp_ne_u32_e64 s[6:7], v11, v7
	v_mul_u32_u24_e32 v11, 0x84, v1
	v_mad_u32_u24 v12, v1, s8, v2
	v_add3_u32 v13, v3, v6, s12
	s_mov_b32 s28, 0xf800000
	v_mov_b32_e32 v14, 0x260
	v_mov_b32_e32 v15, 0
	;; [unrolled: 1-line block ×3, first 2 shown]
	v_lshlrev_b32_e32 v16, 2, v10
	v_mul_lo_u32 v17, v10, s8
	s_branch .LBB18_102
.LBB18_101:                             ;   in Loop: Header=BB18_102 Depth=1
	s_or_b64 exec, exec, s[8:9]
	s_add_i32 s27, s27, 1
	s_add_i32 s26, s26, 4
	s_cmp_eq_u32 s27, s50
	v_add_u32_e32 v12, 4, v12
	s_waitcnt lgkmcnt(0)
	s_cbranch_scc1 .LBB18_119
.LBB18_102:                             ; =>This Loop Header: Depth=1
                                        ;     Child Loop BB18_112 Depth 2
                                        ;     Child Loop BB18_118 Depth 2
	v_cmp_eq_u32_e32 vcc, s27, v0
	s_and_saveexec_b64 s[12:13], vcc
	s_cbranch_execz .LBB18_104
; %bb.103:                              ;   in Loop: Header=BB18_102 Depth=1
	ds_read_b32 v2, v8
	ds_read_b32 v3, v9
	s_waitcnt lgkmcnt(0)
	v_sub_f32_e32 v2, v2, v3
	v_cmp_gt_f32_e32 vcc, 0, v2
	s_nop 1
	v_cndmask_b32_e64 v2, v2, -v2, vcc
	v_mul_f32_e32 v3, 0x4f800000, v2
	v_cmp_gt_f32_e32 vcc, s28, v2
	s_nop 1
	v_cndmask_b32_e32 v2, v2, v3, vcc
	v_sqrt_f32_e32 v3, v2
	s_nop 0
	v_add_u32_e32 v18, -1, v3
	v_add_u32_e32 v19, 1, v3
	v_fma_f32 v20, -v18, v3, v2
	v_fma_f32 v22, -v19, v3, v2
	v_cmp_ge_f32_e64 s[8:9], 0, v20
	s_nop 1
	v_cndmask_b32_e64 v3, v3, v18, s[8:9]
	v_cmp_lt_f32_e64 s[8:9], 0, v22
	s_nop 1
	v_cndmask_b32_e64 v3, v3, v19, s[8:9]
	v_mul_f32_e32 v18, 0x37800000, v3
	v_cndmask_b32_e32 v3, v3, v18, vcc
	v_cmp_class_f32_e32 vcc, v2, v14
	s_nop 1
	v_cndmask_b32_e32 v2, v3, v2, vcc
	ds_write_b32 v8, v2
.LBB18_104:                             ;   in Loop: Header=BB18_102 Depth=1
	s_or_b64 exec, exec, s[12:13]
	s_lshl_b32 s8, s27, 2
	s_mul_i32 s9, s27, 0x84
	s_add_i32 s9, s9, s8
	v_mov_b32_e32 v2, s9
	s_waitcnt lgkmcnt(0)
	ds_read_b32 v18, v2 offset:4224
	v_add_u32_e32 v3, s8, v4
	ds_read_b32 v2, v3
	s_waitcnt lgkmcnt(1)
	v_cmp_neq_f32_e32 vcc, 0, v18
	s_nop 1
	v_cndmask_b32_e32 v18, 1.0, v18, vcc
	s_nor_b64 s[12:13], vcc, s[2:3]
	s_and_saveexec_b64 s[8:9], s[12:13]
	s_cbranch_execz .LBB18_108
; %bb.105:                              ;   in Loop: Header=BB18_102 Depth=1
	v_mbcnt_lo_u32_b32 v18, exec_lo, 0
	v_mbcnt_hi_u32_b32 v18, exec_hi, v18
	v_cmp_eq_u32_e32 vcc, 0, v18
	s_and_saveexec_b64 s[12:13], vcc
	s_cbranch_execz .LBB18_107
; %bb.106:                              ;   in Loop: Header=BB18_102 Depth=1
	global_atomic_smin v15, v21, s[18:19]
.LBB18_107:                             ;   in Loop: Header=BB18_102 Depth=1
	s_or_b64 exec, exec, s[12:13]
	v_mov_b32_e32 v18, 1.0
.LBB18_108:                             ;   in Loop: Header=BB18_102 Depth=1
	s_or_b64 exec, exec, s[8:9]
	v_cmp_lt_u32_e32 vcc, s27, v0
	s_and_saveexec_b64 s[8:9], vcc
	s_cbranch_execz .LBB18_101
; %bb.109:                              ;   in Loop: Header=BB18_102 Depth=1
	v_lshl_add_u32 v19, s27, 2, v5
	ds_read_b32 v19, v19
	s_waitcnt lgkmcnt(0)
	v_sub_f32_e32 v2, v2, v19
	v_div_scale_f32 v19, s[12:13], v18, v18, v2
	v_rcp_f32_e32 v20, v19
	v_div_scale_f32 v22, vcc, v2, v18, v2
	v_fma_f32 v23, -v19, v20, 1.0
	v_fmac_f32_e32 v20, v23, v20
	v_mul_f32_e32 v23, v22, v20
	v_fma_f32 v24, -v19, v23, v22
	v_fmac_f32_e32 v23, v24, v20
	v_fma_f32 v19, -v19, v23, v22
	v_div_fmas_f32 v19, v19, v20, v23
	v_div_fixup_f32 v2, v19, v18, v2
	ds_write_b32 v3, v2
	s_waitcnt lgkmcnt(0)
	s_and_b64 exec, exec, s[0:1]
	s_cbranch_execz .LBB18_101
; %bb.110:                              ;   in Loop: Header=BB18_102 Depth=1
	s_mov_b64 s[20:21], -1
	v_mov_b32_e32 v3, v1
	v_mov_b32_e32 v18, v6
	;; [unrolled: 1-line block ×3, first 2 shown]
	s_and_saveexec_b64 s[12:13], s[4:5]
	s_cbranch_execz .LBB18_116
; %bb.111:                              ;   in Loop: Header=BB18_102 Depth=1
	v_mov_b32_e32 v3, v2
	s_mov_b64 s[20:21], 0
	v_mov_b32_e32 v18, v7
	v_mov_b32_e32 v19, v13
	;; [unrolled: 1-line block ×3, first 2 shown]
.LBB18_112:                             ;   Parent Loop BB18_102 Depth=1
                                        ; =>  This Inner Loop Header: Depth=2
	ds_read2_b32 v[22:23], v20 offset1:66
	ds_read2_b32 v[24:25], v20 offset0:132 offset1:198
	ds_read2_b32 v[26:27], v19 offset1:2
	ds_read2_b32 v[28:29], v19 offset0:4 offset1:6
	v_add_u32_e32 v18, -4, v18
	v_cmp_eq_u32_e32 vcc, 0, v18
	v_add_u32_e32 v20, 0x420, v20
	s_waitcnt lgkmcnt(1)
	v_pk_fma_f32 v[22:23], v[2:3], v[22:23], v[26:27]
	s_waitcnt lgkmcnt(0)
	v_pk_fma_f32 v[24:25], v[2:3], v[24:25], v[28:29]
	ds_write2_b32 v19, v22, v23 offset1:2
	ds_write2_b32 v19, v24, v25 offset0:4 offset1:6
	s_or_b64 s[20:21], vcc, s[20:21]
	v_add_u32_e32 v19, 32, v19
	s_andn2_b64 exec, exec, s[20:21]
	s_cbranch_execnz .LBB18_112
; %bb.113:                              ;   in Loop: Header=BB18_102 Depth=1
	s_or_b64 exec, exec, s[20:21]
	s_mov_b64 s[20:21], 0
	s_and_saveexec_b64 s[22:23], s[6:7]
; %bb.114:                              ;   in Loop: Header=BB18_102 Depth=1
	s_mov_b64 s[20:21], exec
; %bb.115:                              ;   in Loop: Header=BB18_102 Depth=1
	s_or_b64 exec, exec, s[22:23]
	s_orn2_b64 s[20:21], s[20:21], exec
	v_mov_b32_e32 v3, v10
	v_mov_b32_e32 v18, v16
	;; [unrolled: 1-line block ×3, first 2 shown]
.LBB18_116:                             ;   in Loop: Header=BB18_102 Depth=1
	s_or_b64 exec, exec, s[12:13]
	s_and_b64 exec, exec, s[20:21]
	s_cbranch_execz .LBB18_101
; %bb.117:                              ;   in Loop: Header=BB18_102 Depth=1
	v_add_u32_e32 v18, v5, v18
	v_add_u32_e32 v19, s26, v19
	s_mov_b64 s[12:13], 0
.LBB18_118:                             ;   Parent Loop BB18_102 Depth=1
                                        ; =>  This Inner Loop Header: Depth=2
	ds_read_b32 v20, v19
	ds_read_b32 v22, v18
	v_add_u32_e32 v3, 2, v3
	v_cmp_le_i32_e32 vcc, s50, v3
	s_or_b64 s[12:13], vcc, s[12:13]
	v_add_u32_e32 v19, 0x108, v19
	s_waitcnt lgkmcnt(0)
	v_fmac_f32_e32 v22, v2, v20
	ds_write_b32 v18, v22
	v_add_u32_e32 v18, 8, v18
	s_andn2_b64 exec, exec, s[12:13]
	s_cbranch_execnz .LBB18_118
	s_branch .LBB18_101
.LBB18_119:
	s_and_saveexec_b64 s[2:3], s[0:1]
	s_cbranch_execz .LBB18_128
; %bb.120:
	s_mul_i32 s33, s33, s50
	v_add_u32_e32 v2, s33, v0
	s_cmp_lg_u32 s51, 0
	v_mul_lo_u32 v4, v2, s50
	v_mul_u32_u24_e32 v2, 0x84, v0
	s_movk_i32 s6, 0x1080
	v_cmp_gt_i32_e64 s[0:1], s50, v0
	s_cselect_b64 s[4:5], -1, 0
	v_add3_u32 v5, v2, v6, s6
	s_mov_b64 s[6:7], 0
	v_mov_b32_e32 v6, v1
	s_branch .LBB18_124
.LBB18_121:                             ;   in Loop: Header=BB18_124 Depth=1
	v_add_u32_e32 v2, v4, v6
.LBB18_122:                             ;   in Loop: Header=BB18_124 Depth=1
	v_ashrrev_i32_e32 v3, 31, v2
	v_lshl_add_u64 v[2:3], v[2:3], 2, s[24:25]
	s_waitcnt lgkmcnt(0)
	global_store_dword v[2:3], v7, off
.LBB18_123:                             ;   in Loop: Header=BB18_124 Depth=1
	s_or_b64 exec, exec, s[8:9]
	v_add_u32_e32 v6, 2, v6
	v_cmp_le_i32_e32 vcc, s50, v6
	s_or_b64 s[6:7], vcc, s[6:7]
	v_add_u32_e32 v5, 8, v5
	s_andn2_b64 exec, exec, s[6:7]
	s_cbranch_execz .LBB18_128
.LBB18_124:                             ; =>This Inner Loop Header: Depth=1
	s_and_saveexec_b64 s[8:9], s[0:1]
	s_cbranch_execz .LBB18_123
; %bb.125:                              ;   in Loop: Header=BB18_124 Depth=1
	ds_read_b32 v7, v5
	s_and_b64 vcc, exec, s[4:5]
	s_cbranch_vccz .LBB18_127
; %bb.126:                              ;   in Loop: Header=BB18_124 Depth=1
	v_add_u32_e32 v2, s33, v6
	v_mad_u64_u32 v[2:3], s[12:13], v2, s50, v[0:1]
	s_cbranch_execnz .LBB18_122
	s_branch .LBB18_121
.LBB18_127:                             ;   in Loop: Header=BB18_124 Depth=1
                                        ; implicit-def: $vgpr2
	s_branch .LBB18_121
.LBB18_128:
	s_or_b64 exec, exec, s[2:3]
	v_or_b32_e32 v2, v1, v0
	v_cmp_eq_u32_e32 vcc, 0, v2
	s_and_saveexec_b64 s[0:1], vcc
	s_cbranch_execz .LBB18_130
; %bb.129:
	s_add_u32 s2, s14, s10
	s_addc_u32 s3, s15, s11
	v_mov_b32_e32 v2, 0
	v_mov_b32_e32 v3, 1
	buffer_wbl2 sc1
	s_waitcnt vmcnt(0)
	global_store_dword v2, v3, s[2:3] sc1
.LBB18_130:
	s_or_b64 exec, exec, s[0:1]
.LBB18_131:
	s_endpgm
.LBB18_132:
	s_cbranch_execz .LBB18_131
; %bb.133:
	v_or_b32_e32 v0, v1, v0
	v_cmp_eq_u32_e32 vcc, 0, v0
	s_and_saveexec_b64 s[0:1], vcc
	s_cbranch_execz .LBB18_131
; %bb.134:
	v_mbcnt_lo_u32_b32 v0, exec_lo, 0
	v_mbcnt_hi_u32_b32 v0, exec_hi, v0
	v_cmp_eq_u32_e32 vcc, 0, v0
	s_and_saveexec_b64 s[0:1], vcc
	s_cbranch_execz .LBB18_136
; %bb.135:
	s_add_i32 s2, s16, s17
	v_mov_b32_e32 v0, 0
	v_mov_b32_e32 v1, s2
	global_atomic_smin v0, v1, s[18:19]
.LBB18_136:
	s_or_b64 exec, exec, s[0:1]
	s_add_u32 s0, s14, s10
	s_addc_u32 s1, s15, s11
	v_mov_b32_e32 v0, 0
	v_mov_b32_e32 v1, 1
	buffer_wbl2 sc1
	s_waitcnt vmcnt(0)
	global_store_dword v0, v1, s[0:1] sc1
	s_endpgm
	.section	.rodata,"a",@progbits
	.p2align	6, 0x0
	.amdhsa_kernel _ZN9rocsparseL19bsric0_17_32_kernelILi64ELi128ELi32EfEEv20rocsparse_direction_iiPKiS3_PT2_S3_PiS3_S6_21rocsparse_index_base_
		.amdhsa_group_segment_fixed_size 14208
		.amdhsa_private_segment_fixed_size 0
		.amdhsa_kernarg_size 76
		.amdhsa_user_sgpr_count 2
		.amdhsa_user_sgpr_dispatch_ptr 0
		.amdhsa_user_sgpr_queue_ptr 0
		.amdhsa_user_sgpr_kernarg_segment_ptr 1
		.amdhsa_user_sgpr_dispatch_id 0
		.amdhsa_user_sgpr_kernarg_preload_length 0
		.amdhsa_user_sgpr_kernarg_preload_offset 0
		.amdhsa_user_sgpr_private_segment_size 0
		.amdhsa_uses_dynamic_stack 0
		.amdhsa_enable_private_segment 0
		.amdhsa_system_sgpr_workgroup_id_x 1
		.amdhsa_system_sgpr_workgroup_id_y 0
		.amdhsa_system_sgpr_workgroup_id_z 0
		.amdhsa_system_sgpr_workgroup_info 0
		.amdhsa_system_vgpr_workitem_id 1
		.amdhsa_next_free_vgpr 129
		.amdhsa_next_free_sgpr 96
		.amdhsa_accum_offset 36
		.amdhsa_reserve_vcc 1
		.amdhsa_float_round_mode_32 0
		.amdhsa_float_round_mode_16_64 0
		.amdhsa_float_denorm_mode_32 3
		.amdhsa_float_denorm_mode_16_64 3
		.amdhsa_dx10_clamp 1
		.amdhsa_ieee_mode 1
		.amdhsa_fp16_overflow 0
		.amdhsa_tg_split 0
		.amdhsa_exception_fp_ieee_invalid_op 0
		.amdhsa_exception_fp_denorm_src 0
		.amdhsa_exception_fp_ieee_div_zero 0
		.amdhsa_exception_fp_ieee_overflow 0
		.amdhsa_exception_fp_ieee_underflow 0
		.amdhsa_exception_fp_ieee_inexact 0
		.amdhsa_exception_int_div_zero 0
	.end_amdhsa_kernel
	.section	.text._ZN9rocsparseL19bsric0_17_32_kernelILi64ELi128ELi32EfEEv20rocsparse_direction_iiPKiS3_PT2_S3_PiS3_S6_21rocsparse_index_base_,"axG",@progbits,_ZN9rocsparseL19bsric0_17_32_kernelILi64ELi128ELi32EfEEv20rocsparse_direction_iiPKiS3_PT2_S3_PiS3_S6_21rocsparse_index_base_,comdat
.Lfunc_end18:
	.size	_ZN9rocsparseL19bsric0_17_32_kernelILi64ELi128ELi32EfEEv20rocsparse_direction_iiPKiS3_PT2_S3_PiS3_S6_21rocsparse_index_base_, .Lfunc_end18-_ZN9rocsparseL19bsric0_17_32_kernelILi64ELi128ELi32EfEEv20rocsparse_direction_iiPKiS3_PT2_S3_PiS3_S6_21rocsparse_index_base_
                                        ; -- End function
	.set _ZN9rocsparseL19bsric0_17_32_kernelILi64ELi128ELi32EfEEv20rocsparse_direction_iiPKiS3_PT2_S3_PiS3_S6_21rocsparse_index_base_.num_vgpr, 36
	.set _ZN9rocsparseL19bsric0_17_32_kernelILi64ELi128ELi32EfEEv20rocsparse_direction_iiPKiS3_PT2_S3_PiS3_S6_21rocsparse_index_base_.num_agpr, 0
	.set _ZN9rocsparseL19bsric0_17_32_kernelILi64ELi128ELi32EfEEv20rocsparse_direction_iiPKiS3_PT2_S3_PiS3_S6_21rocsparse_index_base_.numbered_sgpr, 60
	.set _ZN9rocsparseL19bsric0_17_32_kernelILi64ELi128ELi32EfEEv20rocsparse_direction_iiPKiS3_PT2_S3_PiS3_S6_21rocsparse_index_base_.num_named_barrier, 0
	.set _ZN9rocsparseL19bsric0_17_32_kernelILi64ELi128ELi32EfEEv20rocsparse_direction_iiPKiS3_PT2_S3_PiS3_S6_21rocsparse_index_base_.private_seg_size, 0
	.set _ZN9rocsparseL19bsric0_17_32_kernelILi64ELi128ELi32EfEEv20rocsparse_direction_iiPKiS3_PT2_S3_PiS3_S6_21rocsparse_index_base_.uses_vcc, 1
	.set _ZN9rocsparseL19bsric0_17_32_kernelILi64ELi128ELi32EfEEv20rocsparse_direction_iiPKiS3_PT2_S3_PiS3_S6_21rocsparse_index_base_.uses_flat_scratch, 0
	.set _ZN9rocsparseL19bsric0_17_32_kernelILi64ELi128ELi32EfEEv20rocsparse_direction_iiPKiS3_PT2_S3_PiS3_S6_21rocsparse_index_base_.has_dyn_sized_stack, 0
	.set _ZN9rocsparseL19bsric0_17_32_kernelILi64ELi128ELi32EfEEv20rocsparse_direction_iiPKiS3_PT2_S3_PiS3_S6_21rocsparse_index_base_.has_recursion, 0
	.set _ZN9rocsparseL19bsric0_17_32_kernelILi64ELi128ELi32EfEEv20rocsparse_direction_iiPKiS3_PT2_S3_PiS3_S6_21rocsparse_index_base_.has_indirect_call, 0
	.section	.AMDGPU.csdata,"",@progbits
; Kernel info:
; codeLenInByte = 4048
; TotalNumSgprs: 66
; NumVgprs: 36
; NumAgprs: 0
; TotalNumVgprs: 36
; ScratchSize: 0
; MemoryBound: 0
; FloatMode: 240
; IeeeMode: 1
; LDSByteSize: 14208 bytes/workgroup (compile time only)
; SGPRBlocks: 12
; VGPRBlocks: 16
; NumSGPRsForWavesPerEU: 102
; NumVGPRsForWavesPerEU: 129
; AccumOffset: 36
; Occupancy: 3
; WaveLimiterHint : 1
; COMPUTE_PGM_RSRC2:SCRATCH_EN: 0
; COMPUTE_PGM_RSRC2:USER_SGPR: 2
; COMPUTE_PGM_RSRC2:TRAP_HANDLER: 0
; COMPUTE_PGM_RSRC2:TGID_X_EN: 1
; COMPUTE_PGM_RSRC2:TGID_Y_EN: 0
; COMPUTE_PGM_RSRC2:TGID_Z_EN: 0
; COMPUTE_PGM_RSRC2:TIDIG_COMP_CNT: 1
; COMPUTE_PGM_RSRC3_GFX90A:ACCUM_OFFSET: 8
; COMPUTE_PGM_RSRC3_GFX90A:TG_SPLIT: 0
	.section	.text._ZN9rocsparseL23bsric0_binsearch_kernelILj32ELj32ELb0EdEEv20rocsparse_direction_iiPKiS3_PT2_S3_PiS3_S6_21rocsparse_index_base_,"axG",@progbits,_ZN9rocsparseL23bsric0_binsearch_kernelILj32ELj32ELb0EdEEv20rocsparse_direction_iiPKiS3_PT2_S3_PiS3_S6_21rocsparse_index_base_,comdat
	.globl	_ZN9rocsparseL23bsric0_binsearch_kernelILj32ELj32ELb0EdEEv20rocsparse_direction_iiPKiS3_PT2_S3_PiS3_S6_21rocsparse_index_base_ ; -- Begin function _ZN9rocsparseL23bsric0_binsearch_kernelILj32ELj32ELb0EdEEv20rocsparse_direction_iiPKiS3_PT2_S3_PiS3_S6_21rocsparse_index_base_
	.p2align	8
	.type	_ZN9rocsparseL23bsric0_binsearch_kernelILj32ELj32ELb0EdEEv20rocsparse_direction_iiPKiS3_PT2_S3_PiS3_S6_21rocsparse_index_base_,@function
_ZN9rocsparseL23bsric0_binsearch_kernelILj32ELj32ELb0EdEEv20rocsparse_direction_iiPKiS3_PT2_S3_PiS3_S6_21rocsparse_index_base_: ; @_ZN9rocsparseL23bsric0_binsearch_kernelILj32ELj32ELb0EdEEv20rocsparse_direction_iiPKiS3_PT2_S3_PiS3_S6_21rocsparse_index_base_
; %bb.0:
	s_load_dwordx8 s[16:23], s[0:1], 0x28
	s_ashr_i32 s3, s2, 31
	s_lshl_b64 s[2:3], s[2:3], 2
	v_mov_b32_e32 v1, 0
	s_load_dword s33, s[0:1], 0x48
	s_waitcnt lgkmcnt(0)
	s_add_u32 s2, s20, s2
	s_addc_u32 s3, s21, s3
	global_load_dword v2, v1, s[2:3]
	s_waitcnt vmcnt(0)
	v_ashrrev_i32_e32 v3, 31, v2
	v_lshlrev_b64 v[4:5], 2, v[2:3]
	v_lshl_add_u64 v[4:5], s[16:17], 0, v[4:5]
	global_load_dword v1, v[4:5], off
	s_waitcnt vmcnt(0)
	v_readfirstlane_b32 s2, v1
	s_cmp_lg_u32 s2, -1
	s_cselect_b64 s[2:3], -1, 0
	s_and_saveexec_b64 s[4:5], s[2:3]
	s_xor_b64 s[14:15], exec, s[4:5]
	s_cbranch_execz .LBB19_69
; %bb.1:
	s_load_dword s52, s[0:1], 0x8
	s_waitcnt lgkmcnt(0)
	v_cmp_gt_i32_e32 vcc, s52, v0
	s_and_saveexec_b64 s[20:21], vcc
	s_cbranch_execz .LBB19_66
; %bb.2:
	s_load_dwordx4 s[24:27], s[0:1], 0x10
	s_load_dword s4, s[0:1], 0x0
	s_load_dwordx2 s[28:29], s[0:1], 0x20
	s_mul_i32 s53, s52, s52
	s_mov_b32 s34, 0
	s_waitcnt lgkmcnt(0)
	v_lshl_add_u64 v[4:5], v[2:3], 2, s[24:25]
	global_load_dwordx2 v[4:5], v[4:5], off
	s_cmp_eq_u32 s4, 0
	s_cselect_b64 s[2:3], -1, 0
	s_cmp_lg_u32 s4, 0
	v_cmp_ne_u32_e64 s[0:1], 0, v0
	v_add_u32_e32 v26, s33, v2
	s_mov_b64 s[30:31], 0
	v_mov_b32_e32 v27, 0
	s_brev_b32 s35, 8
	v_mov_b32_e32 v28, 0x260
	v_mov_b32_e32 v29, 0x3ff00000
	;; [unrolled: 1-line block ×4, first 2 shown]
	v_mul_lo_u32 v32, v1, s53
	s_cselect_b64 s[36:37], -1, 0
	s_waitcnt vmcnt(0)
	v_subrev_u32_e32 v33, s33, v4
	v_xad_u32 v34, s33, -1, v5
	v_add_u32_e32 v4, v34, v33
	v_ashrrev_i32_e32 v4, 1, v4
	v_mul_lo_u32 v35, s53, v33
	v_ashrrev_i32_e32 v5, 31, v4
	v_cmp_lt_i32_e64 s[4:5], v33, v1
	v_cmp_ge_i32_e64 s[6:7], v33, v1
	v_cmp_lt_i32_e64 s[8:9], v33, v34
	v_add_u32_e32 v36, v35, v0
	v_lshl_add_u64 v[6:7], v[4:5], 2, s[26:27]
	v_mov_b32_e32 v5, v0
	s_branch .LBB19_4
.LBB19_3:                               ;   in Loop: Header=BB19_4 Depth=1
	v_add_u32_e32 v5, 32, v5
	v_cmp_le_i32_e32 vcc, s52, v5
	s_or_b64 s[30:31], vcc, s[30:31]
	v_add_u32_e32 v36, 32, v36
	s_andn2_b64 exec, exec, s[30:31]
	s_cbranch_execz .LBB19_66
.LBB19_4:                               ; =>This Loop Header: Depth=1
                                        ;     Child Loop BB19_9 Depth 2
                                        ;       Child Loop BB19_12 Depth 3
                                        ;       Child Loop BB19_16 Depth 3
                                        ;         Child Loop BB19_18 Depth 4
                                        ;         Child Loop BB19_25 Depth 4
                                        ;           Child Loop BB19_27 Depth 5
                                        ;           Child Loop BB19_33 Depth 5
                                        ;     Child Loop BB19_40 Depth 2
                                        ;       Child Loop BB19_44 Depth 3
                                        ;       Child Loop BB19_52 Depth 3
                                        ;         Child Loop BB19_54 Depth 4
                                        ;       Child Loop BB19_62 Depth 3
	v_mul_lo_u32 v37, v5, s52
	s_and_saveexec_b64 s[10:11], s[6:7]
	s_xor_b64 s[10:11], exec, s[10:11]
; %bb.5:                                ;   in Loop: Header=BB19_4 Depth=1
	v_mul_lo_u32 v37, v5, s52
; %bb.6:                                ;   in Loop: Header=BB19_4 Depth=1
	s_or_saveexec_b64 s[38:39], s[10:11]
	v_mov_b64_e32 v[8:9], 0
	s_xor_b64 exec, exec, s[38:39]
	s_cbranch_execz .LBB19_37
; %bb.7:                                ;   in Loop: Header=BB19_4 Depth=1
	v_mov_b64_e32 v[8:9], 0
	s_mov_b64 s[40:41], 0
	v_mov_b32_e32 v10, v33
	s_branch .LBB19_9
.LBB19_8:                               ;   in Loop: Header=BB19_9 Depth=2
	s_or_b64 exec, exec, s[42:43]
	v_add_u32_e32 v10, 1, v10
	v_cmp_ge_i32_e32 vcc, v10, v1
	s_xor_b64 s[10:11], s[10:11], -1
	s_or_b64 s[10:11], s[10:11], vcc
	s_and_b64 s[10:11], exec, s[10:11]
	s_or_b64 s[40:41], s[10:11], s[40:41]
	s_andn2_b64 exec, exec, s[40:41]
	s_cbranch_execz .LBB19_36
.LBB19_9:                               ;   Parent Loop BB19_4 Depth=1
                                        ; =>  This Loop Header: Depth=2
                                        ;       Child Loop BB19_12 Depth 3
                                        ;       Child Loop BB19_16 Depth 3
                                        ;         Child Loop BB19_18 Depth 4
                                        ;         Child Loop BB19_25 Depth 4
                                        ;           Child Loop BB19_27 Depth 5
                                        ;           Child Loop BB19_33 Depth 5
	v_ashrrev_i32_e32 v11, 31, v10
	v_lshl_add_u64 v[12:13], v[10:11], 2, s[26:27]
	global_load_dword v11, v[12:13], off
	s_waitcnt vmcnt(0)
	v_subrev_u32_e32 v12, s33, v11
	v_ashrrev_i32_e32 v13, 31, v12
	v_lshl_add_u64 v[14:15], v[12:13], 2, s[16:17]
	global_load_dword v38, v[14:15], off
	s_waitcnt vmcnt(0)
	v_cmp_ne_u32_e64 s[10:11], -1, v38
	s_and_saveexec_b64 s[42:43], s[10:11]
	s_cbranch_execz .LBB19_8
; %bb.10:                               ;   in Loop: Header=BB19_9 Depth=2
	v_lshlrev_b64 v[14:15], 2, v[12:13]
	v_lshl_add_u64 v[16:17], s[24:25], 0, v[14:15]
	v_lshl_add_u64 v[14:15], s[18:19], 0, v[14:15]
	global_load_dword v13, v[16:17], off
	s_nop 0
	global_load_dword v16, v[14:15], off sc1
	s_waitcnt vmcnt(0)
	v_cmp_eq_u32_e32 vcc, 0, v16
	s_and_saveexec_b64 s[12:13], vcc
	s_cbranch_execz .LBB19_13
; %bb.11:                               ;   in Loop: Header=BB19_9 Depth=2
	s_mov_b64 s[44:45], 0
.LBB19_12:                              ;   Parent Loop BB19_4 Depth=1
                                        ;     Parent Loop BB19_9 Depth=2
                                        ; =>    This Inner Loop Header: Depth=3
	global_load_dword v16, v[14:15], off sc1
	s_waitcnt vmcnt(0)
	v_cmp_ne_u32_e32 vcc, 0, v16
	s_or_b64 s[44:45], vcc, s[44:45]
	s_andn2_b64 exec, exec, s[44:45]
	s_cbranch_execnz .LBB19_12
.LBB19_13:                              ;   in Loop: Header=BB19_9 Depth=2
	s_or_b64 exec, exec, s[12:13]
	v_subrev_u32_e32 v39, s33, v13
	v_mul_lo_u32 v40, v12, s52
	v_mul_lo_u32 v12, v10, s53
	;; [unrolled: 1-line block ×3, first 2 shown]
	v_add_u32_e32 v42, v12, v5
	v_add_u32_e32 v43, v12, v37
	v_cmp_le_i32_e64 s[12:13], v39, v38
	v_mul_lo_u32 v44, s53, v39
	s_mov_b32 s54, 0
	buffer_inv sc1
	s_branch .LBB19_16
.LBB19_14:                              ;   in Loop: Header=BB19_16 Depth=3
	s_or_b64 exec, exec, s[46:47]
.LBB19_15:                              ;   in Loop: Header=BB19_16 Depth=3
	s_or_b64 exec, exec, s[44:45]
	s_waitcnt vmcnt(0)
	v_add_f64 v[16:17], v[16:17], -v[18:19]
	v_div_scale_f64 v[18:19], s[44:45], v[12:13], v[12:13], v[16:17]
	v_rcp_f64_e32 v[20:21], v[18:19]
	v_div_scale_f64 v[22:23], vcc, v[16:17], v[12:13], v[16:17]
	s_add_i32 s54, s54, 1
	v_fma_f64 v[24:25], -v[18:19], v[20:21], 1.0
	v_fmac_f64_e32 v[20:21], v[20:21], v[24:25]
	v_fma_f64 v[24:25], -v[18:19], v[20:21], 1.0
	v_fmac_f64_e32 v[20:21], v[20:21], v[24:25]
	v_mul_f64 v[24:25], v[22:23], v[20:21]
	v_fma_f64 v[18:19], -v[18:19], v[24:25], v[22:23]
	v_div_fmas_f64 v[18:19], v[18:19], v[20:21], v[24:25]
	v_div_fixup_f64 v[12:13], v[18:19], v[12:13], v[16:17]
	v_fmac_f64_e32 v[8:9], v[12:13], v[12:13]
	s_cmp_eq_u32 s54, s52
	v_add_u32_e32 v44, 1, v44
	global_store_dwordx2 v[14:15], v[12:13], off
	s_cbranch_scc1 .LBB19_8
.LBB19_16:                              ;   Parent Loop BB19_4 Depth=1
                                        ;     Parent Loop BB19_9 Depth=2
                                        ; =>    This Loop Header: Depth=3
                                        ;         Child Loop BB19_18 Depth 4
                                        ;         Child Loop BB19_25 Depth 4
                                        ;           Child Loop BB19_27 Depth 5
                                        ;           Child Loop BB19_33 Depth 5
	s_mul_i32 s55, s54, s52
	s_add_i32 s44, s55, s54
	v_add_u32_e32 v12, s44, v41
	v_ashrrev_i32_e32 v13, 31, v12
	v_lshl_add_u64 v[12:13], v[12:13], 3, s[28:29]
	global_load_dwordx2 v[12:13], v[12:13], off
	s_waitcnt vmcnt(0)
	v_cmp_neq_f64_e32 vcc, 0, v[12:13]
	s_nop 1
	v_cndmask_b32_e32 v13, v29, v13, vcc
	s_nor_b64 s[46:47], vcc, s[0:1]
	v_cndmask_b32_e32 v12, 0, v12, vcc
	s_and_saveexec_b64 s[44:45], s[46:47]
	s_cbranch_execz .LBB19_22
; %bb.17:                               ;   in Loop: Header=BB19_16 Depth=3
	s_mov_b64 s[46:47], exec
	s_brev_b32 s48, -2
.LBB19_18:                              ;   Parent Loop BB19_4 Depth=1
                                        ;     Parent Loop BB19_9 Depth=2
                                        ;       Parent Loop BB19_16 Depth=3
                                        ; =>      This Inner Loop Header: Depth=4
	s_ff1_i32_b64 s49, s[46:47]
	v_readlane_b32 s56, v11, s49
	s_lshl_b64 s[50:51], 1, s49
	s_min_i32 s48, s48, s56
	s_andn2_b64 s[46:47], s[46:47], s[50:51]
	s_cmp_lg_u64 s[46:47], 0
	s_cbranch_scc1 .LBB19_18
; %bb.19:                               ;   in Loop: Header=BB19_16 Depth=3
	v_mbcnt_lo_u32_b32 v12, exec_lo, 0
	v_mbcnt_hi_u32_b32 v12, exec_hi, v12
	v_cmp_eq_u32_e32 vcc, 0, v12
	s_and_saveexec_b64 s[46:47], vcc
	s_xor_b64 s[46:47], exec, s[46:47]
	s_cbranch_execz .LBB19_21
; %bb.20:                               ;   in Loop: Header=BB19_16 Depth=3
	v_mov_b32_e32 v12, s48
	global_atomic_smin v27, v12, s[22:23]
.LBB19_21:                              ;   in Loop: Header=BB19_16 Depth=3
	s_or_b64 exec, exec, s[46:47]
	v_mov_b64_e32 v[12:13], 1.0
.LBB19_22:                              ;   in Loop: Header=BB19_16 Depth=3
	s_or_b64 exec, exec, s[44:45]
	v_add_u32_e32 v14, s55, v42
	v_add_u32_e32 v15, s54, v43
	v_cndmask_b32_e64 v14, v14, v15, s[2:3]
	v_ashrrev_i32_e32 v15, 31, v14
	v_lshl_add_u64 v[14:15], v[14:15], 3, s[28:29]
	global_load_dwordx2 v[16:17], v[14:15], off
	v_mov_b64_e32 v[18:19], 0
	s_and_saveexec_b64 s[44:45], s[12:13]
	s_cbranch_execz .LBB19_15
; %bb.23:                               ;   in Loop: Header=BB19_16 Depth=3
	global_load_dword v45, v[6:7], off
	v_add_u32_e32 v46, s54, v40
	v_mov_b64_e32 v[18:19], 0
	s_mov_b64 s[46:47], 0
	v_mov_b32_e32 v47, v44
	v_mov_b32_e32 v20, v39
	s_branch .LBB19_25
.LBB19_24:                              ;   in Loop: Header=BB19_25 Depth=4
	s_or_b64 exec, exec, s[48:49]
	v_add_u32_e32 v21, 1, v20
	v_cmp_ge_i32_e32 vcc, v20, v38
	v_add_u32_e32 v47, s53, v47
	s_or_b64 s[46:47], vcc, s[46:47]
	v_mov_b32_e32 v20, v21
	s_andn2_b64 exec, exec, s[46:47]
	s_cbranch_execz .LBB19_14
.LBB19_25:                              ;   Parent Loop BB19_4 Depth=1
                                        ;     Parent Loop BB19_9 Depth=2
                                        ;       Parent Loop BB19_16 Depth=3
                                        ; =>      This Loop Header: Depth=4
                                        ;           Child Loop BB19_27 Depth 5
                                        ;           Child Loop BB19_33 Depth 5
	v_ashrrev_i32_e32 v21, 31, v20
	v_lshl_add_u64 v[22:23], v[20:21], 2, s[26:27]
	global_load_dword v21, v[22:23], off
	s_waitcnt vmcnt(1)
	v_mov_b32_e32 v23, v45
	v_mov_b32_e32 v22, v4
	s_and_saveexec_b64 s[48:49], s[8:9]
	s_cbranch_execz .LBB19_29
; %bb.26:                               ;   in Loop: Header=BB19_25 Depth=4
	s_mov_b64 s[50:51], 0
	v_mov_b32_e32 v23, v45
	v_mov_b32_e32 v22, v4
	;; [unrolled: 1-line block ×4, first 2 shown]
.LBB19_27:                              ;   Parent Loop BB19_4 Depth=1
                                        ;     Parent Loop BB19_9 Depth=2
                                        ;       Parent Loop BB19_16 Depth=3
                                        ;         Parent Loop BB19_25 Depth=4
                                        ; =>        This Inner Loop Header: Depth=5
	v_add_u32_e32 v48, 1, v22
	s_waitcnt vmcnt(0)
	v_cmp_lt_i32_e32 vcc, v23, v21
	s_nop 1
	v_cndmask_b32_e32 v25, v25, v48, vcc
	v_cndmask_b32_e32 v24, v22, v24, vcc
	v_add_u32_e32 v22, v24, v25
	v_ashrrev_i32_e32 v22, 1, v22
	v_ashrrev_i32_e32 v23, 31, v22
	v_lshl_add_u64 v[48:49], v[22:23], 2, s[26:27]
	global_load_dword v23, v[48:49], off
	v_cmp_ge_i32_e32 vcc, v25, v24
	s_or_b64 s[50:51], vcc, s[50:51]
	s_andn2_b64 exec, exec, s[50:51]
	s_cbranch_execnz .LBB19_27
; %bb.28:                               ;   in Loop: Header=BB19_25 Depth=4
	s_or_b64 exec, exec, s[50:51]
.LBB19_29:                              ;   in Loop: Header=BB19_25 Depth=4
	s_or_b64 exec, exec, s[48:49]
	s_waitcnt vmcnt(0)
	v_cmp_eq_u32_e32 vcc, v23, v21
	s_and_saveexec_b64 s[48:49], vcc
	s_cbranch_execz .LBB19_24
; %bb.30:                               ;   in Loop: Header=BB19_25 Depth=4
	v_subrev_u32_e32 v21, s33, v21
	v_mul_lo_u32 v23, v20, s53
	v_mul_lo_u32 v22, v22, s53
	;; [unrolled: 1-line block ×3, first 2 shown]
	v_add_u32_e32 v48, s55, v23
	v_add_u32_e32 v49, v22, v37
	;; [unrolled: 1-line block ×3, first 2 shown]
	s_mov_b32 s56, 0
	v_mov_b32_e32 v51, v47
	s_branch .LBB19_33
.LBB19_31:                              ;   in Loop: Header=BB19_33 Depth=5
	v_ashrrev_i32_e32 v25, 31, v24
	v_ashrrev_i32_e32 v23, 31, v22
	v_lshl_add_u64 v[24:25], v[24:25], 3, s[28:29]
	v_lshl_add_u64 v[22:23], v[22:23], 3, s[28:29]
	global_load_dwordx2 v[24:25], v[24:25], off
	s_nop 0
	global_load_dwordx2 v[22:23], v[22:23], off
	s_waitcnt vmcnt(0)
	v_fmac_f64_e32 v[18:19], v[24:25], v[22:23]
.LBB19_32:                              ;   in Loop: Header=BB19_33 Depth=5
	s_or_b64 exec, exec, s[50:51]
	s_add_i32 s56, s56, 1
	v_add_u32_e32 v50, s52, v50
	s_cmp_lg_u32 s52, s56
	v_add_u32_e32 v51, s52, v51
	s_cbranch_scc0 .LBB19_24
.LBB19_33:                              ;   Parent Loop BB19_4 Depth=1
                                        ;     Parent Loop BB19_9 Depth=2
                                        ;       Parent Loop BB19_16 Depth=3
                                        ;         Parent Loop BB19_25 Depth=4
                                        ; =>        This Inner Loop Header: Depth=5
	v_add_u32_e32 v22, s56, v21
	v_cmp_lt_i32_e32 vcc, v22, v46
	s_and_saveexec_b64 s[50:51], vcc
	s_cbranch_execz .LBB19_32
; %bb.34:                               ;   in Loop: Header=BB19_33 Depth=5
	s_andn2_b64 vcc, exec, s[2:3]
	v_mov_b32_e32 v22, v50
	v_mov_b32_e32 v24, v51
	s_cbranch_vccnz .LBB19_31
; %bb.35:                               ;   in Loop: Header=BB19_33 Depth=5
	v_add_u32_e32 v24, s56, v48
	v_add_u32_e32 v22, s56, v49
	s_branch .LBB19_31
.LBB19_36:                              ;   in Loop: Header=BB19_4 Depth=1
	s_or_b64 exec, exec, s[40:41]
.LBB19_37:                              ;   in Loop: Header=BB19_4 Depth=1
	s_or_b64 exec, exec, s[38:39]
	v_add_u32_e32 v22, v37, v32
	s_mov_b32 s42, 0
	v_mov_b32_e32 v23, v35
	s_branch .LBB19_40
.LBB19_38:                              ;   in Loop: Header=BB19_40 Depth=2
	s_waitcnt vmcnt(0)
	v_add_f64 v[14:15], v[14:15], -v[16:17]
	v_div_scale_f64 v[16:17], s[12:13], v[10:11], v[10:11], v[14:15]
	v_rcp_f64_e32 v[18:19], v[16:17]
	v_div_scale_f64 v[20:21], vcc, v[14:15], v[10:11], v[14:15]
	v_fma_f64 v[24:25], -v[16:17], v[18:19], 1.0
	v_fmac_f64_e32 v[18:19], v[18:19], v[24:25]
	v_fma_f64 v[24:25], -v[16:17], v[18:19], 1.0
	v_fmac_f64_e32 v[18:19], v[18:19], v[24:25]
	v_mul_f64 v[24:25], v[20:21], v[18:19]
	v_fma_f64 v[16:17], -v[16:17], v[24:25], v[20:21]
	v_div_fmas_f64 v[16:17], v[16:17], v[18:19], v[24:25]
	v_div_fixup_f64 v[10:11], v[16:17], v[10:11], v[14:15]
	v_fmac_f64_e32 v[8:9], v[10:11], v[10:11]
	global_store_dwordx2 v[12:13], v[10:11], off
.LBB19_39:                              ;   in Loop: Header=BB19_40 Depth=2
	s_or_b64 exec, exec, s[10:11]
	s_add_i32 s42, s42, 1
	s_cmp_eq_u32 s42, s52
	v_add_u32_e32 v23, 1, v23
	buffer_wbl2 sc1
	s_waitcnt vmcnt(0)
	buffer_inv sc1
	s_cbranch_scc1 .LBB19_3
.LBB19_40:                              ;   Parent Loop BB19_4 Depth=1
                                        ; =>  This Loop Header: Depth=2
                                        ;       Child Loop BB19_44 Depth 3
                                        ;       Child Loop BB19_52 Depth 3
                                        ;         Child Loop BB19_54 Depth 4
                                        ;       Child Loop BB19_62 Depth 3
	s_mul_i32 s43, s42, s52
	v_add_u32_e32 v24, s43, v32
	v_add_u32_e32 v10, s42, v24
	v_ashrrev_i32_e32 v11, 31, v10
	v_cmp_eq_u32_e32 vcc, s42, v5
	v_lshl_add_u64 v[10:11], v[10:11], 3, s[28:29]
	s_and_saveexec_b64 s[10:11], vcc
	s_cbranch_execz .LBB19_42
; %bb.41:                               ;   in Loop: Header=BB19_40 Depth=2
	global_load_dwordx2 v[12:13], v[10:11], off
	s_waitcnt vmcnt(0)
	v_add_f64 v[12:13], v[12:13], -v[8:9]
	v_xor_b32_e32 v14, 0x80000000, v13
	v_cmp_gt_f64_e32 vcc, 0, v[12:13]
	s_nop 1
	v_cndmask_b32_e32 v13, v13, v14, vcc
	v_cmp_gt_f64_e32 vcc, s[34:35], v[12:13]
	s_nop 1
	v_cndmask_b32_e32 v14, 0, v30, vcc
	v_ldexp_f64 v[12:13], v[12:13], v14
	v_rsq_f64_e32 v[14:15], v[12:13]
	v_cndmask_b32_e32 v20, 0, v31, vcc
	v_cmp_class_f64_e32 vcc, v[12:13], v28
	v_mul_f64 v[16:17], v[12:13], v[14:15]
	v_mul_f64 v[14:15], v[14:15], 0.5
	v_fma_f64 v[18:19], -v[14:15], v[16:17], 0.5
	v_fmac_f64_e32 v[16:17], v[16:17], v[18:19]
	v_fmac_f64_e32 v[14:15], v[14:15], v[18:19]
	v_fma_f64 v[18:19], -v[16:17], v[16:17], v[12:13]
	v_fmac_f64_e32 v[16:17], v[18:19], v[14:15]
	v_fma_f64 v[18:19], -v[16:17], v[16:17], v[12:13]
	v_fmac_f64_e32 v[16:17], v[18:19], v[14:15]
	v_ldexp_f64 v[14:15], v[16:17], v20
	v_cndmask_b32_e32 v13, v15, v13, vcc
	v_cndmask_b32_e32 v12, v14, v12, vcc
	global_store_dwordx2 v[10:11], v[12:13], off
.LBB19_42:                              ;   in Loop: Header=BB19_40 Depth=2
	s_or_b64 exec, exec, s[10:11]
	buffer_wbl2 sc1
	s_waitcnt vmcnt(0)
	buffer_inv sc1
	global_load_dwordx2 v[10:11], v[10:11], off
	s_waitcnt vmcnt(0)
	v_cmp_neq_f64_e32 vcc, 0, v[10:11]
	s_nop 1
	v_cndmask_b32_e32 v11, v29, v11, vcc
	s_nor_b64 s[12:13], vcc, s[0:1]
	v_cndmask_b32_e32 v10, 0, v10, vcc
	s_and_saveexec_b64 s[10:11], s[12:13]
	s_cbranch_execz .LBB19_48
; %bb.43:                               ;   in Loop: Header=BB19_40 Depth=2
	s_mov_b64 s[12:13], exec
	s_brev_b32 s38, -2
.LBB19_44:                              ;   Parent Loop BB19_4 Depth=1
                                        ;     Parent Loop BB19_40 Depth=2
                                        ; =>    This Inner Loop Header: Depth=3
	s_ff1_i32_b64 s39, s[12:13]
	v_readlane_b32 s44, v26, s39
	s_lshl_b64 s[40:41], 1, s39
	s_min_i32 s38, s38, s44
	s_andn2_b64 s[12:13], s[12:13], s[40:41]
	s_cmp_lg_u64 s[12:13], 0
	s_cbranch_scc1 .LBB19_44
; %bb.45:                               ;   in Loop: Header=BB19_40 Depth=2
	v_mbcnt_lo_u32_b32 v10, exec_lo, 0
	v_mbcnt_hi_u32_b32 v10, exec_hi, v10
	v_cmp_eq_u32_e32 vcc, 0, v10
	s_and_saveexec_b64 s[12:13], vcc
	s_xor_b64 s[12:13], exec, s[12:13]
	s_cbranch_execz .LBB19_47
; %bb.46:                               ;   in Loop: Header=BB19_40 Depth=2
	v_mov_b32_e32 v10, s38
	global_atomic_smin v27, v10, s[22:23]
.LBB19_47:                              ;   in Loop: Header=BB19_40 Depth=2
	s_or_b64 exec, exec, s[12:13]
	v_mov_b64_e32 v[10:11], 1.0
.LBB19_48:                              ;   in Loop: Header=BB19_40 Depth=2
	s_or_b64 exec, exec, s[10:11]
	v_cmp_lt_i32_e32 vcc, s42, v5
	s_and_saveexec_b64 s[10:11], vcc
	s_cbranch_execz .LBB19_39
; %bb.49:                               ;   in Loop: Header=BB19_40 Depth=2
	v_add_u32_e32 v12, v24, v5
	v_add_u32_e32 v13, s42, v22
	v_cndmask_b32_e64 v12, v12, v13, s[2:3]
	v_ashrrev_i32_e32 v13, 31, v12
	v_lshl_add_u64 v[12:13], v[12:13], 3, s[28:29]
	global_load_dwordx2 v[14:15], v[12:13], off
	v_mov_b64_e32 v[16:17], 0
	s_and_saveexec_b64 s[12:13], s[4:5]
	s_cbranch_execz .LBB19_59
; %bb.50:                               ;   in Loop: Header=BB19_40 Depth=2
	v_mov_b64_e32 v[16:17], 0
	s_mov_b64 s[38:39], 0
	v_mov_b32_e32 v25, v23
	v_mov_b32_e32 v38, v36
	;; [unrolled: 1-line block ×3, first 2 shown]
	s_branch .LBB19_52
.LBB19_51:                              ;   in Loop: Header=BB19_52 Depth=3
	v_add_u32_e32 v39, 1, v39
	v_cmp_ge_i32_e32 vcc, v39, v1
	v_add_u32_e32 v38, s53, v38
	s_or_b64 s[38:39], vcc, s[38:39]
	v_add_u32_e32 v25, s53, v25
	s_andn2_b64 exec, exec, s[38:39]
	s_cbranch_execz .LBB19_58
.LBB19_52:                              ;   Parent Loop BB19_4 Depth=1
                                        ;     Parent Loop BB19_40 Depth=2
                                        ; =>    This Loop Header: Depth=3
                                        ;         Child Loop BB19_54 Depth 4
	v_mul_lo_u32 v18, v39, s53
	v_add_u32_e32 v40, s43, v18
	v_add_u32_e32 v41, v18, v37
	s_mov_b32 s44, 0
	s_mov_b32 s45, s52
	s_mov_b32 s46, 0
	s_branch .LBB19_54
.LBB19_53:                              ;   in Loop: Header=BB19_54 Depth=4
	v_ashrrev_i32_e32 v21, 31, v20
	v_lshl_add_u64 v[20:21], v[20:21], 3, s[28:29]
	v_ashrrev_i32_e32 v19, 31, v18
	v_lshl_add_u64 v[18:19], v[18:19], 3, s[28:29]
	global_load_dwordx2 v[42:43], v[20:21], off
	global_load_dwordx2 v[44:45], v[18:19], off
	s_add_i32 s46, s46, 1
	s_add_i32 s44, s44, s52
	s_add_i32 s45, s45, -1
	s_cmp_eq_u32 s45, 0
	s_waitcnt vmcnt(0)
	v_fmac_f64_e32 v[16:17], v[42:43], v[44:45]
	s_cbranch_scc1 .LBB19_51
.LBB19_54:                              ;   Parent Loop BB19_4 Depth=1
                                        ;     Parent Loop BB19_40 Depth=2
                                        ;       Parent Loop BB19_52 Depth=3
                                        ; =>      This Inner Loop Header: Depth=4
	s_mov_b64 s[40:41], -1
	s_and_b64 vcc, exec, s[36:37]
                                        ; implicit-def: $vgpr20
                                        ; implicit-def: $vgpr18
	s_cbranch_vccz .LBB19_56
; %bb.55:                               ;   in Loop: Header=BB19_54 Depth=4
	v_add_u32_e32 v20, s44, v25
	v_add_u32_e32 v18, s44, v38
	s_mov_b64 s[40:41], 0
.LBB19_56:                              ;   in Loop: Header=BB19_54 Depth=4
	s_andn2_b64 vcc, exec, s[40:41]
	s_cbranch_vccnz .LBB19_53
; %bb.57:                               ;   in Loop: Header=BB19_54 Depth=4
	v_add_u32_e32 v20, s46, v40
	v_add_u32_e32 v18, s46, v41
	s_branch .LBB19_53
.LBB19_58:                              ;   in Loop: Header=BB19_40 Depth=2
	s_or_b64 exec, exec, s[38:39]
.LBB19_59:                              ;   in Loop: Header=BB19_40 Depth=2
	s_or_b64 exec, exec, s[12:13]
	s_cmp_eq_u32 s42, 0
	s_cbranch_scc1 .LBB19_38
; %bb.60:                               ;   in Loop: Header=BB19_40 Depth=2
	s_mov_b32 s38, 0
	v_mov_b32_e32 v25, v32
	s_branch .LBB19_62
.LBB19_61:                              ;   in Loop: Header=BB19_62 Depth=3
	v_ashrrev_i32_e32 v21, 31, v20
	v_lshl_add_u64 v[20:21], v[20:21], 3, s[28:29]
	v_ashrrev_i32_e32 v19, 31, v18
	v_lshl_add_u64 v[18:19], v[18:19], 3, s[28:29]
	global_load_dwordx2 v[38:39], v[20:21], off
	global_load_dwordx2 v[40:41], v[18:19], off
	s_add_i32 s38, s38, 1
	s_cmp_eq_u32 s42, s38
	v_add_u32_e32 v25, s52, v25
	s_waitcnt vmcnt(0)
	v_fmac_f64_e32 v[16:17], v[38:39], v[40:41]
	s_cbranch_scc1 .LBB19_38
.LBB19_62:                              ;   Parent Loop BB19_4 Depth=1
                                        ;     Parent Loop BB19_40 Depth=2
                                        ; =>    This Inner Loop Header: Depth=3
	s_mov_b64 s[12:13], -1
	s_and_b64 vcc, exec, s[36:37]
                                        ; implicit-def: $vgpr20
                                        ; implicit-def: $vgpr18
	s_cbranch_vccz .LBB19_64
; %bb.63:                               ;   in Loop: Header=BB19_62 Depth=3
	v_add_u32_e32 v20, s42, v25
	v_add_u32_e32 v18, v5, v25
	s_mov_b64 s[12:13], 0
.LBB19_64:                              ;   in Loop: Header=BB19_62 Depth=3
	s_andn2_b64 vcc, exec, s[12:13]
	s_cbranch_vccnz .LBB19_61
; %bb.65:                               ;   in Loop: Header=BB19_62 Depth=3
	v_add_u32_e32 v20, s38, v24
	v_add_u32_e32 v18, s38, v22
	s_branch .LBB19_61
.LBB19_66:
	s_or_b64 exec, exec, s[20:21]
	v_cmp_eq_u32_e32 vcc, 31, v0
	s_and_saveexec_b64 s[0:1], vcc
	s_cbranch_execz .LBB19_68
; %bb.67:
	v_lshl_add_u64 v[0:1], v[2:3], 2, s[18:19]
	v_mov_b32_e32 v2, 1
	buffer_wbl2 sc1
	global_store_dword v[0:1], v2, off sc1
.LBB19_68:
	s_or_b64 exec, exec, s[0:1]
                                        ; implicit-def: $vgpr0
                                        ; implicit-def: $vgpr2_vgpr3
.LBB19_69:
	s_andn2_saveexec_b64 s[0:1], s[14:15]
	s_cbranch_execz .LBB19_76
; %bb.70:
	v_cmp_eq_u32_e32 vcc, 31, v0
	s_and_saveexec_b64 s[0:1], vcc
	s_cbranch_execz .LBB19_76
; %bb.71:
	s_mov_b64 s[0:1], exec
	v_add_u32_e32 v0, s33, v2
	s_brev_b32 s2, -2
.LBB19_72:                              ; =>This Inner Loop Header: Depth=1
	s_ff1_i32_b64 s3, s[0:1]
	v_readlane_b32 s6, v0, s3
	s_lshl_b64 s[4:5], 1, s3
	s_min_i32 s2, s2, s6
	s_andn2_b64 s[0:1], s[0:1], s[4:5]
	s_cmp_lg_u64 s[0:1], 0
	s_cbranch_scc1 .LBB19_72
; %bb.73:
	v_mbcnt_lo_u32_b32 v0, exec_lo, 0
	v_mbcnt_hi_u32_b32 v0, exec_hi, v0
	v_cmp_eq_u32_e32 vcc, 0, v0
	s_and_saveexec_b64 s[0:1], vcc
	s_xor_b64 s[0:1], exec, s[0:1]
	s_cbranch_execz .LBB19_75
; %bb.74:
	v_mov_b32_e32 v0, 0
	v_mov_b32_e32 v1, s2
	global_atomic_smin v0, v1, s[22:23]
.LBB19_75:
	s_or_b64 exec, exec, s[0:1]
	v_lshl_add_u64 v[0:1], v[2:3], 2, s[18:19]
	v_mov_b32_e32 v2, 1
	buffer_wbl2 sc1
	s_waitcnt vmcnt(0)
	global_store_dword v[0:1], v2, off sc1
.LBB19_76:
	s_endpgm
	.section	.rodata,"a",@progbits
	.p2align	6, 0x0
	.amdhsa_kernel _ZN9rocsparseL23bsric0_binsearch_kernelILj32ELj32ELb0EdEEv20rocsparse_direction_iiPKiS3_PT2_S3_PiS3_S6_21rocsparse_index_base_
		.amdhsa_group_segment_fixed_size 0
		.amdhsa_private_segment_fixed_size 0
		.amdhsa_kernarg_size 76
		.amdhsa_user_sgpr_count 2
		.amdhsa_user_sgpr_dispatch_ptr 0
		.amdhsa_user_sgpr_queue_ptr 0
		.amdhsa_user_sgpr_kernarg_segment_ptr 1
		.amdhsa_user_sgpr_dispatch_id 0
		.amdhsa_user_sgpr_kernarg_preload_length 0
		.amdhsa_user_sgpr_kernarg_preload_offset 0
		.amdhsa_user_sgpr_private_segment_size 0
		.amdhsa_uses_dynamic_stack 0
		.amdhsa_enable_private_segment 0
		.amdhsa_system_sgpr_workgroup_id_x 1
		.amdhsa_system_sgpr_workgroup_id_y 0
		.amdhsa_system_sgpr_workgroup_id_z 0
		.amdhsa_system_sgpr_workgroup_info 0
		.amdhsa_system_vgpr_workitem_id 0
		.amdhsa_next_free_vgpr 52
		.amdhsa_next_free_sgpr 57
		.amdhsa_accum_offset 52
		.amdhsa_reserve_vcc 1
		.amdhsa_float_round_mode_32 0
		.amdhsa_float_round_mode_16_64 0
		.amdhsa_float_denorm_mode_32 3
		.amdhsa_float_denorm_mode_16_64 3
		.amdhsa_dx10_clamp 1
		.amdhsa_ieee_mode 1
		.amdhsa_fp16_overflow 0
		.amdhsa_tg_split 0
		.amdhsa_exception_fp_ieee_invalid_op 0
		.amdhsa_exception_fp_denorm_src 0
		.amdhsa_exception_fp_ieee_div_zero 0
		.amdhsa_exception_fp_ieee_overflow 0
		.amdhsa_exception_fp_ieee_underflow 0
		.amdhsa_exception_fp_ieee_inexact 0
		.amdhsa_exception_int_div_zero 0
	.end_amdhsa_kernel
	.section	.text._ZN9rocsparseL23bsric0_binsearch_kernelILj32ELj32ELb0EdEEv20rocsparse_direction_iiPKiS3_PT2_S3_PiS3_S6_21rocsparse_index_base_,"axG",@progbits,_ZN9rocsparseL23bsric0_binsearch_kernelILj32ELj32ELb0EdEEv20rocsparse_direction_iiPKiS3_PT2_S3_PiS3_S6_21rocsparse_index_base_,comdat
.Lfunc_end19:
	.size	_ZN9rocsparseL23bsric0_binsearch_kernelILj32ELj32ELb0EdEEv20rocsparse_direction_iiPKiS3_PT2_S3_PiS3_S6_21rocsparse_index_base_, .Lfunc_end19-_ZN9rocsparseL23bsric0_binsearch_kernelILj32ELj32ELb0EdEEv20rocsparse_direction_iiPKiS3_PT2_S3_PiS3_S6_21rocsparse_index_base_
                                        ; -- End function
	.set _ZN9rocsparseL23bsric0_binsearch_kernelILj32ELj32ELb0EdEEv20rocsparse_direction_iiPKiS3_PT2_S3_PiS3_S6_21rocsparse_index_base_.num_vgpr, 52
	.set _ZN9rocsparseL23bsric0_binsearch_kernelILj32ELj32ELb0EdEEv20rocsparse_direction_iiPKiS3_PT2_S3_PiS3_S6_21rocsparse_index_base_.num_agpr, 0
	.set _ZN9rocsparseL23bsric0_binsearch_kernelILj32ELj32ELb0EdEEv20rocsparse_direction_iiPKiS3_PT2_S3_PiS3_S6_21rocsparse_index_base_.numbered_sgpr, 57
	.set _ZN9rocsparseL23bsric0_binsearch_kernelILj32ELj32ELb0EdEEv20rocsparse_direction_iiPKiS3_PT2_S3_PiS3_S6_21rocsparse_index_base_.num_named_barrier, 0
	.set _ZN9rocsparseL23bsric0_binsearch_kernelILj32ELj32ELb0EdEEv20rocsparse_direction_iiPKiS3_PT2_S3_PiS3_S6_21rocsparse_index_base_.private_seg_size, 0
	.set _ZN9rocsparseL23bsric0_binsearch_kernelILj32ELj32ELb0EdEEv20rocsparse_direction_iiPKiS3_PT2_S3_PiS3_S6_21rocsparse_index_base_.uses_vcc, 1
	.set _ZN9rocsparseL23bsric0_binsearch_kernelILj32ELj32ELb0EdEEv20rocsparse_direction_iiPKiS3_PT2_S3_PiS3_S6_21rocsparse_index_base_.uses_flat_scratch, 0
	.set _ZN9rocsparseL23bsric0_binsearch_kernelILj32ELj32ELb0EdEEv20rocsparse_direction_iiPKiS3_PT2_S3_PiS3_S6_21rocsparse_index_base_.has_dyn_sized_stack, 0
	.set _ZN9rocsparseL23bsric0_binsearch_kernelILj32ELj32ELb0EdEEv20rocsparse_direction_iiPKiS3_PT2_S3_PiS3_S6_21rocsparse_index_base_.has_recursion, 0
	.set _ZN9rocsparseL23bsric0_binsearch_kernelILj32ELj32ELb0EdEEv20rocsparse_direction_iiPKiS3_PT2_S3_PiS3_S6_21rocsparse_index_base_.has_indirect_call, 0
	.section	.AMDGPU.csdata,"",@progbits
; Kernel info:
; codeLenInByte = 2516
; TotalNumSgprs: 63
; NumVgprs: 52
; NumAgprs: 0
; TotalNumVgprs: 52
; ScratchSize: 0
; MemoryBound: 0
; FloatMode: 240
; IeeeMode: 1
; LDSByteSize: 0 bytes/workgroup (compile time only)
; SGPRBlocks: 7
; VGPRBlocks: 6
; NumSGPRsForWavesPerEU: 63
; NumVGPRsForWavesPerEU: 52
; AccumOffset: 52
; Occupancy: 8
; WaveLimiterHint : 1
; COMPUTE_PGM_RSRC2:SCRATCH_EN: 0
; COMPUTE_PGM_RSRC2:USER_SGPR: 2
; COMPUTE_PGM_RSRC2:TRAP_HANDLER: 0
; COMPUTE_PGM_RSRC2:TGID_X_EN: 1
; COMPUTE_PGM_RSRC2:TGID_Y_EN: 0
; COMPUTE_PGM_RSRC2:TGID_Z_EN: 0
; COMPUTE_PGM_RSRC2:TIDIG_COMP_CNT: 0
; COMPUTE_PGM_RSRC3_GFX90A:ACCUM_OFFSET: 12
; COMPUTE_PGM_RSRC3_GFX90A:TG_SPLIT: 0
	.section	.text._ZN9rocsparseL23bsric0_binsearch_kernelILj64ELj64ELb1EdEEv20rocsparse_direction_iiPKiS3_PT2_S3_PiS3_S6_21rocsparse_index_base_,"axG",@progbits,_ZN9rocsparseL23bsric0_binsearch_kernelILj64ELj64ELb1EdEEv20rocsparse_direction_iiPKiS3_PT2_S3_PiS3_S6_21rocsparse_index_base_,comdat
	.globl	_ZN9rocsparseL23bsric0_binsearch_kernelILj64ELj64ELb1EdEEv20rocsparse_direction_iiPKiS3_PT2_S3_PiS3_S6_21rocsparse_index_base_ ; -- Begin function _ZN9rocsparseL23bsric0_binsearch_kernelILj64ELj64ELb1EdEEv20rocsparse_direction_iiPKiS3_PT2_S3_PiS3_S6_21rocsparse_index_base_
	.p2align	8
	.type	_ZN9rocsparseL23bsric0_binsearch_kernelILj64ELj64ELb1EdEEv20rocsparse_direction_iiPKiS3_PT2_S3_PiS3_S6_21rocsparse_index_base_,@function
_ZN9rocsparseL23bsric0_binsearch_kernelILj64ELj64ELb1EdEEv20rocsparse_direction_iiPKiS3_PT2_S3_PiS3_S6_21rocsparse_index_base_: ; @_ZN9rocsparseL23bsric0_binsearch_kernelILj64ELj64ELb1EdEEv20rocsparse_direction_iiPKiS3_PT2_S3_PiS3_S6_21rocsparse_index_base_
; %bb.0:
	s_load_dwordx8 s[16:23], s[0:1], 0x28
	s_ashr_i32 s3, s2, 31
	s_lshl_b64 s[2:3], s[2:3], 2
	v_mov_b32_e32 v1, 0
	s_load_dword s33, s[0:1], 0x48
	s_waitcnt lgkmcnt(0)
	s_add_u32 s2, s20, s2
	s_addc_u32 s3, s21, s3
	global_load_dword v2, v1, s[2:3]
	s_waitcnt vmcnt(0)
	v_ashrrev_i32_e32 v3, 31, v2
	v_lshlrev_b64 v[4:5], 2, v[2:3]
	v_lshl_add_u64 v[4:5], s[16:17], 0, v[4:5]
	global_load_dword v1, v[4:5], off
	s_waitcnt vmcnt(0)
	v_readfirstlane_b32 s2, v1
	s_cmp_lg_u32 s2, -1
	s_cselect_b64 s[2:3], -1, 0
	s_and_saveexec_b64 s[4:5], s[2:3]
	s_xor_b64 s[14:15], exec, s[4:5]
	s_cbranch_execz .LBB20_71
; %bb.1:
	s_load_dword s52, s[0:1], 0x8
	s_waitcnt lgkmcnt(0)
	v_cmp_gt_i32_e32 vcc, s52, v0
	s_and_saveexec_b64 s[20:21], vcc
	s_cbranch_execz .LBB20_68
; %bb.2:
	s_load_dwordx4 s[24:27], s[0:1], 0x10
	s_load_dword s4, s[0:1], 0x0
	s_load_dwordx2 s[28:29], s[0:1], 0x20
	s_mul_i32 s53, s52, s52
	s_mov_b32 s34, 0
	s_waitcnt lgkmcnt(0)
	v_lshl_add_u64 v[4:5], v[2:3], 2, s[24:25]
	global_load_dwordx2 v[4:5], v[4:5], off
	s_cmp_eq_u32 s4, 0
	s_cselect_b64 s[2:3], -1, 0
	s_cmp_lg_u32 s4, 0
	v_cmp_ne_u32_e64 s[0:1], 0, v0
	v_add_u32_e32 v26, s33, v2
	s_mov_b64 s[30:31], 0
	v_mov_b32_e32 v27, 0
	s_brev_b32 s35, 8
	v_mov_b32_e32 v28, 0x260
	v_mov_b32_e32 v29, 0x3ff00000
	;; [unrolled: 1-line block ×4, first 2 shown]
	v_mul_lo_u32 v32, v1, s53
	s_cselect_b64 s[36:37], -1, 0
	s_waitcnt vmcnt(0)
	v_subrev_u32_e32 v33, s33, v4
	v_xad_u32 v34, s33, -1, v5
	v_add_u32_e32 v4, v34, v33
	v_ashrrev_i32_e32 v4, 1, v4
	v_mul_lo_u32 v35, s53, v33
	v_ashrrev_i32_e32 v5, 31, v4
	v_cmp_lt_i32_e64 s[4:5], v33, v1
	v_cmp_ge_i32_e64 s[6:7], v33, v1
	v_cmp_lt_i32_e64 s[8:9], v33, v34
	v_add_u32_e32 v36, v35, v0
	v_lshl_add_u64 v[6:7], v[4:5], 2, s[26:27]
	v_mov_b32_e32 v5, v0
	s_branch .LBB20_4
.LBB20_3:                               ;   in Loop: Header=BB20_4 Depth=1
	v_add_u32_e32 v5, 64, v5
	v_cmp_le_i32_e32 vcc, s52, v5
	s_or_b64 s[30:31], vcc, s[30:31]
	v_add_u32_e32 v36, 64, v36
	s_andn2_b64 exec, exec, s[30:31]
	s_cbranch_execz .LBB20_68
.LBB20_4:                               ; =>This Loop Header: Depth=1
                                        ;     Child Loop BB20_9 Depth 2
                                        ;       Child Loop BB20_13 Depth 3
                                        ;         Child Loop BB20_14 Depth 4
                                        ;       Child Loop BB20_18 Depth 3
                                        ;         Child Loop BB20_20 Depth 4
                                        ;         Child Loop BB20_27 Depth 4
                                        ;           Child Loop BB20_29 Depth 5
                                        ;           Child Loop BB20_35 Depth 5
                                        ;     Child Loop BB20_42 Depth 2
                                        ;       Child Loop BB20_46 Depth 3
                                        ;       Child Loop BB20_54 Depth 3
                                        ;         Child Loop BB20_56 Depth 4
                                        ;       Child Loop BB20_64 Depth 3
	v_mul_lo_u32 v37, v5, s52
	s_and_saveexec_b64 s[10:11], s[6:7]
	s_xor_b64 s[10:11], exec, s[10:11]
; %bb.5:                                ;   in Loop: Header=BB20_4 Depth=1
	v_mul_lo_u32 v37, v5, s52
; %bb.6:                                ;   in Loop: Header=BB20_4 Depth=1
	s_or_saveexec_b64 s[38:39], s[10:11]
	v_mov_b64_e32 v[8:9], 0
	s_xor_b64 exec, exec, s[38:39]
	s_cbranch_execz .LBB20_39
; %bb.7:                                ;   in Loop: Header=BB20_4 Depth=1
	v_mov_b64_e32 v[8:9], 0
	s_mov_b64 s[40:41], 0
	v_mov_b32_e32 v10, v33
	s_branch .LBB20_9
.LBB20_8:                               ;   in Loop: Header=BB20_9 Depth=2
	s_or_b64 exec, exec, s[42:43]
	v_add_u32_e32 v10, 1, v10
	v_cmp_ge_i32_e32 vcc, v10, v1
	s_xor_b64 s[10:11], s[10:11], -1
	s_or_b64 s[10:11], s[10:11], vcc
	s_and_b64 s[10:11], exec, s[10:11]
	s_or_b64 s[40:41], s[10:11], s[40:41]
	s_andn2_b64 exec, exec, s[40:41]
	s_cbranch_execz .LBB20_38
.LBB20_9:                               ;   Parent Loop BB20_4 Depth=1
                                        ; =>  This Loop Header: Depth=2
                                        ;       Child Loop BB20_13 Depth 3
                                        ;         Child Loop BB20_14 Depth 4
                                        ;       Child Loop BB20_18 Depth 3
                                        ;         Child Loop BB20_20 Depth 4
                                        ;         Child Loop BB20_27 Depth 4
                                        ;           Child Loop BB20_29 Depth 5
                                        ;           Child Loop BB20_35 Depth 5
	v_ashrrev_i32_e32 v11, 31, v10
	v_lshl_add_u64 v[12:13], v[10:11], 2, s[26:27]
	global_load_dword v11, v[12:13], off
	s_waitcnt vmcnt(0)
	v_subrev_u32_e32 v12, s33, v11
	v_ashrrev_i32_e32 v13, 31, v12
	v_lshl_add_u64 v[14:15], v[12:13], 2, s[16:17]
	global_load_dword v38, v[14:15], off
	s_waitcnt vmcnt(0)
	v_cmp_ne_u32_e64 s[10:11], -1, v38
	s_and_saveexec_b64 s[42:43], s[10:11]
	s_cbranch_execz .LBB20_8
; %bb.10:                               ;   in Loop: Header=BB20_9 Depth=2
	v_lshlrev_b64 v[14:15], 2, v[12:13]
	v_lshl_add_u64 v[16:17], s[24:25], 0, v[14:15]
	v_lshl_add_u64 v[14:15], s[18:19], 0, v[14:15]
	global_load_dword v13, v[16:17], off
	s_nop 0
	global_load_dword v16, v[14:15], off sc1
	s_waitcnt vmcnt(0)
	v_cmp_eq_u32_e32 vcc, 0, v16
	s_and_saveexec_b64 s[12:13], vcc
	s_cbranch_execz .LBB20_15
; %bb.11:                               ;   in Loop: Header=BB20_9 Depth=2
	s_mov_b32 s46, 0
	s_mov_b64 s[44:45], 0
	s_branch .LBB20_13
.LBB20_12:                              ;   in Loop: Header=BB20_13 Depth=3
	global_load_dword v16, v[14:15], off sc1
	s_cmpk_lt_u32 s46, 0xf43
	s_cselect_b64 s[48:49], -1, 0
	s_cmp_lg_u64 s[48:49], 0
	s_addc_u32 s46, s46, 0
	s_waitcnt vmcnt(0)
	v_cmp_ne_u32_e32 vcc, 0, v16
	s_or_b64 s[44:45], vcc, s[44:45]
	s_andn2_b64 exec, exec, s[44:45]
	s_cbranch_execz .LBB20_15
.LBB20_13:                              ;   Parent Loop BB20_4 Depth=1
                                        ;     Parent Loop BB20_9 Depth=2
                                        ; =>    This Loop Header: Depth=3
                                        ;         Child Loop BB20_14 Depth 4
	s_cmp_eq_u32 s46, 0
	s_mov_b32 s47, s46
	s_cbranch_scc1 .LBB20_12
.LBB20_14:                              ;   Parent Loop BB20_4 Depth=1
                                        ;     Parent Loop BB20_9 Depth=2
                                        ;       Parent Loop BB20_13 Depth=3
                                        ; =>      This Inner Loop Header: Depth=4
	s_add_i32 s47, s47, -1
	s_cmp_eq_u32 s47, 0
	s_sleep 1
	s_cbranch_scc0 .LBB20_14
	s_branch .LBB20_12
.LBB20_15:                              ;   in Loop: Header=BB20_9 Depth=2
	s_or_b64 exec, exec, s[12:13]
	v_subrev_u32_e32 v39, s33, v13
	v_mul_lo_u32 v40, v12, s52
	v_mul_lo_u32 v12, v10, s53
	;; [unrolled: 1-line block ×3, first 2 shown]
	v_add_u32_e32 v42, v12, v5
	v_add_u32_e32 v43, v12, v37
	v_cmp_le_i32_e64 s[12:13], v39, v38
	v_mul_lo_u32 v44, s53, v39
	s_mov_b32 s54, 0
	buffer_inv sc1
	s_branch .LBB20_18
.LBB20_16:                              ;   in Loop: Header=BB20_18 Depth=3
	s_or_b64 exec, exec, s[46:47]
.LBB20_17:                              ;   in Loop: Header=BB20_18 Depth=3
	s_or_b64 exec, exec, s[44:45]
	s_waitcnt vmcnt(0)
	v_add_f64 v[16:17], v[16:17], -v[18:19]
	v_div_scale_f64 v[18:19], s[44:45], v[12:13], v[12:13], v[16:17]
	v_rcp_f64_e32 v[20:21], v[18:19]
	v_div_scale_f64 v[22:23], vcc, v[16:17], v[12:13], v[16:17]
	s_add_i32 s54, s54, 1
	v_fma_f64 v[24:25], -v[18:19], v[20:21], 1.0
	v_fmac_f64_e32 v[20:21], v[20:21], v[24:25]
	v_fma_f64 v[24:25], -v[18:19], v[20:21], 1.0
	v_fmac_f64_e32 v[20:21], v[20:21], v[24:25]
	v_mul_f64 v[24:25], v[22:23], v[20:21]
	v_fma_f64 v[18:19], -v[18:19], v[24:25], v[22:23]
	v_div_fmas_f64 v[18:19], v[18:19], v[20:21], v[24:25]
	v_div_fixup_f64 v[12:13], v[18:19], v[12:13], v[16:17]
	v_fmac_f64_e32 v[8:9], v[12:13], v[12:13]
	s_cmp_eq_u32 s54, s52
	v_add_u32_e32 v44, 1, v44
	global_store_dwordx2 v[14:15], v[12:13], off
	s_cbranch_scc1 .LBB20_8
.LBB20_18:                              ;   Parent Loop BB20_4 Depth=1
                                        ;     Parent Loop BB20_9 Depth=2
                                        ; =>    This Loop Header: Depth=3
                                        ;         Child Loop BB20_20 Depth 4
                                        ;         Child Loop BB20_27 Depth 4
                                        ;           Child Loop BB20_29 Depth 5
                                        ;           Child Loop BB20_35 Depth 5
	s_mul_i32 s55, s54, s52
	s_add_i32 s44, s55, s54
	v_add_u32_e32 v12, s44, v41
	v_ashrrev_i32_e32 v13, 31, v12
	v_lshl_add_u64 v[12:13], v[12:13], 3, s[28:29]
	global_load_dwordx2 v[12:13], v[12:13], off
	s_waitcnt vmcnt(0)
	v_cmp_neq_f64_e32 vcc, 0, v[12:13]
	s_nop 1
	v_cndmask_b32_e32 v13, v29, v13, vcc
	s_nor_b64 s[46:47], vcc, s[0:1]
	v_cndmask_b32_e32 v12, 0, v12, vcc
	s_and_saveexec_b64 s[44:45], s[46:47]
	s_cbranch_execz .LBB20_24
; %bb.19:                               ;   in Loop: Header=BB20_18 Depth=3
	s_mov_b64 s[46:47], exec
	s_brev_b32 s48, -2
.LBB20_20:                              ;   Parent Loop BB20_4 Depth=1
                                        ;     Parent Loop BB20_9 Depth=2
                                        ;       Parent Loop BB20_18 Depth=3
                                        ; =>      This Inner Loop Header: Depth=4
	s_ff1_i32_b64 s49, s[46:47]
	v_readlane_b32 s56, v11, s49
	s_lshl_b64 s[50:51], 1, s49
	s_min_i32 s48, s48, s56
	s_andn2_b64 s[46:47], s[46:47], s[50:51]
	s_cmp_lg_u64 s[46:47], 0
	s_cbranch_scc1 .LBB20_20
; %bb.21:                               ;   in Loop: Header=BB20_18 Depth=3
	v_mbcnt_lo_u32_b32 v12, exec_lo, 0
	v_mbcnt_hi_u32_b32 v12, exec_hi, v12
	v_cmp_eq_u32_e32 vcc, 0, v12
	s_and_saveexec_b64 s[46:47], vcc
	s_xor_b64 s[46:47], exec, s[46:47]
	s_cbranch_execz .LBB20_23
; %bb.22:                               ;   in Loop: Header=BB20_18 Depth=3
	v_mov_b32_e32 v12, s48
	global_atomic_smin v27, v12, s[22:23]
.LBB20_23:                              ;   in Loop: Header=BB20_18 Depth=3
	s_or_b64 exec, exec, s[46:47]
	v_mov_b64_e32 v[12:13], 1.0
.LBB20_24:                              ;   in Loop: Header=BB20_18 Depth=3
	s_or_b64 exec, exec, s[44:45]
	v_add_u32_e32 v14, s55, v42
	v_add_u32_e32 v15, s54, v43
	v_cndmask_b32_e64 v14, v14, v15, s[2:3]
	v_ashrrev_i32_e32 v15, 31, v14
	v_lshl_add_u64 v[14:15], v[14:15], 3, s[28:29]
	global_load_dwordx2 v[16:17], v[14:15], off
	v_mov_b64_e32 v[18:19], 0
	s_and_saveexec_b64 s[44:45], s[12:13]
	s_cbranch_execz .LBB20_17
; %bb.25:                               ;   in Loop: Header=BB20_18 Depth=3
	global_load_dword v45, v[6:7], off
	v_add_u32_e32 v46, s54, v40
	v_mov_b64_e32 v[18:19], 0
	s_mov_b64 s[46:47], 0
	v_mov_b32_e32 v47, v44
	v_mov_b32_e32 v20, v39
	s_branch .LBB20_27
.LBB20_26:                              ;   in Loop: Header=BB20_27 Depth=4
	s_or_b64 exec, exec, s[48:49]
	v_add_u32_e32 v21, 1, v20
	v_cmp_ge_i32_e32 vcc, v20, v38
	v_add_u32_e32 v47, s53, v47
	s_or_b64 s[46:47], vcc, s[46:47]
	v_mov_b32_e32 v20, v21
	s_andn2_b64 exec, exec, s[46:47]
	s_cbranch_execz .LBB20_16
.LBB20_27:                              ;   Parent Loop BB20_4 Depth=1
                                        ;     Parent Loop BB20_9 Depth=2
                                        ;       Parent Loop BB20_18 Depth=3
                                        ; =>      This Loop Header: Depth=4
                                        ;           Child Loop BB20_29 Depth 5
                                        ;           Child Loop BB20_35 Depth 5
	v_ashrrev_i32_e32 v21, 31, v20
	v_lshl_add_u64 v[22:23], v[20:21], 2, s[26:27]
	global_load_dword v21, v[22:23], off
	s_waitcnt vmcnt(1)
	v_mov_b32_e32 v23, v45
	v_mov_b32_e32 v22, v4
	s_and_saveexec_b64 s[48:49], s[8:9]
	s_cbranch_execz .LBB20_31
; %bb.28:                               ;   in Loop: Header=BB20_27 Depth=4
	s_mov_b64 s[50:51], 0
	v_mov_b32_e32 v23, v45
	v_mov_b32_e32 v22, v4
	;; [unrolled: 1-line block ×4, first 2 shown]
.LBB20_29:                              ;   Parent Loop BB20_4 Depth=1
                                        ;     Parent Loop BB20_9 Depth=2
                                        ;       Parent Loop BB20_18 Depth=3
                                        ;         Parent Loop BB20_27 Depth=4
                                        ; =>        This Inner Loop Header: Depth=5
	v_add_u32_e32 v48, 1, v22
	s_waitcnt vmcnt(0)
	v_cmp_lt_i32_e32 vcc, v23, v21
	s_nop 1
	v_cndmask_b32_e32 v25, v25, v48, vcc
	v_cndmask_b32_e32 v24, v22, v24, vcc
	v_add_u32_e32 v22, v24, v25
	v_ashrrev_i32_e32 v22, 1, v22
	v_ashrrev_i32_e32 v23, 31, v22
	v_lshl_add_u64 v[48:49], v[22:23], 2, s[26:27]
	global_load_dword v23, v[48:49], off
	v_cmp_ge_i32_e32 vcc, v25, v24
	s_or_b64 s[50:51], vcc, s[50:51]
	s_andn2_b64 exec, exec, s[50:51]
	s_cbranch_execnz .LBB20_29
; %bb.30:                               ;   in Loop: Header=BB20_27 Depth=4
	s_or_b64 exec, exec, s[50:51]
.LBB20_31:                              ;   in Loop: Header=BB20_27 Depth=4
	s_or_b64 exec, exec, s[48:49]
	s_waitcnt vmcnt(0)
	v_cmp_eq_u32_e32 vcc, v23, v21
	s_and_saveexec_b64 s[48:49], vcc
	s_cbranch_execz .LBB20_26
; %bb.32:                               ;   in Loop: Header=BB20_27 Depth=4
	v_subrev_u32_e32 v21, s33, v21
	v_mul_lo_u32 v23, v20, s53
	v_mul_lo_u32 v22, v22, s53
	;; [unrolled: 1-line block ×3, first 2 shown]
	v_add_u32_e32 v48, s55, v23
	v_add_u32_e32 v49, v22, v37
	;; [unrolled: 1-line block ×3, first 2 shown]
	s_mov_b32 s56, 0
	v_mov_b32_e32 v51, v47
	s_branch .LBB20_35
.LBB20_33:                              ;   in Loop: Header=BB20_35 Depth=5
	v_ashrrev_i32_e32 v25, 31, v24
	v_ashrrev_i32_e32 v23, 31, v22
	v_lshl_add_u64 v[24:25], v[24:25], 3, s[28:29]
	v_lshl_add_u64 v[22:23], v[22:23], 3, s[28:29]
	global_load_dwordx2 v[24:25], v[24:25], off
	s_nop 0
	global_load_dwordx2 v[22:23], v[22:23], off
	s_waitcnt vmcnt(0)
	v_fmac_f64_e32 v[18:19], v[24:25], v[22:23]
.LBB20_34:                              ;   in Loop: Header=BB20_35 Depth=5
	s_or_b64 exec, exec, s[50:51]
	s_add_i32 s56, s56, 1
	v_add_u32_e32 v50, s52, v50
	s_cmp_lg_u32 s52, s56
	v_add_u32_e32 v51, s52, v51
	s_cbranch_scc0 .LBB20_26
.LBB20_35:                              ;   Parent Loop BB20_4 Depth=1
                                        ;     Parent Loop BB20_9 Depth=2
                                        ;       Parent Loop BB20_18 Depth=3
                                        ;         Parent Loop BB20_27 Depth=4
                                        ; =>        This Inner Loop Header: Depth=5
	v_add_u32_e32 v22, s56, v21
	v_cmp_lt_i32_e32 vcc, v22, v46
	s_and_saveexec_b64 s[50:51], vcc
	s_cbranch_execz .LBB20_34
; %bb.36:                               ;   in Loop: Header=BB20_35 Depth=5
	s_andn2_b64 vcc, exec, s[2:3]
	v_mov_b32_e32 v22, v50
	v_mov_b32_e32 v24, v51
	s_cbranch_vccnz .LBB20_33
; %bb.37:                               ;   in Loop: Header=BB20_35 Depth=5
	v_add_u32_e32 v24, s56, v48
	v_add_u32_e32 v22, s56, v49
	s_branch .LBB20_33
.LBB20_38:                              ;   in Loop: Header=BB20_4 Depth=1
	s_or_b64 exec, exec, s[40:41]
.LBB20_39:                              ;   in Loop: Header=BB20_4 Depth=1
	s_or_b64 exec, exec, s[38:39]
	v_add_u32_e32 v22, v37, v32
	s_mov_b32 s42, 0
	v_mov_b32_e32 v23, v35
	s_branch .LBB20_42
.LBB20_40:                              ;   in Loop: Header=BB20_42 Depth=2
	s_waitcnt vmcnt(0)
	v_add_f64 v[14:15], v[14:15], -v[16:17]
	v_div_scale_f64 v[16:17], s[12:13], v[10:11], v[10:11], v[14:15]
	v_rcp_f64_e32 v[18:19], v[16:17]
	v_div_scale_f64 v[20:21], vcc, v[14:15], v[10:11], v[14:15]
	v_fma_f64 v[24:25], -v[16:17], v[18:19], 1.0
	v_fmac_f64_e32 v[18:19], v[18:19], v[24:25]
	v_fma_f64 v[24:25], -v[16:17], v[18:19], 1.0
	v_fmac_f64_e32 v[18:19], v[18:19], v[24:25]
	v_mul_f64 v[24:25], v[20:21], v[18:19]
	v_fma_f64 v[16:17], -v[16:17], v[24:25], v[20:21]
	v_div_fmas_f64 v[16:17], v[16:17], v[18:19], v[24:25]
	v_div_fixup_f64 v[10:11], v[16:17], v[10:11], v[14:15]
	v_fmac_f64_e32 v[8:9], v[10:11], v[10:11]
	global_store_dwordx2 v[12:13], v[10:11], off
.LBB20_41:                              ;   in Loop: Header=BB20_42 Depth=2
	s_or_b64 exec, exec, s[10:11]
	s_add_i32 s42, s42, 1
	s_cmp_eq_u32 s42, s52
	v_add_u32_e32 v23, 1, v23
	buffer_wbl2 sc1
	s_waitcnt vmcnt(0)
	buffer_inv sc1
	s_cbranch_scc1 .LBB20_3
.LBB20_42:                              ;   Parent Loop BB20_4 Depth=1
                                        ; =>  This Loop Header: Depth=2
                                        ;       Child Loop BB20_46 Depth 3
                                        ;       Child Loop BB20_54 Depth 3
                                        ;         Child Loop BB20_56 Depth 4
                                        ;       Child Loop BB20_64 Depth 3
	s_mul_i32 s43, s42, s52
	v_add_u32_e32 v24, s43, v32
	v_add_u32_e32 v10, s42, v24
	v_ashrrev_i32_e32 v11, 31, v10
	v_cmp_eq_u32_e32 vcc, s42, v5
	v_lshl_add_u64 v[10:11], v[10:11], 3, s[28:29]
	s_and_saveexec_b64 s[10:11], vcc
	s_cbranch_execz .LBB20_44
; %bb.43:                               ;   in Loop: Header=BB20_42 Depth=2
	global_load_dwordx2 v[12:13], v[10:11], off
	s_waitcnt vmcnt(0)
	v_add_f64 v[12:13], v[12:13], -v[8:9]
	v_xor_b32_e32 v14, 0x80000000, v13
	v_cmp_gt_f64_e32 vcc, 0, v[12:13]
	s_nop 1
	v_cndmask_b32_e32 v13, v13, v14, vcc
	v_cmp_gt_f64_e32 vcc, s[34:35], v[12:13]
	s_nop 1
	v_cndmask_b32_e32 v14, 0, v30, vcc
	v_ldexp_f64 v[12:13], v[12:13], v14
	v_rsq_f64_e32 v[14:15], v[12:13]
	v_cndmask_b32_e32 v20, 0, v31, vcc
	v_cmp_class_f64_e32 vcc, v[12:13], v28
	v_mul_f64 v[16:17], v[12:13], v[14:15]
	v_mul_f64 v[14:15], v[14:15], 0.5
	v_fma_f64 v[18:19], -v[14:15], v[16:17], 0.5
	v_fmac_f64_e32 v[16:17], v[16:17], v[18:19]
	v_fmac_f64_e32 v[14:15], v[14:15], v[18:19]
	v_fma_f64 v[18:19], -v[16:17], v[16:17], v[12:13]
	v_fmac_f64_e32 v[16:17], v[18:19], v[14:15]
	v_fma_f64 v[18:19], -v[16:17], v[16:17], v[12:13]
	v_fmac_f64_e32 v[16:17], v[18:19], v[14:15]
	v_ldexp_f64 v[14:15], v[16:17], v20
	v_cndmask_b32_e32 v13, v15, v13, vcc
	v_cndmask_b32_e32 v12, v14, v12, vcc
	global_store_dwordx2 v[10:11], v[12:13], off
.LBB20_44:                              ;   in Loop: Header=BB20_42 Depth=2
	s_or_b64 exec, exec, s[10:11]
	buffer_wbl2 sc1
	s_waitcnt vmcnt(0)
	buffer_inv sc1
	global_load_dwordx2 v[10:11], v[10:11], off
	s_waitcnt vmcnt(0)
	v_cmp_neq_f64_e32 vcc, 0, v[10:11]
	s_nop 1
	v_cndmask_b32_e32 v11, v29, v11, vcc
	s_nor_b64 s[12:13], vcc, s[0:1]
	v_cndmask_b32_e32 v10, 0, v10, vcc
	s_and_saveexec_b64 s[10:11], s[12:13]
	s_cbranch_execz .LBB20_50
; %bb.45:                               ;   in Loop: Header=BB20_42 Depth=2
	s_mov_b64 s[12:13], exec
	s_brev_b32 s38, -2
.LBB20_46:                              ;   Parent Loop BB20_4 Depth=1
                                        ;     Parent Loop BB20_42 Depth=2
                                        ; =>    This Inner Loop Header: Depth=3
	s_ff1_i32_b64 s39, s[12:13]
	v_readlane_b32 s44, v26, s39
	s_lshl_b64 s[40:41], 1, s39
	s_min_i32 s38, s38, s44
	s_andn2_b64 s[12:13], s[12:13], s[40:41]
	s_cmp_lg_u64 s[12:13], 0
	s_cbranch_scc1 .LBB20_46
; %bb.47:                               ;   in Loop: Header=BB20_42 Depth=2
	v_mbcnt_lo_u32_b32 v10, exec_lo, 0
	v_mbcnt_hi_u32_b32 v10, exec_hi, v10
	v_cmp_eq_u32_e32 vcc, 0, v10
	s_and_saveexec_b64 s[12:13], vcc
	s_xor_b64 s[12:13], exec, s[12:13]
	s_cbranch_execz .LBB20_49
; %bb.48:                               ;   in Loop: Header=BB20_42 Depth=2
	v_mov_b32_e32 v10, s38
	global_atomic_smin v27, v10, s[22:23]
.LBB20_49:                              ;   in Loop: Header=BB20_42 Depth=2
	s_or_b64 exec, exec, s[12:13]
	v_mov_b64_e32 v[10:11], 1.0
.LBB20_50:                              ;   in Loop: Header=BB20_42 Depth=2
	s_or_b64 exec, exec, s[10:11]
	v_cmp_lt_i32_e32 vcc, s42, v5
	s_and_saveexec_b64 s[10:11], vcc
	s_cbranch_execz .LBB20_41
; %bb.51:                               ;   in Loop: Header=BB20_42 Depth=2
	v_add_u32_e32 v12, v24, v5
	v_add_u32_e32 v13, s42, v22
	v_cndmask_b32_e64 v12, v12, v13, s[2:3]
	v_ashrrev_i32_e32 v13, 31, v12
	v_lshl_add_u64 v[12:13], v[12:13], 3, s[28:29]
	global_load_dwordx2 v[14:15], v[12:13], off
	v_mov_b64_e32 v[16:17], 0
	s_and_saveexec_b64 s[12:13], s[4:5]
	s_cbranch_execz .LBB20_61
; %bb.52:                               ;   in Loop: Header=BB20_42 Depth=2
	v_mov_b64_e32 v[16:17], 0
	s_mov_b64 s[38:39], 0
	v_mov_b32_e32 v25, v23
	v_mov_b32_e32 v38, v36
	;; [unrolled: 1-line block ×3, first 2 shown]
	s_branch .LBB20_54
.LBB20_53:                              ;   in Loop: Header=BB20_54 Depth=3
	v_add_u32_e32 v39, 1, v39
	v_cmp_ge_i32_e32 vcc, v39, v1
	v_add_u32_e32 v38, s53, v38
	s_or_b64 s[38:39], vcc, s[38:39]
	v_add_u32_e32 v25, s53, v25
	s_andn2_b64 exec, exec, s[38:39]
	s_cbranch_execz .LBB20_60
.LBB20_54:                              ;   Parent Loop BB20_4 Depth=1
                                        ;     Parent Loop BB20_42 Depth=2
                                        ; =>    This Loop Header: Depth=3
                                        ;         Child Loop BB20_56 Depth 4
	v_mul_lo_u32 v18, v39, s53
	v_add_u32_e32 v40, s43, v18
	v_add_u32_e32 v41, v18, v37
	s_mov_b32 s44, 0
	s_mov_b32 s45, s52
	;; [unrolled: 1-line block ×3, first 2 shown]
	s_branch .LBB20_56
.LBB20_55:                              ;   in Loop: Header=BB20_56 Depth=4
	v_ashrrev_i32_e32 v21, 31, v20
	v_lshl_add_u64 v[20:21], v[20:21], 3, s[28:29]
	v_ashrrev_i32_e32 v19, 31, v18
	v_lshl_add_u64 v[18:19], v[18:19], 3, s[28:29]
	global_load_dwordx2 v[42:43], v[20:21], off
	global_load_dwordx2 v[44:45], v[18:19], off
	s_add_i32 s46, s46, 1
	s_add_i32 s44, s44, s52
	s_add_i32 s45, s45, -1
	s_cmp_eq_u32 s45, 0
	s_waitcnt vmcnt(0)
	v_fmac_f64_e32 v[16:17], v[42:43], v[44:45]
	s_cbranch_scc1 .LBB20_53
.LBB20_56:                              ;   Parent Loop BB20_4 Depth=1
                                        ;     Parent Loop BB20_42 Depth=2
                                        ;       Parent Loop BB20_54 Depth=3
                                        ; =>      This Inner Loop Header: Depth=4
	s_mov_b64 s[40:41], -1
	s_and_b64 vcc, exec, s[36:37]
                                        ; implicit-def: $vgpr20
                                        ; implicit-def: $vgpr18
	s_cbranch_vccz .LBB20_58
; %bb.57:                               ;   in Loop: Header=BB20_56 Depth=4
	v_add_u32_e32 v20, s44, v25
	v_add_u32_e32 v18, s44, v38
	s_mov_b64 s[40:41], 0
.LBB20_58:                              ;   in Loop: Header=BB20_56 Depth=4
	s_andn2_b64 vcc, exec, s[40:41]
	s_cbranch_vccnz .LBB20_55
; %bb.59:                               ;   in Loop: Header=BB20_56 Depth=4
	v_add_u32_e32 v20, s46, v40
	v_add_u32_e32 v18, s46, v41
	s_branch .LBB20_55
.LBB20_60:                              ;   in Loop: Header=BB20_42 Depth=2
	s_or_b64 exec, exec, s[38:39]
.LBB20_61:                              ;   in Loop: Header=BB20_42 Depth=2
	s_or_b64 exec, exec, s[12:13]
	s_cmp_eq_u32 s42, 0
	s_cbranch_scc1 .LBB20_40
; %bb.62:                               ;   in Loop: Header=BB20_42 Depth=2
	s_mov_b32 s38, 0
	v_mov_b32_e32 v25, v32
	s_branch .LBB20_64
.LBB20_63:                              ;   in Loop: Header=BB20_64 Depth=3
	v_ashrrev_i32_e32 v21, 31, v20
	v_lshl_add_u64 v[20:21], v[20:21], 3, s[28:29]
	v_ashrrev_i32_e32 v19, 31, v18
	v_lshl_add_u64 v[18:19], v[18:19], 3, s[28:29]
	global_load_dwordx2 v[38:39], v[20:21], off
	global_load_dwordx2 v[40:41], v[18:19], off
	s_add_i32 s38, s38, 1
	s_cmp_eq_u32 s42, s38
	v_add_u32_e32 v25, s52, v25
	s_waitcnt vmcnt(0)
	v_fmac_f64_e32 v[16:17], v[38:39], v[40:41]
	s_cbranch_scc1 .LBB20_40
.LBB20_64:                              ;   Parent Loop BB20_4 Depth=1
                                        ;     Parent Loop BB20_42 Depth=2
                                        ; =>    This Inner Loop Header: Depth=3
	s_mov_b64 s[12:13], -1
	s_and_b64 vcc, exec, s[36:37]
                                        ; implicit-def: $vgpr20
                                        ; implicit-def: $vgpr18
	s_cbranch_vccz .LBB20_66
; %bb.65:                               ;   in Loop: Header=BB20_64 Depth=3
	v_add_u32_e32 v20, s42, v25
	v_add_u32_e32 v18, v5, v25
	s_mov_b64 s[12:13], 0
.LBB20_66:                              ;   in Loop: Header=BB20_64 Depth=3
	s_andn2_b64 vcc, exec, s[12:13]
	s_cbranch_vccnz .LBB20_63
; %bb.67:                               ;   in Loop: Header=BB20_64 Depth=3
	v_add_u32_e32 v20, s38, v24
	v_add_u32_e32 v18, s38, v22
	s_branch .LBB20_63
.LBB20_68:
	s_or_b64 exec, exec, s[20:21]
	v_cmp_eq_u32_e32 vcc, 63, v0
	s_and_saveexec_b64 s[0:1], vcc
	s_cbranch_execz .LBB20_70
; %bb.69:
	v_lshl_add_u64 v[0:1], v[2:3], 2, s[18:19]
	v_mov_b32_e32 v2, 1
	buffer_wbl2 sc1
	global_store_dword v[0:1], v2, off sc1
.LBB20_70:
	s_or_b64 exec, exec, s[0:1]
                                        ; implicit-def: $vgpr0
                                        ; implicit-def: $vgpr2_vgpr3
.LBB20_71:
	s_andn2_saveexec_b64 s[0:1], s[14:15]
	s_cbranch_execz .LBB20_78
; %bb.72:
	v_cmp_eq_u32_e32 vcc, 63, v0
	s_and_saveexec_b64 s[0:1], vcc
	s_cbranch_execz .LBB20_78
; %bb.73:
	s_mov_b64 s[0:1], exec
	v_add_u32_e32 v0, s33, v2
	s_brev_b32 s2, -2
.LBB20_74:                              ; =>This Inner Loop Header: Depth=1
	s_ff1_i32_b64 s3, s[0:1]
	v_readlane_b32 s6, v0, s3
	s_lshl_b64 s[4:5], 1, s3
	s_min_i32 s2, s2, s6
	s_andn2_b64 s[0:1], s[0:1], s[4:5]
	s_cmp_lg_u64 s[0:1], 0
	s_cbranch_scc1 .LBB20_74
; %bb.75:
	v_mbcnt_lo_u32_b32 v0, exec_lo, 0
	v_mbcnt_hi_u32_b32 v0, exec_hi, v0
	v_cmp_eq_u32_e32 vcc, 0, v0
	s_and_saveexec_b64 s[0:1], vcc
	s_xor_b64 s[0:1], exec, s[0:1]
	s_cbranch_execz .LBB20_77
; %bb.76:
	v_mov_b32_e32 v0, 0
	v_mov_b32_e32 v1, s2
	global_atomic_smin v0, v1, s[22:23]
.LBB20_77:
	s_or_b64 exec, exec, s[0:1]
	v_lshl_add_u64 v[0:1], v[2:3], 2, s[18:19]
	v_mov_b32_e32 v2, 1
	buffer_wbl2 sc1
	s_waitcnt vmcnt(0)
	global_store_dword v[0:1], v2, off sc1
.LBB20_78:
	s_endpgm
	.section	.rodata,"a",@progbits
	.p2align	6, 0x0
	.amdhsa_kernel _ZN9rocsparseL23bsric0_binsearch_kernelILj64ELj64ELb1EdEEv20rocsparse_direction_iiPKiS3_PT2_S3_PiS3_S6_21rocsparse_index_base_
		.amdhsa_group_segment_fixed_size 0
		.amdhsa_private_segment_fixed_size 0
		.amdhsa_kernarg_size 76
		.amdhsa_user_sgpr_count 2
		.amdhsa_user_sgpr_dispatch_ptr 0
		.amdhsa_user_sgpr_queue_ptr 0
		.amdhsa_user_sgpr_kernarg_segment_ptr 1
		.amdhsa_user_sgpr_dispatch_id 0
		.amdhsa_user_sgpr_kernarg_preload_length 0
		.amdhsa_user_sgpr_kernarg_preload_offset 0
		.amdhsa_user_sgpr_private_segment_size 0
		.amdhsa_uses_dynamic_stack 0
		.amdhsa_enable_private_segment 0
		.amdhsa_system_sgpr_workgroup_id_x 1
		.amdhsa_system_sgpr_workgroup_id_y 0
		.amdhsa_system_sgpr_workgroup_id_z 0
		.amdhsa_system_sgpr_workgroup_info 0
		.amdhsa_system_vgpr_workitem_id 0
		.amdhsa_next_free_vgpr 52
		.amdhsa_next_free_sgpr 57
		.amdhsa_accum_offset 52
		.amdhsa_reserve_vcc 1
		.amdhsa_float_round_mode_32 0
		.amdhsa_float_round_mode_16_64 0
		.amdhsa_float_denorm_mode_32 3
		.amdhsa_float_denorm_mode_16_64 3
		.amdhsa_dx10_clamp 1
		.amdhsa_ieee_mode 1
		.amdhsa_fp16_overflow 0
		.amdhsa_tg_split 0
		.amdhsa_exception_fp_ieee_invalid_op 0
		.amdhsa_exception_fp_denorm_src 0
		.amdhsa_exception_fp_ieee_div_zero 0
		.amdhsa_exception_fp_ieee_overflow 0
		.amdhsa_exception_fp_ieee_underflow 0
		.amdhsa_exception_fp_ieee_inexact 0
		.amdhsa_exception_int_div_zero 0
	.end_amdhsa_kernel
	.section	.text._ZN9rocsparseL23bsric0_binsearch_kernelILj64ELj64ELb1EdEEv20rocsparse_direction_iiPKiS3_PT2_S3_PiS3_S6_21rocsparse_index_base_,"axG",@progbits,_ZN9rocsparseL23bsric0_binsearch_kernelILj64ELj64ELb1EdEEv20rocsparse_direction_iiPKiS3_PT2_S3_PiS3_S6_21rocsparse_index_base_,comdat
.Lfunc_end20:
	.size	_ZN9rocsparseL23bsric0_binsearch_kernelILj64ELj64ELb1EdEEv20rocsparse_direction_iiPKiS3_PT2_S3_PiS3_S6_21rocsparse_index_base_, .Lfunc_end20-_ZN9rocsparseL23bsric0_binsearch_kernelILj64ELj64ELb1EdEEv20rocsparse_direction_iiPKiS3_PT2_S3_PiS3_S6_21rocsparse_index_base_
                                        ; -- End function
	.set _ZN9rocsparseL23bsric0_binsearch_kernelILj64ELj64ELb1EdEEv20rocsparse_direction_iiPKiS3_PT2_S3_PiS3_S6_21rocsparse_index_base_.num_vgpr, 52
	.set _ZN9rocsparseL23bsric0_binsearch_kernelILj64ELj64ELb1EdEEv20rocsparse_direction_iiPKiS3_PT2_S3_PiS3_S6_21rocsparse_index_base_.num_agpr, 0
	.set _ZN9rocsparseL23bsric0_binsearch_kernelILj64ELj64ELb1EdEEv20rocsparse_direction_iiPKiS3_PT2_S3_PiS3_S6_21rocsparse_index_base_.numbered_sgpr, 57
	.set _ZN9rocsparseL23bsric0_binsearch_kernelILj64ELj64ELb1EdEEv20rocsparse_direction_iiPKiS3_PT2_S3_PiS3_S6_21rocsparse_index_base_.num_named_barrier, 0
	.set _ZN9rocsparseL23bsric0_binsearch_kernelILj64ELj64ELb1EdEEv20rocsparse_direction_iiPKiS3_PT2_S3_PiS3_S6_21rocsparse_index_base_.private_seg_size, 0
	.set _ZN9rocsparseL23bsric0_binsearch_kernelILj64ELj64ELb1EdEEv20rocsparse_direction_iiPKiS3_PT2_S3_PiS3_S6_21rocsparse_index_base_.uses_vcc, 1
	.set _ZN9rocsparseL23bsric0_binsearch_kernelILj64ELj64ELb1EdEEv20rocsparse_direction_iiPKiS3_PT2_S3_PiS3_S6_21rocsparse_index_base_.uses_flat_scratch, 0
	.set _ZN9rocsparseL23bsric0_binsearch_kernelILj64ELj64ELb1EdEEv20rocsparse_direction_iiPKiS3_PT2_S3_PiS3_S6_21rocsparse_index_base_.has_dyn_sized_stack, 0
	.set _ZN9rocsparseL23bsric0_binsearch_kernelILj64ELj64ELb1EdEEv20rocsparse_direction_iiPKiS3_PT2_S3_PiS3_S6_21rocsparse_index_base_.has_recursion, 0
	.set _ZN9rocsparseL23bsric0_binsearch_kernelILj64ELj64ELb1EdEEv20rocsparse_direction_iiPKiS3_PT2_S3_PiS3_S6_21rocsparse_index_base_.has_indirect_call, 0
	.section	.AMDGPU.csdata,"",@progbits
; Kernel info:
; codeLenInByte = 2572
; TotalNumSgprs: 63
; NumVgprs: 52
; NumAgprs: 0
; TotalNumVgprs: 52
; ScratchSize: 0
; MemoryBound: 0
; FloatMode: 240
; IeeeMode: 1
; LDSByteSize: 0 bytes/workgroup (compile time only)
; SGPRBlocks: 7
; VGPRBlocks: 6
; NumSGPRsForWavesPerEU: 63
; NumVGPRsForWavesPerEU: 52
; AccumOffset: 52
; Occupancy: 8
; WaveLimiterHint : 1
; COMPUTE_PGM_RSRC2:SCRATCH_EN: 0
; COMPUTE_PGM_RSRC2:USER_SGPR: 2
; COMPUTE_PGM_RSRC2:TRAP_HANDLER: 0
; COMPUTE_PGM_RSRC2:TGID_X_EN: 1
; COMPUTE_PGM_RSRC2:TGID_Y_EN: 0
; COMPUTE_PGM_RSRC2:TGID_Z_EN: 0
; COMPUTE_PGM_RSRC2:TIDIG_COMP_CNT: 0
; COMPUTE_PGM_RSRC3_GFX90A:ACCUM_OFFSET: 12
; COMPUTE_PGM_RSRC3_GFX90A:TG_SPLIT: 0
	.section	.text._ZN9rocsparseL26bsric0_2_8_unrolled_kernelILi1ELi32ELi1EdEEv20rocsparse_direction_iiPKiS3_PT2_S3_PiS3_S6_21rocsparse_index_base_,"axG",@progbits,_ZN9rocsparseL26bsric0_2_8_unrolled_kernelILi1ELi32ELi1EdEEv20rocsparse_direction_iiPKiS3_PT2_S3_PiS3_S6_21rocsparse_index_base_,comdat
	.globl	_ZN9rocsparseL26bsric0_2_8_unrolled_kernelILi1ELi32ELi1EdEEv20rocsparse_direction_iiPKiS3_PT2_S3_PiS3_S6_21rocsparse_index_base_ ; -- Begin function _ZN9rocsparseL26bsric0_2_8_unrolled_kernelILi1ELi32ELi1EdEEv20rocsparse_direction_iiPKiS3_PT2_S3_PiS3_S6_21rocsparse_index_base_
	.p2align	8
	.type	_ZN9rocsparseL26bsric0_2_8_unrolled_kernelILi1ELi32ELi1EdEEv20rocsparse_direction_iiPKiS3_PT2_S3_PiS3_S6_21rocsparse_index_base_,@function
_ZN9rocsparseL26bsric0_2_8_unrolled_kernelILi1ELi32ELi1EdEEv20rocsparse_direction_iiPKiS3_PT2_S3_PiS3_S6_21rocsparse_index_base_: ; @_ZN9rocsparseL26bsric0_2_8_unrolled_kernelILi1ELi32ELi1EdEEv20rocsparse_direction_iiPKiS3_PT2_S3_PiS3_S6_21rocsparse_index_base_
; %bb.0:
	s_load_dwordx8 s[4:11], s[0:1], 0x28
	s_mov_b32 s3, 0
	s_lshl_b64 s[2:3], s[2:3], 2
	s_waitcnt lgkmcnt(0)
	s_add_u32 s2, s8, s2
	s_addc_u32 s3, s9, s3
	s_load_dword s8, s[2:3], 0x0
	s_waitcnt lgkmcnt(0)
	s_ashr_i32 s9, s8, 31
	s_lshl_b64 s[2:3], s[8:9], 2
	s_add_u32 s12, s4, s2
	s_addc_u32 s13, s5, s3
	s_load_dword s16, s[12:13], 0x0
	s_load_dword s9, s[0:1], 0x48
	s_waitcnt lgkmcnt(0)
	s_cmp_lg_u32 s16, -1
	s_cbranch_scc0 .LBB21_15
; %bb.1:
	s_load_dwordx4 s[12:15], s[0:1], 0x10
	s_waitcnt lgkmcnt(0)
	s_add_u32 s18, s12, s2
	s_addc_u32 s19, s13, s3
	s_load_dword s22, s[18:19], 0x0
	s_waitcnt lgkmcnt(0)
	s_sub_i32 s17, s22, s9
	s_cmp_gt_i32 s17, s16
	s_cbranch_scc1 .LBB21_13
; %bb.2:
	s_add_i32 s18, s16, s9
	s_sub_i32 s23, s18, s22
	s_add_i32 s23, s23, 1
	s_mov_b64 s[20:21], -1
	s_cmp_lt_u32 s23, 2
	s_mov_b32 s18, s17
	s_cbranch_scc1 .LBB21_10
; %bb.3:
	s_add_i32 s18, s23, -2
	s_lshr_b32 s21, s18, 1
	s_add_i32 s21, s21, 1
	s_cmp_lt_u32 s18, 14
	s_mov_b32 s20, 0
	s_cbranch_scc1 .LBB21_6
; %bb.4:
	s_and_b32 s24, s21, -8
	s_movk_i32 s25, 0x100
.LBB21_5:                               ; =>This Inner Loop Header: Depth=1
	s_add_i32 s18, s17, s20
	s_ashr_i32 s19, s18, 31
	s_lshl_b64 s[26:27], s[18:19], 2
	s_add_u32 s26, s14, s26
	s_addc_u32 s27, s15, s27
	s_load_dwordx2 s[30:31], s[26:27], 0x0
	s_add_i32 s28, s18, 2
	s_ashr_i32 s29, s28, 31
	s_lshl_b64 s[26:27], s[28:29], 2
	v_mov_b32_e32 v0, s25
	s_waitcnt lgkmcnt(0)
	s_sub_i32 s19, s31, s9
	s_sub_i32 s28, s30, s9
	s_add_u32 s26, s14, s26
	s_addc_u32 s27, s15, s27
	s_load_dwordx2 s[30:31], s[26:27], 0x0
	v_mov_b32_e32 v1, s28
	s_add_i32 s28, s18, 4
	s_ashr_i32 s29, s28, 31
	v_mov_b32_e32 v2, s19
	s_lshl_b64 s[26:27], s[28:29], 2
	s_waitcnt lgkmcnt(0)
	s_sub_i32 s19, s31, s9
	s_sub_i32 s28, s30, s9
	s_add_u32 s26, s14, s26
	s_addc_u32 s27, s15, s27
	s_load_dwordx2 s[30:31], s[26:27], 0x0
	ds_write2_b32 v0, v1, v2 offset1:1
	v_mov_b32_e32 v1, s28
	s_add_i32 s28, s18, 6
	s_ashr_i32 s29, s28, 31
	v_mov_b32_e32 v2, s19
	s_lshl_b64 s[26:27], s[28:29], 2
	s_waitcnt lgkmcnt(0)
	s_sub_i32 s19, s31, s9
	s_sub_i32 s28, s30, s9
	s_add_u32 s26, s14, s26
	s_addc_u32 s27, s15, s27
	s_load_dwordx2 s[30:31], s[26:27], 0x0
	ds_write2_b32 v0, v1, v2 offset0:2 offset1:3
	v_mov_b32_e32 v1, s28
	s_add_i32 s28, s18, 8
	s_ashr_i32 s29, s28, 31
	v_mov_b32_e32 v2, s19
	s_lshl_b64 s[26:27], s[28:29], 2
	s_waitcnt lgkmcnt(0)
	s_sub_i32 s19, s31, s9
	s_sub_i32 s28, s30, s9
	s_add_u32 s26, s14, s26
	s_addc_u32 s27, s15, s27
	s_load_dwordx2 s[30:31], s[26:27], 0x0
	ds_write2_b32 v0, v1, v2 offset0:4 offset1:5
	;; [unrolled: 12-line block ×3, first 2 shown]
	v_mov_b32_e32 v1, s28
	s_add_i32 s28, s18, 12
	s_ashr_i32 s29, s28, 31
	v_mov_b32_e32 v2, s19
	s_lshl_b64 s[26:27], s[28:29], 2
	s_waitcnt lgkmcnt(0)
	s_sub_i32 s19, s31, s9
	s_sub_i32 s28, s30, s9
	s_add_u32 s26, s14, s26
	s_addc_u32 s27, s15, s27
	ds_write2_b32 v0, v1, v2 offset0:8 offset1:9
	v_mov_b32_e32 v1, s28
	s_load_dwordx2 s[28:29], s[26:27], 0x0
	s_add_i32 s18, s18, 14
	v_mov_b32_e32 v2, s19
	s_ashr_i32 s19, s18, 31
	s_lshl_b64 s[18:19], s[18:19], 2
	s_waitcnt lgkmcnt(0)
	s_sub_i32 s26, s29, s9
	s_sub_i32 s27, s28, s9
	s_add_u32 s18, s14, s18
	s_addc_u32 s19, s15, s19
	ds_write2_b32 v0, v1, v2 offset0:10 offset1:11
	v_mov_b32_e32 v1, s27
	v_mov_b32_e32 v2, s26
	s_load_dwordx2 s[26:27], s[18:19], 0x0
	s_add_i32 s20, s20, 16
	s_add_i32 s25, s25, 64
	s_add_i32 s24, s24, -8
	ds_write2_b32 v0, v1, v2 offset0:12 offset1:13
	s_waitcnt lgkmcnt(0)
	s_sub_i32 s18, s27, s9
	s_sub_i32 s19, s26, s9
	v_mov_b32_e32 v1, s19
	v_mov_b32_e32 v2, s18
	s_cmp_lg_u32 s24, 0
	ds_write2_b32 v0, v1, v2 offset0:14 offset1:15
	s_cbranch_scc1 .LBB21_5
.LBB21_6:
	s_and_b32 s21, s21, 7
	s_cmp_eq_u32 s21, 0
	s_cbranch_scc1 .LBB21_9
; %bb.7:
	s_lshl_b32 s18, s20, 2
	s_add_i32 s24, s18, 0x100
	s_add_i32 s18, s20, s22
	s_sub_i32 s18, s18, s9
.LBB21_8:                               ; =>This Inner Loop Header: Depth=1
	s_ashr_i32 s19, s18, 31
	s_lshl_b64 s[26:27], s[18:19], 2
	s_add_u32 s26, s14, s26
	s_addc_u32 s27, s15, s27
	s_load_dwordx2 s[28:29], s[26:27], 0x0
	v_mov_b32_e32 v0, s24
	s_add_i32 s24, s24, 8
	s_add_i32 s18, s18, 2
	s_add_i32 s21, s21, -1
	s_waitcnt lgkmcnt(0)
	s_sub_i32 s19, s29, s9
	s_sub_i32 s20, s28, s9
	v_mov_b32_e32 v1, s20
	v_mov_b32_e32 v2, s19
	s_cmp_lg_u32 s21, 0
	ds_write2_b32 v0, v1, v2 offset1:1
	s_cbranch_scc1 .LBB21_8
.LBB21_9:
	s_and_b32 s19, s23, -2
	s_add_i32 s18, s17, s19
	s_cmp_lg_u32 s23, s19
	s_cselect_b64 s[20:21], -1, 0
.LBB21_10:
	s_and_b64 vcc, exec, s[20:21]
	s_cbranch_vccz .LBB21_13
; %bb.11:
	s_add_i32 s19, s18, s9
	s_sub_i32 s19, s19, s22
	s_lshl_b32 s19, s19, 2
	s_add_i32 s21, s19, 0x100
	s_ashr_i32 s19, s18, 31
	s_add_i32 s20, s18, -1
	s_lshl_b64 s[18:19], s[18:19], 2
	s_add_u32 s18, s14, s18
	s_addc_u32 s19, s15, s19
.LBB21_12:                              ; =>This Inner Loop Header: Depth=1
	s_load_dword s22, s[18:19], 0x0
	v_mov_b32_e32 v0, s21
	s_add_i32 s20, s20, 1
	s_add_i32 s21, s21, 4
	s_waitcnt lgkmcnt(0)
	s_sub_i32 s22, s22, s9
	s_add_u32 s18, s18, 4
	s_addc_u32 s19, s19, 0
	v_mov_b32_e32 v1, s22
	s_cmp_ge_i32 s20, s16
	ds_write_b32 v0, v1
	s_cbranch_scc0 .LBB21_12
.LBB21_13:
	s_load_dwordx2 s[0:1], s[0:1], 0x20
	v_mov_b32_e32 v0, 0
	s_mov_b32 s33, 0
	v_mov_b32_e32 v1, v0
	s_cmp_lt_i32 s17, s16
	ds_write_b64 v0, v[0:1] offset:432
	s_waitcnt lgkmcnt(0)
	s_cbranch_scc1 .LBB21_16
; %bb.14:
	s_cbranch_execz .LBB21_17
	s_branch .LBB21_48
.LBB21_15:
	s_mov_b64 s[0:1], 0
	s_cbranch_execnz .LBB21_60
	s_branch .LBB21_61
.LBB21_16:
                                        ; implicit-def: $sgpr33
.LBB21_17:
	s_mov_b32 s33, 0
	v_mov_b32_e32 v4, 0
	v_mov_b32_e32 v5, 0x1a0
	;; [unrolled: 1-line block ×6, first 2 shown]
	s_mov_b32 s18, s17
	s_branch .LBB21_19
.LBB21_18:                              ;   in Loop: Header=BB21_19 Depth=1
                                        ; implicit-def: $sgpr18
	s_cbranch_execnz .LBB21_48
.LBB21_19:                              ; =>This Loop Header: Depth=1
                                        ;     Child Loop BB21_22 Depth 2
                                        ;     Child Loop BB21_33 Depth 2
	;; [unrolled: 1-line block ×4, first 2 shown]
	s_ashr_i32 s19, s18, 31
	s_lshl_b64 s[20:21], s[18:19], 2
	s_add_u32 s20, s14, s20
	s_addc_u32 s21, s15, s21
	s_load_dword s34, s[20:21], 0x0
	s_waitcnt lgkmcnt(0)
	s_sub_i32 s26, s34, s9
	s_ashr_i32 s27, s26, 31
	s_lshl_b64 s[24:25], s[26:27], 2
	s_add_u32 s20, s4, s24
	s_addc_u32 s21, s5, s25
	s_load_dword s22, s[20:21], 0x0
	s_waitcnt lgkmcnt(0)
	s_cmp_eq_u32 s22, -1
	s_cbranch_scc1 .LBB21_18
; %bb.20:                               ;   in Loop: Header=BB21_19 Depth=1
	s_add_u32 s20, s12, s24
	s_addc_u32 s21, s13, s25
	s_load_dword s23, s[20:21], 0x0
	s_lshl_b64 s[20:21], s[18:19], 3
	s_mov_b32 s19, 0
	ds_read_b32 v2, v4 offset:256
	s_waitcnt lgkmcnt(0)
	s_sub_i32 s28, s23, s9
	s_add_u32 s20, s0, s20
	s_addc_u32 s21, s1, s21
	global_load_dwordx2 v[0:1], v4, s[20:21]
	s_cmp_le_i32 s28, s22
	s_cselect_b64 s[30:31], -1, 0
	v_cmp_ge_i32_e32 vcc, s26, v2
	s_and_b64 s[30:31], s[30:31], vcc
	s_andn2_b64 vcc, exec, s[30:31]
	s_waitcnt vmcnt(0)
	ds_write_b64 v5, v[0:1]
	s_cbranch_vccnz .LBB21_32
; %bb.21:                               ;   in Loop: Header=BB21_19 Depth=1
	s_mov_b32 s23, 0
	s_mov_b32 s27, 0
.LBB21_22:                              ;   Parent Loop BB21_19 Depth=1
                                        ; =>  This Inner Loop Header: Depth=2
	s_ashr_i32 s29, s28, 31
	s_lshl_b64 s[30:31], s[28:29], 2
	s_add_u32 s30, s14, s30
	s_addc_u32 s31, s15, s31
	s_lshl_b32 s29, s27, 2
	s_load_dword s19, s[30:31], 0x0
	v_mov_b32_e32 v0, s29
	ds_read_b32 v0, v0 offset:256
	s_mov_b64 s[30:31], -1
                                        ; implicit-def: $sgpr36
                                        ; implicit-def: $sgpr35
	s_waitcnt lgkmcnt(0)
	s_sub_i32 s37, s19, s9
                                        ; implicit-def: $sgpr19
	v_cmp_ge_i32_e32 vcc, s37, v0
	v_readfirstlane_b32 s29, v0
	s_cbranch_vccz .LBB21_28
; %bb.23:                               ;   in Loop: Header=BB21_22 Depth=2
	s_cmp_le_i32 s37, s29
                                        ; implicit-def: $sgpr19
                                        ; implicit-def: $sgpr36
                                        ; implicit-def: $sgpr35
	s_cbranch_scc0 .LBB21_25
; %bb.24:                               ;   in Loop: Header=BB21_22 Depth=2
	s_add_i32 s19, s27, s17
	s_lshl_b32 s30, s23, 2
	v_mov_b32_e32 v0, s30
	v_mov_b32_e32 v1, s19
	v_mov_b32_e32 v2, s28
	ds_write2_b32 v0, v2, v1 offset1:32
	s_add_i32 s35, s27, 1
	s_add_i32 s36, s28, 1
	;; [unrolled: 1-line block ×3, first 2 shown]
	s_mov_b64 s[30:31], 0
.LBB21_25:                              ;   in Loop: Header=BB21_22 Depth=2
	s_andn2_b64 vcc, exec, s[30:31]
	s_cbranch_vccnz .LBB21_27
; %bb.26:                               ;   in Loop: Header=BB21_22 Depth=2
	s_add_i32 s35, s27, 1
	s_mov_b32 s19, s23
	s_mov_b32 s36, s28
.LBB21_27:                              ;   in Loop: Header=BB21_22 Depth=2
	s_mov_b64 s[30:31], 0
.LBB21_28:                              ;   in Loop: Header=BB21_22 Depth=2
	s_andn2_b64 vcc, exec, s[30:31]
	s_cbranch_vccnz .LBB21_30
; %bb.29:                               ;   in Loop: Header=BB21_22 Depth=2
	s_add_i32 s36, s28, 1
	s_mov_b32 s35, s27
	s_mov_b32 s19, s23
.LBB21_30:                              ;   in Loop: Header=BB21_22 Depth=2
	s_cmp_le_i32 s36, s22
	s_cselect_b64 s[30:31], -1, 0
	s_cmp_le_i32 s29, s26
	s_cselect_b64 s[28:29], -1, 0
	s_and_b64 s[28:29], s[30:31], s[28:29]
	s_and_b64 vcc, exec, s[28:29]
	s_cbranch_vccz .LBB21_32
; %bb.31:                               ;   in Loop: Header=BB21_22 Depth=2
	s_mov_b32 s23, s19
	s_mov_b32 s28, s36
	;; [unrolled: 1-line block ×3, first 2 shown]
	s_branch .LBB21_22
.LBB21_32:                              ;   in Loop: Header=BB21_19 Depth=1
	s_add_u32 s24, s6, s24
	s_addc_u32 s25, s7, s25
	s_waitcnt lgkmcnt(0)
.LBB21_33:                              ;   Parent Loop BB21_19 Depth=1
                                        ; =>  This Inner Loop Header: Depth=2
	global_load_dword v0, v4, s[24:25] sc1
	s_waitcnt vmcnt(0)
	v_cmp_eq_u32_e32 vcc, 0, v0
	s_cbranch_vccnz .LBB21_33
; %bb.34:                               ;   in Loop: Header=BB21_19 Depth=1
	s_ashr_i32 s23, s22, 31
	s_lshl_b64 s[22:23], s[22:23], 3
	s_add_u32 s22, s0, s22
	s_addc_u32 s23, s1, s23
	buffer_inv sc1
	global_load_dwordx2 v[0:1], v4, s[22:23]
	s_cmp_lt_i32 s19, 2
	s_waitcnt vmcnt(0)
	ds_write_b64 v7, v[0:1]
	v_mov_b64_e32 v[0:1], 0
	s_waitcnt lgkmcnt(0)
	s_cbranch_scc1 .LBB21_42
; %bb.35:                               ;   in Loop: Header=BB21_19 Depth=1
	s_add_i32 s23, s19, -2
	s_add_i32 s22, s19, -1
	s_cmp_lt_u32 s23, 7
	s_cbranch_scc1 .LBB21_39
; %bb.36:                               ;   in Loop: Header=BB21_19 Depth=1
	s_and_b32 s19, s22, -8
	s_mov_b32 s23, 0
	v_mov_b64_e32 v[0:1], 0
	s_mov_b32 s24, 0
.LBB21_37:                              ;   Parent Loop BB21_19 Depth=1
                                        ; =>  This Inner Loop Header: Depth=2
	v_mov_b32_e32 v2, s23
	ds_read_b128 v[10:13], v2
	ds_read_b128 v[14:17], v2 offset:128
	ds_read_b128 v[18:21], v2 offset:16
	;; [unrolled: 1-line block ×3, first 2 shown]
	s_add_i32 s24, s24, 8
	s_waitcnt lgkmcnt(3)
	v_ashrrev_i32_e32 v3, 31, v10
	v_mov_b32_e32 v2, v10
	s_waitcnt lgkmcnt(2)
	v_ashrrev_i32_e32 v27, 31, v14
	v_mov_b32_e32 v26, v14
	v_ashrrev_i32_e32 v29, 31, v11
	v_mov_b32_e32 v28, v11
	;; [unrolled: 2-line block ×7, first 2 shown]
	s_waitcnt lgkmcnt(1)
	v_ashrrev_i32_e32 v17, 31, v18
	v_mov_b32_e32 v16, v18
	s_waitcnt lgkmcnt(0)
	v_ashrrev_i32_e32 v35, 31, v22
	v_mov_b32_e32 v34, v22
	v_ashrrev_i32_e32 v37, 31, v19
	v_mov_b32_e32 v36, v19
	;; [unrolled: 2-line block ×7, first 2 shown]
	v_lshlrev_b64 v[2:3], 3, v[2:3]
	v_lshlrev_b64 v[24:25], 3, v[26:27]
	;; [unrolled: 1-line block ×16, first 2 shown]
	v_lshl_add_u64 v[2:3], s[0:1], 0, v[2:3]
	v_lshl_add_u64 v[24:25], s[0:1], 0, v[24:25]
	;; [unrolled: 1-line block ×16, first 2 shown]
	global_load_dwordx2 v[40:41], v[2:3], off
	global_load_dwordx2 v[42:43], v[26:27], off
	;; [unrolled: 1-line block ×15, first 2 shown]
                                        ; kill: killed $vgpr30_vgpr31
                                        ; kill: killed $vgpr22_vgpr23
                                        ; kill: killed $vgpr10_vgpr11
                                        ; kill: killed $vgpr32_vgpr33
                                        ; kill: killed $vgpr2_vgpr3
                                        ; kill: killed $vgpr12_vgpr13
                                        ; kill: killed $vgpr36_vgpr37
                                        ; kill: killed $vgpr14_vgpr15
                                        ; kill: killed $vgpr34_vgpr35
                                        ; kill: killed $vgpr24_vgpr25
                                        ; kill: killed $vgpr38_vgpr39
                                        ; kill: killed $vgpr28_vgpr29
                                        ; kill: killed $vgpr18_vgpr19
                                        ; kill: killed $vgpr26_vgpr27
                                        ; kill: killed $vgpr16_vgpr17
	global_load_dwordx2 v[2:3], v[20:21], off
	s_add_i32 s23, s23, 32
	s_cmp_eq_u32 s19, s24
	s_waitcnt vmcnt(11)
	v_fmac_f64_e32 v[0:1], v[40:41], v[48:49]
	s_waitcnt vmcnt(10)
	v_fmac_f64_e32 v[0:1], v[42:43], v[50:51]
	;; [unrolled: 2-line block ×8, first 2 shown]
	s_cbranch_scc0 .LBB21_37
; %bb.38:                               ;   in Loop: Header=BB21_19 Depth=1
	s_and_b32 s22, s22, 7
	s_cmp_eq_u32 s22, 0
	s_cbranch_scc0 .LBB21_40
	s_branch .LBB21_42
.LBB21_39:                              ;   in Loop: Header=BB21_19 Depth=1
	s_mov_b32 s19, 0
	v_mov_b64_e32 v[0:1], 0
	s_and_b32 s22, s22, 7
	s_cmp_eq_u32 s22, 0
	s_cbranch_scc1 .LBB21_42
.LBB21_40:                              ;   in Loop: Header=BB21_19 Depth=1
	s_lshl_b32 s19, s19, 2
.LBB21_41:                              ;   Parent Loop BB21_19 Depth=1
                                        ; =>  This Inner Loop Header: Depth=2
	v_mov_b32_e32 v2, s19
	ds_read2_b32 v[2:3], v2 offset1:32
	s_add_i32 s19, s19, 4
	s_add_i32 s22, s22, -1
	s_cmp_lg_u32 s22, 0
	s_waitcnt lgkmcnt(0)
	v_ashrrev_i32_e32 v11, 31, v2
	v_mov_b32_e32 v10, v2
	v_ashrrev_i32_e32 v13, 31, v3
	v_mov_b32_e32 v12, v3
	v_lshlrev_b64 v[2:3], 3, v[10:11]
	v_lshlrev_b64 v[10:11], 3, v[12:13]
	v_lshl_add_u64 v[2:3], s[0:1], 0, v[2:3]
	v_lshl_add_u64 v[10:11], s[0:1], 0, v[10:11]
	global_load_dwordx2 v[12:13], v[2:3], off
	global_load_dwordx2 v[14:15], v[10:11], off
	s_waitcnt vmcnt(0)
	v_fmac_f64_e32 v[0:1], v[12:13], v[14:15]
	s_cbranch_scc1 .LBB21_41
.LBB21_42:                              ;   in Loop: Header=BB21_19 Depth=1
	ds_write_b64 v6, v[0:1]
	s_waitcnt lgkmcnt(0)
	ds_read_b64 v[2:3], v4 offset:384
	ds_read_b64 v[0:1], v5
	s_waitcnt lgkmcnt(1)
	v_cmp_eq_f64_e32 vcc, 0, v[2:3]
	s_cbranch_vccz .LBB21_46
; %bb.43:                               ;   in Loop: Header=BB21_19 Depth=1
	v_mbcnt_lo_u32_b32 v2, exec_lo, 0
	v_mbcnt_hi_u32_b32 v2, exec_hi, v2
	v_cmp_ne_u32_e32 vcc, 0, v2
	s_and_b64 s[22:23], vcc, exec
	s_cbranch_scc1 .LBB21_45
; %bb.44:                               ;   in Loop: Header=BB21_19 Depth=1
	v_mov_b32_e32 v2, s34
	global_atomic_smin v4, v2, s[10:11]
.LBB21_45:                              ;   in Loop: Header=BB21_19 Depth=1
	v_mov_b64_e32 v[2:3], 1.0
	s_branch .LBB21_47
.LBB21_46:                              ;   in Loop: Header=BB21_19 Depth=1
	v_cmp_neq_f64_e32 vcc, 0, v[2:3]
	s_nop 1
	v_cndmask_b32_e32 v3, v9, v3, vcc
	v_cndmask_b32_e32 v2, 0, v2, vcc
.LBB21_47:                              ;   in Loop: Header=BB21_19 Depth=1
	ds_read_b64 v[10:11], v6
	s_add_i32 s18, s18, 1
	s_cmp_ge_i32 s18, s16
	s_waitcnt lgkmcnt(0)
	v_add_f64 v[0:1], v[0:1], -v[10:11]
	v_div_scale_f64 v[10:11], s[22:23], v[2:3], v[2:3], v[0:1]
	v_rcp_f64_e32 v[12:13], v[10:11]
	v_div_scale_f64 v[14:15], vcc, v[0:1], v[2:3], v[0:1]
	v_fma_f64 v[16:17], -v[10:11], v[12:13], 1.0
	v_fmac_f64_e32 v[12:13], v[12:13], v[16:17]
	v_fma_f64 v[16:17], -v[10:11], v[12:13], 1.0
	v_fmac_f64_e32 v[12:13], v[12:13], v[16:17]
	v_mul_f64 v[16:17], v[14:15], v[12:13]
	v_fma_f64 v[10:11], -v[10:11], v[16:17], v[14:15]
	v_div_fmas_f64 v[10:11], v[10:11], v[12:13], v[16:17]
	v_div_fixup_f64 v[0:1], v[10:11], v[2:3], v[0:1]
	ds_write_b64 v5, v[0:1]
	s_waitcnt lgkmcnt(0)
	ds_read_b64 v[2:3], v5
	ds_read_b64 v[10:11], v8
	s_waitcnt lgkmcnt(0)
	v_fmac_f64_e32 v[10:11], v[0:1], v[2:3]
	ds_write_b64 v8, v[10:11]
	s_waitcnt lgkmcnt(0)
	ds_read_b64 v[0:1], v5
	s_waitcnt lgkmcnt(0)
	global_store_dwordx2 v4, v[0:1], s[20:21]
	buffer_wbl2 sc1
	s_waitcnt vmcnt(0)
	buffer_inv sc1
	s_cselect_b64 s[20:21], -1, 0
	s_and_b64 vcc, exec, s[20:21]
	s_cbranch_vccz .LBB21_19
.LBB21_48:
	s_ashr_i32 s17, s16, 31
	s_lshl_b64 s[4:5], s[16:17], 3
	s_add_u32 s4, s0, s4
	s_addc_u32 s5, s1, s5
	v_mov_b32_e32 v0, 0
	global_load_dwordx2 v[2:3], v0, s[4:5]
	s_cmp_lg_u32 s33, 0
	s_cselect_b64 s[12:13], -1, 0
	s_add_i32 s14, s8, s9
	s_waitcnt vmcnt(0)
	ds_write_b64 v0, v[2:3] offset:416
	s_waitcnt lgkmcnt(0)
	s_branch .LBB21_53
; %bb.49:
	ds_read_b64 v[0:1], v0 offset:416
	s_waitcnt lgkmcnt(0)
	v_cmp_neq_f64_e64 s[0:1], 0, v[0:1]
	s_or_b64 s[16:17], s[0:1], s[12:13]
	s_and_b64 vcc, exec, s[16:17]
	s_cbranch_vccnz .LBB21_54
; %bb.50:
	v_mbcnt_lo_u32_b32 v0, exec_lo, 0
	v_mbcnt_hi_u32_b32 v0, exec_hi, v0
	v_cmp_ne_u32_e32 vcc, 0, v0
	s_and_b64 s[0:1], vcc, exec
	s_cbranch_scc1 .LBB21_52
; %bb.51:
	v_mov_b32_e32 v0, 0
	v_mov_b32_e32 v1, s14
	global_atomic_smin v0, v1, s[10:11]
.LBB21_52:
	v_mov_b64_e32 v[0:1], 1.0
	s_branch .LBB21_55
.LBB21_53:
	s_cbranch_execnz .LBB21_56
	s_branch .LBB21_59
.LBB21_54:
	v_mov_b32_e32 v2, 0x3ff00000
	v_cndmask_b32_e64 v1, v2, v1, s[0:1]
	v_cndmask_b32_e64 v0, 0, v0, s[0:1]
.LBB21_55:
	v_mov_b32_e32 v12, 0x1a0
	v_mov_b32_e32 v13, 0x1b0
	ds_read_b64 v[2:3], v12
	ds_read_b64 v[4:5], v13
	s_waitcnt lgkmcnt(0)
	v_add_f64 v[2:3], v[2:3], -v[4:5]
	v_div_scale_f64 v[4:5], s[0:1], v[0:1], v[0:1], v[2:3]
	v_rcp_f64_e32 v[6:7], v[4:5]
	v_div_scale_f64 v[8:9], vcc, v[2:3], v[0:1], v[2:3]
	v_fma_f64 v[10:11], -v[4:5], v[6:7], 1.0
	v_fmac_f64_e32 v[6:7], v[6:7], v[10:11]
	v_fma_f64 v[10:11], -v[4:5], v[6:7], 1.0
	v_fmac_f64_e32 v[6:7], v[6:7], v[10:11]
	v_mul_f64 v[10:11], v[8:9], v[6:7]
	v_fma_f64 v[4:5], -v[4:5], v[10:11], v[8:9]
	v_div_fmas_f64 v[4:5], v[4:5], v[6:7], v[10:11]
	v_div_fixup_f64 v[0:1], v[4:5], v[0:1], v[2:3]
	v_mov_b32_e32 v2, 0
	ds_write_b64 v12, v[0:1]
	s_waitcnt lgkmcnt(0)
	ds_read_b64 v[2:3], v2 offset:416
	ds_read_b64 v[4:5], v13
	s_waitcnt lgkmcnt(0)
	v_fmac_f64_e32 v[4:5], v[0:1], v[2:3]
	ds_write_b64 v13, v[4:5]
	s_branch .LBB21_59
.LBB21_56:
	v_mov_b32_e32 v8, 0
	ds_read2_b64 v[0:3], v8 offset0:52 offset1:54
	s_mov_b32 s0, 0
	s_brev_b32 s1, 8
	v_mov_b32_e32 v9, 0x260
	s_waitcnt lgkmcnt(0)
	v_add_f64 v[0:1], v[0:1], -v[2:3]
	v_xor_b32_e32 v2, 0x80000000, v1
	v_cmp_gt_f64_e32 vcc, 0, v[0:1]
	s_nop 1
	v_cndmask_b32_e32 v1, v1, v2, vcc
	v_cmp_gt_f64_e32 vcc, s[0:1], v[0:1]
	s_and_b64 s[0:1], vcc, exec
	s_cselect_b32 s0, 0x100, 0
	v_ldexp_f64 v[0:1], v[0:1], s0
	v_rsq_f64_e32 v[2:3], v[0:1]
	s_cselect_b32 s0, 0xffffff80, 0
	v_cmp_class_f64_e32 vcc, v[0:1], v9
	v_mul_f64 v[4:5], v[0:1], v[2:3]
	v_mul_f64 v[2:3], v[2:3], 0.5
	v_fma_f64 v[6:7], -v[2:3], v[4:5], 0.5
	v_fmac_f64_e32 v[4:5], v[4:5], v[6:7]
	v_fmac_f64_e32 v[2:3], v[2:3], v[6:7]
	v_fma_f64 v[6:7], -v[4:5], v[4:5], v[0:1]
	v_fmac_f64_e32 v[4:5], v[6:7], v[2:3]
	v_fma_f64 v[6:7], -v[4:5], v[4:5], v[0:1]
	v_fmac_f64_e32 v[4:5], v[6:7], v[2:3]
	v_ldexp_f64 v[2:3], v[4:5], s0
	v_cndmask_b32_e32 v1, v3, v1, vcc
	v_cndmask_b32_e32 v0, v2, v0, vcc
	ds_write_b64 v8, v[0:1] offset:416
	s_waitcnt lgkmcnt(0)
	ds_read_b64 v[0:1], v8 offset:416
	s_waitcnt lgkmcnt(0)
	v_cmp_neq_f64_e32 vcc, 0, v[0:1]
	s_or_b64 s[0:1], vcc, s[12:13]
	s_and_b64 vcc, exec, s[0:1]
	s_cbranch_vccnz .LBB21_59
; %bb.57:
	v_mbcnt_lo_u32_b32 v0, exec_lo, 0
	v_mbcnt_hi_u32_b32 v0, exec_hi, v0
	v_cmp_ne_u32_e32 vcc, 0, v0
	s_and_b64 s[0:1], vcc, exec
	s_cbranch_scc1 .LBB21_59
; %bb.58:
	v_mov_b32_e32 v0, 0
	v_mov_b32_e32 v1, s14
	global_atomic_smin v0, v1, s[10:11]
.LBB21_59:
	v_mov_b32_e32 v0, 0x1a0
	s_waitcnt lgkmcnt(0)
	ds_read_b64 v[0:1], v0
	v_mov_b32_e32 v2, 0
	s_cmp_eq_u32 s33, 0
	s_cselect_b64 s[0:1], -1, 0
	s_waitcnt lgkmcnt(0)
	global_store_dwordx2 v2, v[0:1], s[4:5]
	s_branch .LBB21_61
.LBB21_60:
	s_cbranch_execnz .LBB21_64
.LBB21_61:
	s_and_b64 vcc, exec, s[0:1]
	s_cbranch_vccz .LBB21_63
.LBB21_62:
	s_add_u32 s0, s6, s2
	s_addc_u32 s1, s7, s3
	v_mov_b32_e32 v0, 0
	v_mov_b32_e32 v1, 1
	buffer_wbl2 sc1
	s_waitcnt vmcnt(0)
	global_store_dword v0, v1, s[0:1] sc1
.LBB21_63:
	s_endpgm
.LBB21_64:
	v_mbcnt_lo_u32_b32 v0, exec_lo, 0
	v_mbcnt_hi_u32_b32 v0, exec_hi, v0
	v_cmp_ne_u32_e32 vcc, 0, v0
	s_and_b64 s[0:1], vcc, exec
	s_cbranch_scc0 .LBB21_66
; %bb.65:
	s_cbranch_execnz .LBB21_62
	s_branch .LBB21_63
.LBB21_66:
	s_add_i32 s0, s8, s9
	v_mov_b32_e32 v0, 0
	v_mov_b32_e32 v1, s0
	global_atomic_smin v0, v1, s[10:11]
	s_cbranch_execnz .LBB21_62
	s_branch .LBB21_63
	.section	.rodata,"a",@progbits
	.p2align	6, 0x0
	.amdhsa_kernel _ZN9rocsparseL26bsric0_2_8_unrolled_kernelILi1ELi32ELi1EdEEv20rocsparse_direction_iiPKiS3_PT2_S3_PiS3_S6_21rocsparse_index_base_
		.amdhsa_group_segment_fixed_size 448
		.amdhsa_private_segment_fixed_size 0
		.amdhsa_kernarg_size 76
		.amdhsa_user_sgpr_count 2
		.amdhsa_user_sgpr_dispatch_ptr 0
		.amdhsa_user_sgpr_queue_ptr 0
		.amdhsa_user_sgpr_kernarg_segment_ptr 1
		.amdhsa_user_sgpr_dispatch_id 0
		.amdhsa_user_sgpr_kernarg_preload_length 0
		.amdhsa_user_sgpr_kernarg_preload_offset 0
		.amdhsa_user_sgpr_private_segment_size 0
		.amdhsa_uses_dynamic_stack 0
		.amdhsa_enable_private_segment 0
		.amdhsa_system_sgpr_workgroup_id_x 1
		.amdhsa_system_sgpr_workgroup_id_y 0
		.amdhsa_system_sgpr_workgroup_id_z 0
		.amdhsa_system_sgpr_workgroup_info 0
		.amdhsa_system_vgpr_workitem_id 0
		.amdhsa_next_free_vgpr 70
		.amdhsa_next_free_sgpr 38
		.amdhsa_accum_offset 72
		.amdhsa_reserve_vcc 1
		.amdhsa_float_round_mode_32 0
		.amdhsa_float_round_mode_16_64 0
		.amdhsa_float_denorm_mode_32 3
		.amdhsa_float_denorm_mode_16_64 3
		.amdhsa_dx10_clamp 1
		.amdhsa_ieee_mode 1
		.amdhsa_fp16_overflow 0
		.amdhsa_tg_split 0
		.amdhsa_exception_fp_ieee_invalid_op 0
		.amdhsa_exception_fp_denorm_src 0
		.amdhsa_exception_fp_ieee_div_zero 0
		.amdhsa_exception_fp_ieee_overflow 0
		.amdhsa_exception_fp_ieee_underflow 0
		.amdhsa_exception_fp_ieee_inexact 0
		.amdhsa_exception_int_div_zero 0
	.end_amdhsa_kernel
	.section	.text._ZN9rocsparseL26bsric0_2_8_unrolled_kernelILi1ELi32ELi1EdEEv20rocsparse_direction_iiPKiS3_PT2_S3_PiS3_S6_21rocsparse_index_base_,"axG",@progbits,_ZN9rocsparseL26bsric0_2_8_unrolled_kernelILi1ELi32ELi1EdEEv20rocsparse_direction_iiPKiS3_PT2_S3_PiS3_S6_21rocsparse_index_base_,comdat
.Lfunc_end21:
	.size	_ZN9rocsparseL26bsric0_2_8_unrolled_kernelILi1ELi32ELi1EdEEv20rocsparse_direction_iiPKiS3_PT2_S3_PiS3_S6_21rocsparse_index_base_, .Lfunc_end21-_ZN9rocsparseL26bsric0_2_8_unrolled_kernelILi1ELi32ELi1EdEEv20rocsparse_direction_iiPKiS3_PT2_S3_PiS3_S6_21rocsparse_index_base_
                                        ; -- End function
	.set _ZN9rocsparseL26bsric0_2_8_unrolled_kernelILi1ELi32ELi1EdEEv20rocsparse_direction_iiPKiS3_PT2_S3_PiS3_S6_21rocsparse_index_base_.num_vgpr, 70
	.set _ZN9rocsparseL26bsric0_2_8_unrolled_kernelILi1ELi32ELi1EdEEv20rocsparse_direction_iiPKiS3_PT2_S3_PiS3_S6_21rocsparse_index_base_.num_agpr, 0
	.set _ZN9rocsparseL26bsric0_2_8_unrolled_kernelILi1ELi32ELi1EdEEv20rocsparse_direction_iiPKiS3_PT2_S3_PiS3_S6_21rocsparse_index_base_.numbered_sgpr, 38
	.set _ZN9rocsparseL26bsric0_2_8_unrolled_kernelILi1ELi32ELi1EdEEv20rocsparse_direction_iiPKiS3_PT2_S3_PiS3_S6_21rocsparse_index_base_.num_named_barrier, 0
	.set _ZN9rocsparseL26bsric0_2_8_unrolled_kernelILi1ELi32ELi1EdEEv20rocsparse_direction_iiPKiS3_PT2_S3_PiS3_S6_21rocsparse_index_base_.private_seg_size, 0
	.set _ZN9rocsparseL26bsric0_2_8_unrolled_kernelILi1ELi32ELi1EdEEv20rocsparse_direction_iiPKiS3_PT2_S3_PiS3_S6_21rocsparse_index_base_.uses_vcc, 1
	.set _ZN9rocsparseL26bsric0_2_8_unrolled_kernelILi1ELi32ELi1EdEEv20rocsparse_direction_iiPKiS3_PT2_S3_PiS3_S6_21rocsparse_index_base_.uses_flat_scratch, 0
	.set _ZN9rocsparseL26bsric0_2_8_unrolled_kernelILi1ELi32ELi1EdEEv20rocsparse_direction_iiPKiS3_PT2_S3_PiS3_S6_21rocsparse_index_base_.has_dyn_sized_stack, 0
	.set _ZN9rocsparseL26bsric0_2_8_unrolled_kernelILi1ELi32ELi1EdEEv20rocsparse_direction_iiPKiS3_PT2_S3_PiS3_S6_21rocsparse_index_base_.has_recursion, 0
	.set _ZN9rocsparseL26bsric0_2_8_unrolled_kernelILi1ELi32ELi1EdEEv20rocsparse_direction_iiPKiS3_PT2_S3_PiS3_S6_21rocsparse_index_base_.has_indirect_call, 0
	.section	.AMDGPU.csdata,"",@progbits
; Kernel info:
; codeLenInByte = 3368
; TotalNumSgprs: 44
; NumVgprs: 70
; NumAgprs: 0
; TotalNumVgprs: 70
; ScratchSize: 0
; MemoryBound: 0
; FloatMode: 240
; IeeeMode: 1
; LDSByteSize: 448 bytes/workgroup (compile time only)
; SGPRBlocks: 5
; VGPRBlocks: 8
; NumSGPRsForWavesPerEU: 44
; NumVGPRsForWavesPerEU: 70
; AccumOffset: 72
; Occupancy: 7
; WaveLimiterHint : 1
; COMPUTE_PGM_RSRC2:SCRATCH_EN: 0
; COMPUTE_PGM_RSRC2:USER_SGPR: 2
; COMPUTE_PGM_RSRC2:TRAP_HANDLER: 0
; COMPUTE_PGM_RSRC2:TGID_X_EN: 1
; COMPUTE_PGM_RSRC2:TGID_Y_EN: 0
; COMPUTE_PGM_RSRC2:TGID_Z_EN: 0
; COMPUTE_PGM_RSRC2:TIDIG_COMP_CNT: 0
; COMPUTE_PGM_RSRC3_GFX90A:ACCUM_OFFSET: 17
; COMPUTE_PGM_RSRC3_GFX90A:TG_SPLIT: 0
	.section	.text._ZN9rocsparseL26bsric0_2_8_unrolled_kernelILi4ELi32ELi2EdEEv20rocsparse_direction_iiPKiS3_PT2_S3_PiS3_S6_21rocsparse_index_base_,"axG",@progbits,_ZN9rocsparseL26bsric0_2_8_unrolled_kernelILi4ELi32ELi2EdEEv20rocsparse_direction_iiPKiS3_PT2_S3_PiS3_S6_21rocsparse_index_base_,comdat
	.globl	_ZN9rocsparseL26bsric0_2_8_unrolled_kernelILi4ELi32ELi2EdEEv20rocsparse_direction_iiPKiS3_PT2_S3_PiS3_S6_21rocsparse_index_base_ ; -- Begin function _ZN9rocsparseL26bsric0_2_8_unrolled_kernelILi4ELi32ELi2EdEEv20rocsparse_direction_iiPKiS3_PT2_S3_PiS3_S6_21rocsparse_index_base_
	.p2align	8
	.type	_ZN9rocsparseL26bsric0_2_8_unrolled_kernelILi4ELi32ELi2EdEEv20rocsparse_direction_iiPKiS3_PT2_S3_PiS3_S6_21rocsparse_index_base_,@function
_ZN9rocsparseL26bsric0_2_8_unrolled_kernelILi4ELi32ELi2EdEEv20rocsparse_direction_iiPKiS3_PT2_S3_PiS3_S6_21rocsparse_index_base_: ; @_ZN9rocsparseL26bsric0_2_8_unrolled_kernelILi4ELi32ELi2EdEEv20rocsparse_direction_iiPKiS3_PT2_S3_PiS3_S6_21rocsparse_index_base_
; %bb.0:
	s_load_dwordx8 s[4:11], s[0:1], 0x28
	s_mov_b32 s3, 0
	s_lshl_b64 s[2:3], s[2:3], 2
	v_and_b32_e32 v8, 0x3ff, v0
	v_bfe_u32 v9, v0, 10, 10
	s_waitcnt lgkmcnt(0)
	s_add_u32 s2, s8, s2
	s_addc_u32 s3, s9, s3
	s_load_dword s16, s[2:3], 0x0
	s_waitcnt lgkmcnt(0)
	s_ashr_i32 s17, s16, 31
	s_lshl_b64 s[8:9], s[16:17], 2
	s_add_u32 s2, s4, s8
	s_addc_u32 s3, s5, s9
	s_load_dword s33, s[2:3], 0x0
	s_load_dword s17, s[0:1], 0x48
	s_waitcnt lgkmcnt(0)
	s_cmp_lg_u32 s33, -1
	s_cbranch_scc0 .LBB22_16
; %bb.1:
	s_load_dwordx4 s[12:15], s[0:1], 0x10
	v_lshlrev_b32_e32 v11, 1, v9
	v_add_u32_e32 v10, v11, v8
	s_waitcnt lgkmcnt(0)
	s_add_u32 s2, s12, s8
	s_addc_u32 s3, s13, s9
	s_load_dword s24, s[2:3], 0x0
	s_waitcnt lgkmcnt(0)
	s_sub_i32 s34, s24, s17
	v_add_u32_e32 v0, s34, v10
	v_cmp_ge_i32_e32 vcc, s33, v0
	s_and_saveexec_b64 s[2:3], vcc
	s_cbranch_execz .LBB22_14
; %bb.2:
	v_add_u32_e32 v1, s24, v10
	v_subrev_u32_e32 v1, s17, v1
	v_add_u32_e32 v1, 4, v1
	s_add_i32 s18, s33, 1
	v_max_i32_e32 v1, s18, v1
	v_not_b32_e32 v2, v8
	v_add3_u32 v1, s17, v1, v2
	v_add_u32_e32 v2, s24, v11
	v_sub_u32_e32 v1, v1, v2
	v_cmp_lt_u32_e32 vcc, 3, v1
	s_mov_b64 s[20:21], -1
	s_and_saveexec_b64 s[18:19], vcc
	s_cbranch_execz .LBB22_11
; %bb.3:
	v_lshrrev_b32_e32 v4, 2, v1
	v_add_u32_e32 v2, -1, v4
	v_add_u32_e32 v1, 4, v0
	v_lshrrev_b32_e32 v3, 1, v2
	v_add_u32_e32 v5, 1, v3
	v_cmp_lt_u32_e32 vcc, 13, v2
	v_mov_b64_e32 v[2:3], v[0:1]
	s_and_saveexec_b64 s[20:21], vcc
	s_cbranch_execz .LBB22_7
; %bb.4:
	v_and_b32_e32 v6, -8, v5
	s_mov_b64 s[22:23], 0
	v_mov_b64_e32 v[2:3], v[0:1]
.LBB22_5:                               ; =>This Inner Loop Header: Depth=1
	v_ashrrev_i32_e32 v15, 31, v2
	v_mov_b32_e32 v14, v2
	v_ashrrev_i32_e32 v13, 31, v3
	v_mov_b32_e32 v12, v3
	v_add_u32_e32 v16, 8, v2
	v_add_u32_e32 v18, 8, v3
	v_lshl_add_u64 v[14:15], v[14:15], 2, s[14:15]
	v_add_u32_e32 v20, 16, v2
	v_add_u32_e32 v22, 16, v3
	v_add_u32_e32 v24, 24, v2
	v_add_u32_e32 v26, 24, v3
	v_add_u32_e32 v28, 32, v2
	v_add_u32_e32 v30, 32, v3
	v_add_u32_e32 v32, 40, v2
	v_add_u32_e32 v34, 40, v3
	v_add_u32_e32 v36, 48, v2
	v_add_u32_e32 v38, 48, v3
	v_add_u32_e32 v40, 56, v2
	v_add_u32_e32 v42, 56, v3
	v_lshl_add_u64 v[12:13], v[12:13], 2, s[14:15]
	v_ashrrev_i32_e32 v19, 31, v18
	v_ashrrev_i32_e32 v17, 31, v16
	global_load_dword v1, v[14:15], off
	global_load_dword v7, v[12:13], off
	v_ashrrev_i32_e32 v23, 31, v22
	v_ashrrev_i32_e32 v21, 31, v20
	;; [unrolled: 1-line block ×12, first 2 shown]
	v_lshl_add_u64 v[12:13], v[16:17], 2, s[14:15]
	v_lshl_add_u64 v[14:15], v[18:19], 2, s[14:15]
	;; [unrolled: 1-line block ×13, first 2 shown]
	global_load_dword v17, v[14:15], off
	v_lshl_add_u64 v[14:15], v[42:43], 2, s[14:15]
	global_load_dword v19, v[12:13], off
	global_load_dword v21, v[46:47], off
	;; [unrolled: 1-line block ×13, first 2 shown]
	v_subrev_u32_e32 v13, s34, v2
	v_add_u32_e32 v6, -8, v6
	v_subrev_u32_e32 v12, s34, v3
	v_lshlrev_b32_e32 v13, 2, v13
	v_subrev_u32_e32 v15, s34, v16
	v_cmp_eq_u32_e32 vcc, 0, v6
	v_add_u32_e32 v3, 64, v3
	v_add_u32_e32 v2, 64, v2
	v_lshlrev_b32_e32 v12, 2, v12
	v_subrev_u32_e32 v14, s34, v18
	v_subrev_u32_e32 v16, s34, v22
	;; [unrolled: 1-line block ×13, first 2 shown]
	v_lshlrev_b32_e32 v15, 2, v15
	s_or_b64 s[22:23], vcc, s[22:23]
	v_lshlrev_b32_e32 v14, 2, v14
	v_lshlrev_b32_e32 v18, 2, v18
	;; [unrolled: 1-line block ×13, first 2 shown]
	s_waitcnt vmcnt(15)
	v_subrev_u32_e32 v1, s17, v1
	s_waitcnt vmcnt(14)
	v_subrev_u32_e32 v7, s17, v7
	ds_write_b32 v13, v1 offset:256
	ds_write_b32 v12, v7 offset:256
	s_waitcnt vmcnt(12)
	v_subrev_u32_e32 v7, s17, v19
	s_waitcnt vmcnt(11)
	v_subrev_u32_e32 v12, s17, v21
	;; [unrolled: 2-line block ×8, first 2 shown]
	v_subrev_u32_e32 v1, s17, v17
	v_subrev_u32_e32 v17, s17, v25
	;; [unrolled: 1-line block ×3, first 2 shown]
	s_waitcnt vmcnt(2)
	v_subrev_u32_e32 v31, s17, v39
	s_waitcnt vmcnt(1)
	v_subrev_u32_e32 v33, s17, v41
	;; [unrolled: 2-line block ×3, first 2 shown]
	ds_write_b32 v15, v7 offset:256
	ds_write_b32 v14, v1 offset:256
	;; [unrolled: 1-line block ×14, first 2 shown]
	s_andn2_b64 exec, exec, s[22:23]
	s_cbranch_execnz .LBB22_5
; %bb.6:
	s_or_b64 exec, exec, s[22:23]
.LBB22_7:
	s_or_b64 exec, exec, s[20:21]
	v_and_b32_e32 v1, 7, v5
	v_cmp_ne_u32_e32 vcc, 0, v1
	s_and_saveexec_b64 s[20:21], vcc
	s_cbranch_execz .LBB22_10
; %bb.8:
	s_mov_b64 s[22:23], 0
.LBB22_9:                               ; =>This Inner Loop Header: Depth=1
	v_ashrrev_i32_e32 v7, 31, v3
	v_mov_b32_e32 v6, v3
	v_ashrrev_i32_e32 v13, 31, v2
	v_mov_b32_e32 v12, v2
	v_lshl_add_u64 v[6:7], v[6:7], 2, s[14:15]
	v_lshl_add_u64 v[12:13], v[12:13], 2, s[14:15]
	global_load_dword v5, v[6:7], off
	global_load_dword v14, v[12:13], off
	v_add_u32_e32 v1, -1, v1
	v_subrev_u32_e32 v7, s34, v2
	v_cmp_eq_u32_e32 vcc, 0, v1
	v_subrev_u32_e32 v6, s34, v3
	v_add_u32_e32 v3, 8, v3
	v_add_u32_e32 v2, 8, v2
	v_lshlrev_b32_e32 v7, 2, v7
	s_or_b64 s[22:23], vcc, s[22:23]
	v_lshlrev_b32_e32 v6, 2, v6
	s_waitcnt vmcnt(1)
	v_subrev_u32_e32 v5, s17, v5
	s_waitcnt vmcnt(0)
	v_subrev_u32_e32 v12, s17, v14
	ds_write_b32 v7, v12 offset:256
	ds_write_b32 v6, v5 offset:256
	s_andn2_b64 exec, exec, s[22:23]
	s_cbranch_execnz .LBB22_9
.LBB22_10:
	s_or_b64 exec, exec, s[20:21]
	v_add_u32_e32 v1, 1, v4
	v_and_b32_e32 v2, 0x7ffffffe, v1
	v_cmp_ne_u32_e32 vcc, v1, v2
	v_lshl_add_u32 v0, v2, 2, v0
	s_orn2_b64 s[20:21], vcc, exec
.LBB22_11:
	s_or_b64 exec, exec, s[18:19]
	s_and_b64 exec, exec, s[20:21]
	s_cbranch_execz .LBB22_14
; %bb.12:
	v_add_u32_e32 v1, s17, v0
	v_subrev_u32_e32 v1, s24, v1
	v_mov_b32_e32 v2, 0x100
	v_lshl_add_u32 v4, v1, 2, v2
	v_ashrrev_i32_e32 v1, 31, v0
	v_lshl_add_u64 v[2:3], v[0:1], 2, s[14:15]
	s_mov_b64 s[18:19], 0
.LBB22_13:                              ; =>This Inner Loop Header: Depth=1
	global_load_dword v1, v[2:3], off
	v_add_u32_e32 v0, 4, v0
	v_cmp_lt_i32_e32 vcc, s33, v0
	v_lshl_add_u64 v[2:3], v[2:3], 0, 16
	s_or_b64 s[18:19], vcc, s[18:19]
	s_waitcnt vmcnt(0)
	v_subrev_u32_e32 v1, s17, v1
	ds_write_b32 v4, v1
	v_add_u32_e32 v4, 16, v4
	s_andn2_b64 exec, exec, s[18:19]
	s_cbranch_execnz .LBB22_13
.LBB22_14:
	s_or_b64 exec, exec, s[2:3]
	s_load_dwordx2 s[18:19], s[0:1], 0x20
	v_mov_b32_e32 v0, 0x210
	v_mad_u32_u24 v13, v9, 24, v0
	v_mov_b32_e32 v0, 0
	v_lshl_add_u32 v12, v8, 3, v13
	v_mov_b32_e32 v1, v0
	s_cmp_lt_i32 s34, s33
	ds_write_b64 v12, v[0:1]
	s_waitcnt lgkmcnt(0)
	s_cbranch_scc1 .LBB22_18
; %bb.15:
	v_lshl_add_u32 v15, v8, 1, v9
	v_or_b32_e32 v14, v8, v9
	s_load_dword s35, s[0:1], 0x0
	s_cbranch_execz .LBB22_19
	s_branch .LBB22_64
.LBB22_16:
	s_cbranch_execnz .LBB22_83
.LBB22_17:
	s_endpgm
.LBB22_18:
                                        ; implicit-def: $vgpr15
                                        ; implicit-def: $vgpr14
	s_load_dword s35, s[0:1], 0x0
.LBB22_19:
	s_waitcnt lgkmcnt(0)
	s_cmp_lg_u32 s35, 0
	v_mul_u32_u24_e32 v1, 24, v9
	v_lshlrev_b32_e32 v2, 3, v8
	s_movk_i32 s0, 0x180
	s_cselect_b64 s[20:21], -1, 0
	s_cmp_eq_u32 s35, 0
	v_lshlrev_b32_e32 v16, 1, v8
	v_mov_b32_e32 v0, 0x1e0
	v_add3_u32 v19, v1, v2, s0
	v_mov_b32_e32 v1, 0x1b0
	v_add_u32_e32 v15, v16, v9
	v_mad_u32_u24 v17, v9, 24, v0
	v_mad_u32_u24 v22, v9, 24, v1
	;; [unrolled: 1-line block ×3, first 2 shown]
	v_or_b32_e32 v14, v8, v9
	s_cselect_b64 vcc, -1, 0
	v_cndmask_b32_e64 v0, 0, 1, s[20:21]
	v_add_u32_e32 v18, v17, v2
	v_add_u32_e32 v20, 2, v8
	;; [unrolled: 1-line block ×4, first 2 shown]
	v_cmp_ne_u32_e64 s[0:1], 0, v14
	v_cndmask_b32_e32 v25, v15, v10, vcc
	v_mov_b32_e32 v26, 0
	v_cmp_ne_u32_e64 s[2:3], 1, v0
	v_mov_b32_e32 v27, 0x3ff00000
	s_mov_b32 s22, s34
	s_branch .LBB22_22
.LBB22_20:                              ;   in Loop: Header=BB22_22 Depth=1
	s_or_b64 exec, exec, s[26:27]
	v_mov_b64_e32 v[4:5], 1.0
.LBB22_21:                              ;   in Loop: Header=BB22_22 Depth=1
	s_or_b64 exec, exec, s[24:25]
	ds_read_b64 v[6:7], v26 offset:408
	ds_read_b64 v[28:29], v17
	ds_read_b64 v[30:31], v22 offset:8
	s_add_i32 s22, s22, 1
	s_cmp_ge_i32 s22, s33
	s_waitcnt lgkmcnt(0)
	v_fmac_f64_e32 v[30:31], v[6:7], v[28:29]
	v_add_f64 v[2:3], v[2:3], -v[30:31]
	v_div_scale_f64 v[6:7], s[24:25], v[4:5], v[4:5], v[2:3]
	v_rcp_f64_e32 v[28:29], v[6:7]
	v_div_scale_f64 v[30:31], vcc, v[2:3], v[4:5], v[2:3]
	s_cselect_b64 s[24:25], -1, 0
	v_fma_f64 v[32:33], -v[6:7], v[28:29], 1.0
	v_fmac_f64_e32 v[28:29], v[28:29], v[32:33]
	v_fma_f64 v[32:33], -v[6:7], v[28:29], 1.0
	v_fmac_f64_e32 v[28:29], v[28:29], v[32:33]
	v_mul_f64 v[32:33], v[30:31], v[28:29]
	v_fma_f64 v[6:7], -v[6:7], v[32:33], v[30:31]
	v_div_fmas_f64 v[6:7], v[6:7], v[28:29], v[32:33]
	v_div_fixup_f64 v[2:3], v[6:7], v[4:5], v[2:3]
	ds_write_b64 v17, v[2:3] offset:8
	s_waitcnt lgkmcnt(0)
	ds_read_b64 v[4:5], v24 offset:8
	ds_read_b64 v[6:7], v12
	s_waitcnt lgkmcnt(0)
	v_fmac_f64_e32 v[6:7], v[2:3], v[4:5]
	ds_write_b64 v12, v[6:7]
	s_waitcnt lgkmcnt(0)
	ds_read_b64 v[2:3], v18
	s_waitcnt lgkmcnt(0)
	global_store_dwordx2 v[0:1], v[2:3], off
	buffer_wbl2 sc1
	s_waitcnt vmcnt(0)
	buffer_inv sc1
	s_and_b64 vcc, exec, s[24:25]
	s_cbranch_vccnz .LBB22_64
.LBB22_22:                              ; =>This Loop Header: Depth=1
                                        ;     Child Loop BB22_25 Depth 2
                                        ;     Child Loop BB22_36 Depth 2
                                        ;     Child Loop BB22_41 Depth 2
	s_ashr_i32 s23, s22, 31
	s_lshl_b64 s[24:25], s[22:23], 2
	s_add_u32 s24, s14, s24
	s_addc_u32 s25, s15, s25
	s_load_dword s23, s[24:25], 0x0
	s_waitcnt lgkmcnt(0)
	s_sub_i32 s26, s23, s17
	s_ashr_i32 s27, s26, 31
	s_lshl_b64 s[24:25], s[26:27], 2
	s_add_u32 s28, s4, s24
	s_addc_u32 s29, s5, s25
	s_load_dword s27, s[28:29], 0x0
	s_waitcnt lgkmcnt(0)
	s_cmp_eq_u32 s27, -1
	s_cbranch_scc1 .LBB22_49
; %bb.23:                               ;   in Loop: Header=BB22_22 Depth=1
	v_lshl_add_u32 v0, s22, 2, v25
	v_ashrrev_i32_e32 v1, 31, v0
	v_lshl_add_u64 v[0:1], v[0:1], 3, s[18:19]
	global_load_dwordx2 v[2:3], v[0:1], off
	s_add_u32 s28, s12, s24
	s_addc_u32 s29, s13, s25
	s_load_dword s28, s[28:29], 0x0
	ds_read_b32 v4, v26 offset:256
	s_mov_b32 s29, 0
	s_waitcnt lgkmcnt(0)
	s_sub_i32 s28, s28, s17
	s_cmp_le_i32 s28, s27
	v_cmp_ge_i32_e32 vcc, s26, v4
	s_cselect_b64 s[30:31], -1, 0
	s_and_b64 s[30:31], s[30:31], vcc
	s_andn2_b64 vcc, exec, s[30:31]
	s_waitcnt vmcnt(0)
	ds_write_b64 v18, v[2:3]
	s_cbranch_vccnz .LBB22_35
; %bb.24:                               ;   in Loop: Header=BB22_22 Depth=1
	s_mov_b32 s36, 0
	s_mov_b32 s37, 0
.LBB22_25:                              ;   Parent Loop BB22_22 Depth=1
                                        ; =>  This Inner Loop Header: Depth=2
	s_ashr_i32 s29, s28, 31
	s_lshl_b64 s[30:31], s[28:29], 2
	s_add_u32 s30, s14, s30
	s_addc_u32 s31, s15, s31
	s_load_dword s29, s[30:31], 0x0
	s_lshl_b32 s30, s37, 2
	v_mov_b32_e32 v2, s30
	ds_read_b32 v2, v2 offset:256
	s_mov_b64 s[30:31], -1
	s_waitcnt lgkmcnt(0)
	s_sub_i32 s41, s29, s17
                                        ; implicit-def: $sgpr29
                                        ; implicit-def: $sgpr40
                                        ; implicit-def: $sgpr39
	v_cmp_ge_i32_e32 vcc, s41, v2
	v_readfirstlane_b32 s38, v2
	s_cbranch_vccz .LBB22_31
; %bb.26:                               ;   in Loop: Header=BB22_25 Depth=2
	s_cmp_le_i32 s41, s38
                                        ; implicit-def: $sgpr29
                                        ; implicit-def: $sgpr40
                                        ; implicit-def: $sgpr39
	s_cbranch_scc0 .LBB22_28
; %bb.27:                               ;   in Loop: Header=BB22_25 Depth=2
	s_add_i32 s29, s37, s34
	s_lshl_b32 s29, s29, 2
	s_lshl_b32 s30, s36, 2
	v_mov_b32_e32 v3, s29
	s_lshl_b32 s29, s28, 2
	v_mov_b32_e32 v2, s30
	v_mov_b32_e32 v4, s29
	ds_write2_b32 v2, v4, v3 offset1:32
	s_add_i32 s39, s37, 1
	s_add_i32 s40, s28, 1
	;; [unrolled: 1-line block ×3, first 2 shown]
	s_mov_b64 s[30:31], 0
.LBB22_28:                              ;   in Loop: Header=BB22_25 Depth=2
	s_andn2_b64 vcc, exec, s[30:31]
	s_cbranch_vccnz .LBB22_30
; %bb.29:                               ;   in Loop: Header=BB22_25 Depth=2
	s_add_i32 s39, s37, 1
	s_mov_b32 s29, s36
	s_mov_b32 s40, s28
.LBB22_30:                              ;   in Loop: Header=BB22_25 Depth=2
	s_mov_b64 s[30:31], 0
.LBB22_31:                              ;   in Loop: Header=BB22_25 Depth=2
	s_andn2_b64 vcc, exec, s[30:31]
	s_cbranch_vccnz .LBB22_33
; %bb.32:                               ;   in Loop: Header=BB22_25 Depth=2
	s_add_i32 s40, s28, 1
	s_mov_b32 s39, s37
	s_mov_b32 s29, s36
.LBB22_33:                              ;   in Loop: Header=BB22_25 Depth=2
	s_cmp_le_i32 s40, s27
	s_cselect_b64 s[30:31], -1, 0
	s_cmp_le_i32 s38, s26
	s_cselect_b64 s[36:37], -1, 0
	s_and_b64 s[30:31], s[30:31], s[36:37]
	s_and_b64 vcc, exec, s[30:31]
	s_cbranch_vccz .LBB22_35
; %bb.34:                               ;   in Loop: Header=BB22_25 Depth=2
	s_mov_b32 s36, s29
	s_mov_b32 s28, s40
	;; [unrolled: 1-line block ×3, first 2 shown]
	s_branch .LBB22_25
.LBB22_35:                              ;   in Loop: Header=BB22_22 Depth=1
	s_add_u32 s24, s6, s24
	s_addc_u32 s25, s7, s25
	s_waitcnt lgkmcnt(0)
.LBB22_36:                              ;   Parent Loop BB22_22 Depth=1
                                        ; =>  This Inner Loop Header: Depth=2
	global_load_dword v2, v26, s[24:25] sc1
	s_waitcnt vmcnt(0)
	v_cmp_eq_u32_e32 vcc, 0, v2
	s_cbranch_vccnz .LBB22_36
; %bb.37:                               ;   in Loop: Header=BB22_22 Depth=1
	v_lshl_add_u32 v2, s27, 2, v25
	v_ashrrev_i32_e32 v3, 31, v2
	v_lshl_add_u64 v[2:3], v[2:3], 3, s[18:19]
	buffer_inv sc1
	global_load_dwordx2 v[2:3], v[2:3], off
	s_cmp_lt_i32 s29, 2
	s_waitcnt vmcnt(0)
	ds_write_b64 v19, v[2:3]
	v_mov_b64_e32 v[2:3], 0
	s_waitcnt lgkmcnt(0)
	s_cbranch_scc1 .LBB22_57
; %bb.38:                               ;   in Loop: Header=BB22_22 Depth=1
	s_add_i32 s26, s29, -1
	s_cmp_eq_u32 s29, 2
	s_cbranch_scc1 .LBB22_50
; %bb.39:                               ;   in Loop: Header=BB22_22 Depth=1
	s_and_b32 s27, s26, -2
	s_mov_b32 s28, 0
	v_mov_b64_e32 v[2:3], 0
	s_mov_b32 s29, 0
	s_branch .LBB22_41
.LBB22_40:                              ;   in Loop: Header=BB22_41 Depth=2
	s_add_i32 s29, s29, 2
	s_add_i32 s28, s28, 8
	s_cmp_eq_u32 s27, s29
	s_cbranch_scc1 .LBB22_51
.LBB22_41:                              ;   Parent Loop BB22_22 Depth=1
                                        ; =>  This Inner Loop Header: Depth=2
	v_mov_b32_e32 v4, s28
	s_waitcnt lgkmcnt(0)
	ds_read2_b32 v[6:7], v4 offset1:32
	s_mov_b64 s[24:25], -1
	s_and_b64 vcc, exec, s[20:21]
                                        ; implicit-def: $vgpr4_vgpr5
	s_cbranch_vccz .LBB22_43
; %bb.42:                               ;   in Loop: Header=BB22_41 Depth=2
	s_waitcnt lgkmcnt(0)
	v_add_u32_e32 v4, v6, v8
	v_ashrrev_i32_e32 v5, 31, v4
	v_add_u32_e32 v28, v7, v9
	v_add_u32_e32 v30, v20, v6
	;; [unrolled: 1-line block ×3, first 2 shown]
	v_lshl_add_u64 v[4:5], v[4:5], 3, s[18:19]
	v_ashrrev_i32_e32 v29, 31, v28
	v_ashrrev_i32_e32 v31, 31, v30
	;; [unrolled: 1-line block ×3, first 2 shown]
	v_lshl_add_u64 v[28:29], v[28:29], 3, s[18:19]
	v_lshl_add_u64 v[30:31], v[30:31], 3, s[18:19]
	;; [unrolled: 1-line block ×3, first 2 shown]
	global_load_dwordx2 v[34:35], v[4:5], off
	global_load_dwordx2 v[36:37], v[28:29], off
	;; [unrolled: 1-line block ×4, first 2 shown]
	s_mov_b64 s[24:25], 0
	s_waitcnt vmcnt(2)
	v_fma_f64 v[4:5], v[34:35], v[36:37], v[2:3]
	s_waitcnt vmcnt(0)
	v_fmac_f64_e32 v[4:5], v[38:39], v[40:41]
.LBB22_43:                              ;   in Loop: Header=BB22_41 Depth=2
	s_andn2_b64 vcc, exec, s[24:25]
	s_cbranch_vccnz .LBB22_45
; %bb.44:                               ;   in Loop: Header=BB22_41 Depth=2
	s_waitcnt lgkmcnt(0)
	v_add_u32_e32 v4, v6, v16
	v_ashrrev_i32_e32 v5, 31, v4
	v_lshl_add_u64 v[32:33], v[4:5], 3, s[18:19]
	v_add_u32_e32 v4, v7, v11
	v_ashrrev_i32_e32 v5, 31, v4
	v_lshl_add_u64 v[34:35], v[4:5], 3, s[18:19]
	global_load_dwordx4 v[4:7], v[32:33], off
	global_load_dwordx4 v[28:31], v[34:35], off
	s_waitcnt vmcnt(0)
	v_fmac_f64_e32 v[2:3], v[4:5], v[28:29]
	v_fmac_f64_e32 v[2:3], v[6:7], v[30:31]
	v_mov_b64_e32 v[4:5], v[2:3]
.LBB22_45:                              ;   in Loop: Header=BB22_41 Depth=2
	v_mov_b32_e32 v2, s28
	s_waitcnt lgkmcnt(0)
	ds_read2_b32 v[6:7], v2 offset0:1 offset1:33
	s_and_b64 vcc, exec, s[2:3]
	s_mov_b64 s[24:25], -1
                                        ; implicit-def: $vgpr2_vgpr3
	s_cbranch_vccnz .LBB22_47
; %bb.46:                               ;   in Loop: Header=BB22_41 Depth=2
	s_waitcnt lgkmcnt(0)
	v_add_u32_e32 v2, v6, v8
	v_ashrrev_i32_e32 v3, 31, v2
	v_add_u32_e32 v28, v7, v9
	v_add_u32_e32 v30, v20, v6
	;; [unrolled: 1-line block ×3, first 2 shown]
	v_lshl_add_u64 v[2:3], v[2:3], 3, s[18:19]
	v_ashrrev_i32_e32 v29, 31, v28
	v_ashrrev_i32_e32 v31, 31, v30
	;; [unrolled: 1-line block ×3, first 2 shown]
	v_lshl_add_u64 v[28:29], v[28:29], 3, s[18:19]
	v_lshl_add_u64 v[30:31], v[30:31], 3, s[18:19]
	;; [unrolled: 1-line block ×3, first 2 shown]
	global_load_dwordx2 v[34:35], v[2:3], off
	global_load_dwordx2 v[36:37], v[28:29], off
	;; [unrolled: 1-line block ×4, first 2 shown]
	s_mov_b64 s[24:25], 0
	s_waitcnt vmcnt(2)
	v_fma_f64 v[2:3], v[34:35], v[36:37], v[4:5]
	s_waitcnt vmcnt(0)
	v_fmac_f64_e32 v[2:3], v[38:39], v[40:41]
.LBB22_47:                              ;   in Loop: Header=BB22_41 Depth=2
	s_andn2_b64 vcc, exec, s[24:25]
	s_cbranch_vccnz .LBB22_40
; %bb.48:                               ;   in Loop: Header=BB22_41 Depth=2
	s_waitcnt lgkmcnt(0)
	v_add_u32_e32 v2, v6, v16
	v_ashrrev_i32_e32 v3, 31, v2
	v_add_u32_e32 v6, v7, v11
	v_lshl_add_u64 v[2:3], v[2:3], 3, s[18:19]
	v_ashrrev_i32_e32 v7, 31, v6
	v_lshl_add_u64 v[6:7], v[6:7], 3, s[18:19]
	global_load_dwordx4 v[28:31], v[2:3], off
	global_load_dwordx4 v[32:35], v[6:7], off
	s_waitcnt vmcnt(0)
	v_fmac_f64_e32 v[4:5], v[28:29], v[32:33]
	v_fmac_f64_e32 v[4:5], v[30:31], v[34:35]
	v_mov_b64_e32 v[2:3], v[4:5]
	s_branch .LBB22_40
.LBB22_49:                              ;   in Loop: Header=BB22_22 Depth=1
                                        ; implicit-def: $sgpr22
	s_cbranch_execz .LBB22_22
	s_branch .LBB22_64
.LBB22_50:                              ;   in Loop: Header=BB22_22 Depth=1
	v_mov_b64_e32 v[2:3], 0
	s_mov_b32 s27, 0
.LBB22_51:                              ;   in Loop: Header=BB22_22 Depth=1
	s_bitcmp0_b32 s26, 0
	s_cbranch_scc1 .LBB22_57
; %bb.52:                               ;   in Loop: Header=BB22_22 Depth=1
	s_lshl_b32 s24, s27, 2
	v_mov_b32_e32 v4, s24
	ds_read2_b32 v[4:5], v4 offset1:32
	s_and_b64 vcc, exec, s[2:3]
	s_mov_b64 s[24:25], -1
                                        ; implicit-def: $vgpr6_vgpr7
	s_cbranch_vccnz .LBB22_54
; %bb.53:                               ;   in Loop: Header=BB22_22 Depth=1
	s_waitcnt lgkmcnt(0)
	v_add_u32_e32 v6, v4, v8
	v_ashrrev_i32_e32 v7, 31, v6
	v_add_u32_e32 v28, v5, v9
	v_add_u32_e32 v30, v20, v4
	v_add_u32_e32 v32, v21, v5
	v_lshl_add_u64 v[6:7], v[6:7], 3, s[18:19]
	v_ashrrev_i32_e32 v29, 31, v28
	v_ashrrev_i32_e32 v31, 31, v30
	;; [unrolled: 1-line block ×3, first 2 shown]
	v_lshl_add_u64 v[28:29], v[28:29], 3, s[18:19]
	v_lshl_add_u64 v[30:31], v[30:31], 3, s[18:19]
	;; [unrolled: 1-line block ×3, first 2 shown]
	global_load_dwordx2 v[34:35], v[6:7], off
	global_load_dwordx2 v[36:37], v[28:29], off
	global_load_dwordx2 v[38:39], v[30:31], off
	global_load_dwordx2 v[40:41], v[32:33], off
	s_mov_b64 s[24:25], 0
	s_waitcnt vmcnt(2)
	v_fma_f64 v[6:7], v[34:35], v[36:37], v[2:3]
	s_waitcnt vmcnt(0)
	v_fmac_f64_e32 v[6:7], v[38:39], v[40:41]
.LBB22_54:                              ;   in Loop: Header=BB22_22 Depth=1
	s_andn2_b64 vcc, exec, s[24:25]
	s_cbranch_vccnz .LBB22_56
; %bb.55:                               ;   in Loop: Header=BB22_22 Depth=1
	s_waitcnt lgkmcnt(0)
	v_add_u32_e32 v6, v4, v16
	v_ashrrev_i32_e32 v7, 31, v6
	v_add_u32_e32 v4, v5, v11
	v_lshl_add_u64 v[32:33], v[6:7], 3, s[18:19]
	v_ashrrev_i32_e32 v5, 31, v4
	v_lshl_add_u64 v[34:35], v[4:5], 3, s[18:19]
	global_load_dwordx4 v[4:7], v[32:33], off
	global_load_dwordx4 v[28:31], v[34:35], off
	s_waitcnt vmcnt(0)
	v_fmac_f64_e32 v[2:3], v[4:5], v[28:29]
	v_fmac_f64_e32 v[2:3], v[6:7], v[30:31]
	v_mov_b64_e32 v[6:7], v[2:3]
.LBB22_56:                              ;   in Loop: Header=BB22_22 Depth=1
	s_waitcnt lgkmcnt(1)
	v_mov_b64_e32 v[2:3], v[6:7]
.LBB22_57:                              ;   in Loop: Header=BB22_22 Depth=1
	ds_write_b64 v23, v[2:3]
	s_waitcnt lgkmcnt(0)
	ds_read_b64 v[4:5], v26 offset:384
	ds_read_b64 v[2:3], v17
	s_waitcnt lgkmcnt(1)
	v_cmp_neq_f64_e32 vcc, 0, v[4:5]
	s_nop 1
	v_cndmask_b32_e32 v5, v27, v5, vcc
	s_nor_b64 s[26:27], vcc, s[0:1]
	v_cndmask_b32_e32 v4, 0, v4, vcc
	s_and_saveexec_b64 s[24:25], s[26:27]
	s_cbranch_execz .LBB22_61
; %bb.58:                               ;   in Loop: Header=BB22_22 Depth=1
	v_mbcnt_lo_u32_b32 v4, exec_lo, 0
	v_mbcnt_hi_u32_b32 v4, exec_hi, v4
	v_cmp_eq_u32_e32 vcc, 0, v4
	s_and_saveexec_b64 s[26:27], vcc
	s_cbranch_execz .LBB22_60
; %bb.59:                               ;   in Loop: Header=BB22_22 Depth=1
	v_mov_b32_e32 v4, s23
	global_atomic_smin v26, v4, s[10:11]
.LBB22_60:                              ;   in Loop: Header=BB22_22 Depth=1
	s_or_b64 exec, exec, s[26:27]
	v_mov_b64_e32 v[4:5], 1.0
.LBB22_61:                              ;   in Loop: Header=BB22_22 Depth=1
	s_or_b64 exec, exec, s[24:25]
	ds_read_b64 v[6:7], v22
	s_waitcnt lgkmcnt(0)
	v_add_f64 v[2:3], v[2:3], -v[6:7]
	v_div_scale_f64 v[6:7], s[24:25], v[4:5], v[4:5], v[2:3]
	v_rcp_f64_e32 v[28:29], v[6:7]
	v_div_scale_f64 v[30:31], vcc, v[2:3], v[4:5], v[2:3]
	v_fma_f64 v[32:33], -v[6:7], v[28:29], 1.0
	v_fmac_f64_e32 v[28:29], v[28:29], v[32:33]
	v_fma_f64 v[32:33], -v[6:7], v[28:29], 1.0
	v_fmac_f64_e32 v[28:29], v[28:29], v[32:33]
	v_mul_f64 v[32:33], v[30:31], v[28:29]
	v_fma_f64 v[6:7], -v[6:7], v[32:33], v[30:31]
	v_div_fmas_f64 v[6:7], v[6:7], v[28:29], v[32:33]
	v_div_fixup_f64 v[2:3], v[6:7], v[4:5], v[2:3]
	ds_write_b64 v17, v[2:3]
	s_waitcnt lgkmcnt(0)
	ds_read_b64 v[4:5], v24
	ds_read_b64 v[6:7], v12
	s_waitcnt lgkmcnt(0)
	v_fmac_f64_e32 v[6:7], v[2:3], v[4:5]
	ds_write_b64 v12, v[6:7]
	s_waitcnt lgkmcnt(0)
	ds_read_b64 v[4:5], v26 offset:416
	ds_read_b64 v[2:3], v17 offset:8
	s_waitcnt lgkmcnt(1)
	v_cmp_neq_f64_e32 vcc, 0, v[4:5]
	s_nop 1
	v_cndmask_b32_e32 v5, v27, v5, vcc
	s_nor_b64 s[26:27], vcc, s[0:1]
	v_cndmask_b32_e32 v4, 0, v4, vcc
	s_and_saveexec_b64 s[24:25], s[26:27]
	s_cbranch_execz .LBB22_21
; %bb.62:                               ;   in Loop: Header=BB22_22 Depth=1
	v_mbcnt_lo_u32_b32 v4, exec_lo, 0
	v_mbcnt_hi_u32_b32 v4, exec_hi, v4
	v_cmp_eq_u32_e32 vcc, 0, v4
	s_and_saveexec_b64 s[26:27], vcc
	s_cbranch_execz .LBB22_20
; %bb.63:                               ;   in Loop: Header=BB22_22 Depth=1
	v_mov_b32_e32 v4, s23
	global_atomic_smin v26, v4, s[10:11]
	s_branch .LBB22_20
.LBB22_64:
	s_waitcnt lgkmcnt(0)
	s_cmp_eq_u32 s35, 0
	s_cselect_b64 vcc, -1, 0
	v_cndmask_b32_e32 v0, v15, v10, vcc
	v_lshl_add_u32 v0, s33, 2, v0
	v_ashrrev_i32_e32 v1, 31, v0
	v_lshl_add_u64 v[0:1], v[0:1], 3, s[18:19]
	global_load_dwordx2 v[2:3], v[0:1], off
	v_mov_b32_e32 v4, 0x1e0
	v_mad_u32_u24 v5, v9, 24, v4
	v_cmp_ne_u32_e32 vcc, 0, v9
	v_lshl_add_u32 v4, v8, 3, v5
	v_cmp_eq_u32_e64 s[0:1], 0, v9
	s_waitcnt vmcnt(0)
	ds_write_b64 v4, v[2:3]
	s_waitcnt lgkmcnt(0)
	s_and_saveexec_b64 s[2:3], s[0:1]
	s_cbranch_execz .LBB22_66
; %bb.65:
	v_mov_b32_e32 v15, 0
	ds_read2_b64 v[16:19], v15 offset0:60 offset1:66
	s_mov_b32 s4, 0
	s_brev_b32 s5, 8
	s_waitcnt lgkmcnt(0)
	v_add_f64 v[2:3], v[16:17], -v[18:19]
	v_xor_b32_e32 v6, 0x80000000, v3
	v_cmp_gt_f64_e64 s[0:1], 0, v[2:3]
	v_mov_b32_e32 v18, 0x260
	s_nop 0
	v_cndmask_b32_e64 v3, v3, v6, s[0:1]
	v_cmp_gt_f64_e64 s[0:1], s[4:5], v[2:3]
	s_and_b64 s[0:1], s[0:1], exec
	s_cselect_b32 s0, 0x100, 0
	v_ldexp_f64 v[2:3], v[2:3], s0
	v_rsq_f64_e32 v[6:7], v[2:3]
	s_cselect_b32 s0, 0xffffff80, 0
	v_mul_f64 v[10:11], v[2:3], v[6:7]
	v_mul_f64 v[6:7], v[6:7], 0.5
	v_fma_f64 v[16:17], -v[6:7], v[10:11], 0.5
	v_fmac_f64_e32 v[10:11], v[10:11], v[16:17]
	v_fmac_f64_e32 v[6:7], v[6:7], v[16:17]
	v_fma_f64 v[16:17], -v[10:11], v[10:11], v[2:3]
	v_fmac_f64_e32 v[10:11], v[16:17], v[6:7]
	v_fma_f64 v[16:17], -v[10:11], v[10:11], v[2:3]
	v_fmac_f64_e32 v[10:11], v[16:17], v[6:7]
	v_ldexp_f64 v[6:7], v[10:11], s0
	v_cmp_class_f64_e64 s[0:1], v[2:3], v18
	s_nop 1
	v_cndmask_b32_e64 v3, v7, v3, s[0:1]
	v_cndmask_b32_e64 v2, v6, v2, s[0:1]
	ds_write_b64 v15, v[2:3] offset:480
.LBB22_66:
	s_or_b64 exec, exec, s[2:3]
	v_mov_b32_e32 v2, 0
	s_waitcnt lgkmcnt(0)
	ds_read_b64 v[2:3], v2 offset:480
	v_cmp_ne_u32_e64 s[0:1], 0, v14
	v_mov_b32_e32 v6, 0x3ff00000
	s_add_i32 s14, s16, s17
	s_waitcnt lgkmcnt(0)
	v_cmp_neq_f64_e64 s[2:3], 0, v[2:3]
	s_nor_b64 s[12:13], s[2:3], s[0:1]
	s_nop 0
	v_cndmask_b32_e64 v3, v6, v3, s[2:3]
	v_cndmask_b32_e64 v2, 0, v2, s[2:3]
	s_and_saveexec_b64 s[4:5], s[12:13]
	s_cbranch_execz .LBB22_70
; %bb.67:
	v_mbcnt_lo_u32_b32 v2, exec_lo, 0
	v_mbcnt_hi_u32_b32 v2, exec_hi, v2
	v_cmp_eq_u32_e64 s[2:3], 0, v2
	s_and_saveexec_b64 s[12:13], s[2:3]
	s_cbranch_execz .LBB22_69
; %bb.68:
	v_mov_b32_e32 v2, 0
	v_mov_b32_e32 v3, s14
	global_atomic_smin v2, v3, s[10:11]
.LBB22_69:
	s_or_b64 exec, exec, s[12:13]
	v_mov_b64_e32 v[2:3], 1.0
.LBB22_70:
	s_or_b64 exec, exec, s[4:5]
	v_mov_b32_e32 v6, 0x1e0
	v_mad_u32_u24 v6, v8, 24, v6
	s_and_saveexec_b64 s[2:3], vcc
	s_cbranch_execz .LBB22_72
; %bb.71:
	ds_read_b64 v[10:11], v5
	ds_read_b64 v[16:17], v13
	s_waitcnt lgkmcnt(0)
	v_add_f64 v[10:11], v[10:11], -v[16:17]
	v_div_scale_f64 v[16:17], s[4:5], v[2:3], v[2:3], v[10:11]
	v_rcp_f64_e32 v[18:19], v[16:17]
	v_div_scale_f64 v[20:21], vcc, v[10:11], v[2:3], v[10:11]
	v_fma_f64 v[22:23], -v[16:17], v[18:19], 1.0
	v_fmac_f64_e32 v[18:19], v[18:19], v[22:23]
	v_fma_f64 v[22:23], -v[16:17], v[18:19], 1.0
	v_fmac_f64_e32 v[18:19], v[18:19], v[22:23]
	v_mul_f64 v[22:23], v[20:21], v[18:19]
	v_fma_f64 v[16:17], -v[16:17], v[22:23], v[20:21]
	v_div_fmas_f64 v[16:17], v[16:17], v[18:19], v[22:23]
	v_div_fixup_f64 v[2:3], v[16:17], v[2:3], v[10:11]
	ds_write_b64 v5, v[2:3]
	s_waitcnt lgkmcnt(0)
	ds_read_b64 v[10:11], v6
	ds_read_b64 v[16:17], v12
	s_waitcnt lgkmcnt(0)
	v_fmac_f64_e32 v[16:17], v[2:3], v[10:11]
	ds_write_b64 v12, v[16:17]
.LBB22_72:
	s_or_b64 exec, exec, s[2:3]
	v_cmp_eq_u32_e32 vcc, 1, v9
	s_waitcnt lgkmcnt(0)
	s_and_saveexec_b64 s[2:3], vcc
	s_cbranch_execz .LBB22_74
; %bb.73:
	v_mov_b32_e32 v7, 0
	ds_read2_b64 v[16:19], v7 offset0:64 offset1:70
	s_mov_b32 s4, 0
	s_brev_b32 s5, 8
	v_mov_b32_e32 v15, 0x260
	s_waitcnt lgkmcnt(0)
	v_add_f64 v[2:3], v[16:17], -v[18:19]
	v_xor_b32_e32 v10, 0x80000000, v3
	v_cmp_gt_f64_e32 vcc, 0, v[2:3]
	s_nop 1
	v_cndmask_b32_e32 v3, v3, v10, vcc
	v_cmp_gt_f64_e32 vcc, s[4:5], v[2:3]
	s_and_b64 s[4:5], vcc, exec
	s_cselect_b32 s4, 0x100, 0
	v_ldexp_f64 v[2:3], v[2:3], s4
	v_rsq_f64_e32 v[10:11], v[2:3]
	s_cselect_b32 s4, 0xffffff80, 0
	v_cmp_class_f64_e32 vcc, v[2:3], v15
	v_mul_f64 v[16:17], v[2:3], v[10:11]
	v_mul_f64 v[10:11], v[10:11], 0.5
	v_fma_f64 v[18:19], -v[10:11], v[16:17], 0.5
	v_fmac_f64_e32 v[16:17], v[16:17], v[18:19]
	v_fmac_f64_e32 v[10:11], v[10:11], v[18:19]
	v_fma_f64 v[18:19], -v[16:17], v[16:17], v[2:3]
	v_fmac_f64_e32 v[16:17], v[18:19], v[10:11]
	v_fma_f64 v[18:19], -v[16:17], v[16:17], v[2:3]
	v_fmac_f64_e32 v[16:17], v[18:19], v[10:11]
	v_ldexp_f64 v[10:11], v[16:17], s4
	v_cndmask_b32_e32 v3, v11, v3, vcc
	v_cndmask_b32_e32 v2, v10, v2, vcc
	ds_write_b64 v7, v[2:3] offset:512
.LBB22_74:
	s_or_b64 exec, exec, s[2:3]
	v_mov_b32_e32 v2, 0
	s_waitcnt lgkmcnt(0)
	ds_read_b64 v[2:3], v2 offset:512
	v_mov_b32_e32 v7, 0x3ff00000
	s_waitcnt lgkmcnt(0)
	v_cmp_neq_f64_e32 vcc, 0, v[2:3]
	s_nop 1
	v_cndmask_b32_e32 v3, v7, v3, vcc
	s_nor_b64 s[2:3], vcc, s[0:1]
	v_cndmask_b32_e32 v2, 0, v2, vcc
	s_and_saveexec_b64 s[0:1], s[2:3]
	s_cbranch_execz .LBB22_78
; %bb.75:
	v_mbcnt_lo_u32_b32 v2, exec_lo, 0
	v_mbcnt_hi_u32_b32 v2, exec_hi, v2
	v_cmp_eq_u32_e32 vcc, 0, v2
	s_and_saveexec_b64 s[2:3], vcc
	s_cbranch_execz .LBB22_77
; %bb.76:
	v_mov_b32_e32 v2, 0
	v_mov_b32_e32 v3, s14
	global_atomic_smin v2, v3, s[10:11]
.LBB22_77:
	s_or_b64 exec, exec, s[2:3]
	v_mov_b64_e32 v[2:3], 1.0
.LBB22_78:
	s_or_b64 exec, exec, s[0:1]
	v_cmp_lt_u32_e32 vcc, 1, v9
	s_and_saveexec_b64 s[0:1], vcc
	s_cbranch_execz .LBB22_80
; %bb.79:
	ds_read_b64 v[10:11], v5 offset:8
	ds_read_b64 v[16:17], v13 offset:8
	s_waitcnt lgkmcnt(0)
	v_add_f64 v[10:11], v[10:11], -v[16:17]
	v_div_scale_f64 v[16:17], s[2:3], v[2:3], v[2:3], v[10:11]
	v_rcp_f64_e32 v[18:19], v[16:17]
	v_div_scale_f64 v[20:21], vcc, v[10:11], v[2:3], v[10:11]
	v_fma_f64 v[22:23], -v[16:17], v[18:19], 1.0
	v_fmac_f64_e32 v[18:19], v[18:19], v[22:23]
	v_fma_f64 v[22:23], -v[16:17], v[18:19], 1.0
	v_fmac_f64_e32 v[18:19], v[18:19], v[22:23]
	v_mul_f64 v[22:23], v[20:21], v[18:19]
	v_fma_f64 v[16:17], -v[16:17], v[22:23], v[20:21]
	v_div_fmas_f64 v[16:17], v[16:17], v[18:19], v[22:23]
	v_div_fixup_f64 v[2:3], v[16:17], v[2:3], v[10:11]
	ds_write_b64 v5, v[2:3] offset:8
	s_waitcnt lgkmcnt(0)
	ds_read_b64 v[6:7], v6 offset:8
	ds_read_b64 v[10:11], v12
	s_waitcnt lgkmcnt(0)
	v_fmac_f64_e32 v[10:11], v[2:3], v[6:7]
	ds_write_b64 v12, v[10:11]
.LBB22_80:
	s_or_b64 exec, exec, s[0:1]
	s_waitcnt lgkmcnt(0)
	ds_read_b64 v[2:3], v4
	v_cmp_eq_u32_e32 vcc, 0, v14
	s_waitcnt lgkmcnt(0)
	global_store_dwordx2 v[0:1], v[2:3], off
	s_and_saveexec_b64 s[0:1], vcc
	s_cbranch_execz .LBB22_82
; %bb.81:
	s_add_u32 s2, s6, s8
	s_addc_u32 s3, s7, s9
	v_mov_b32_e32 v0, 0
	v_mov_b32_e32 v1, 1
	buffer_wbl2 sc1
	s_waitcnt vmcnt(0)
	global_store_dword v0, v1, s[2:3] sc1
.LBB22_82:
	s_or_b64 exec, exec, s[0:1]
	s_branch .LBB22_17
.LBB22_83:
	v_or_b32_e32 v0, v8, v9
	v_cmp_eq_u32_e32 vcc, 0, v0
	s_and_saveexec_b64 s[0:1], vcc
	s_cbranch_execz .LBB22_17
; %bb.84:
	v_mbcnt_lo_u32_b32 v0, exec_lo, 0
	v_mbcnt_hi_u32_b32 v0, exec_hi, v0
	v_cmp_eq_u32_e32 vcc, 0, v0
	s_and_saveexec_b64 s[0:1], vcc
	s_cbranch_execz .LBB22_86
; %bb.85:
	s_add_i32 s2, s16, s17
	v_mov_b32_e32 v0, 0
	v_mov_b32_e32 v1, s2
	global_atomic_smin v0, v1, s[10:11]
.LBB22_86:
	s_or_b64 exec, exec, s[0:1]
	s_add_u32 s0, s6, s8
	s_addc_u32 s1, s7, s9
	v_mov_b32_e32 v0, 0
	v_mov_b32_e32 v1, 1
	buffer_wbl2 sc1
	s_waitcnt vmcnt(0)
	global_store_dword v0, v1, s[0:1] sc1
	s_endpgm
	.section	.rodata,"a",@progbits
	.p2align	6, 0x0
	.amdhsa_kernel _ZN9rocsparseL26bsric0_2_8_unrolled_kernelILi4ELi32ELi2EdEEv20rocsparse_direction_iiPKiS3_PT2_S3_PiS3_S6_21rocsparse_index_base_
		.amdhsa_group_segment_fixed_size 576
		.amdhsa_private_segment_fixed_size 0
		.amdhsa_kernarg_size 76
		.amdhsa_user_sgpr_count 2
		.amdhsa_user_sgpr_dispatch_ptr 0
		.amdhsa_user_sgpr_queue_ptr 0
		.amdhsa_user_sgpr_kernarg_segment_ptr 1
		.amdhsa_user_sgpr_dispatch_id 0
		.amdhsa_user_sgpr_kernarg_preload_length 0
		.amdhsa_user_sgpr_kernarg_preload_offset 0
		.amdhsa_user_sgpr_private_segment_size 0
		.amdhsa_uses_dynamic_stack 0
		.amdhsa_enable_private_segment 0
		.amdhsa_system_sgpr_workgroup_id_x 1
		.amdhsa_system_sgpr_workgroup_id_y 0
		.amdhsa_system_sgpr_workgroup_id_z 0
		.amdhsa_system_sgpr_workgroup_info 0
		.amdhsa_system_vgpr_workitem_id 1
		.amdhsa_next_free_vgpr 66
		.amdhsa_next_free_sgpr 42
		.amdhsa_accum_offset 68
		.amdhsa_reserve_vcc 1
		.amdhsa_float_round_mode_32 0
		.amdhsa_float_round_mode_16_64 0
		.amdhsa_float_denorm_mode_32 3
		.amdhsa_float_denorm_mode_16_64 3
		.amdhsa_dx10_clamp 1
		.amdhsa_ieee_mode 1
		.amdhsa_fp16_overflow 0
		.amdhsa_tg_split 0
		.amdhsa_exception_fp_ieee_invalid_op 0
		.amdhsa_exception_fp_denorm_src 0
		.amdhsa_exception_fp_ieee_div_zero 0
		.amdhsa_exception_fp_ieee_overflow 0
		.amdhsa_exception_fp_ieee_underflow 0
		.amdhsa_exception_fp_ieee_inexact 0
		.amdhsa_exception_int_div_zero 0
	.end_amdhsa_kernel
	.section	.text._ZN9rocsparseL26bsric0_2_8_unrolled_kernelILi4ELi32ELi2EdEEv20rocsparse_direction_iiPKiS3_PT2_S3_PiS3_S6_21rocsparse_index_base_,"axG",@progbits,_ZN9rocsparseL26bsric0_2_8_unrolled_kernelILi4ELi32ELi2EdEEv20rocsparse_direction_iiPKiS3_PT2_S3_PiS3_S6_21rocsparse_index_base_,comdat
.Lfunc_end22:
	.size	_ZN9rocsparseL26bsric0_2_8_unrolled_kernelILi4ELi32ELi2EdEEv20rocsparse_direction_iiPKiS3_PT2_S3_PiS3_S6_21rocsparse_index_base_, .Lfunc_end22-_ZN9rocsparseL26bsric0_2_8_unrolled_kernelILi4ELi32ELi2EdEEv20rocsparse_direction_iiPKiS3_PT2_S3_PiS3_S6_21rocsparse_index_base_
                                        ; -- End function
	.set _ZN9rocsparseL26bsric0_2_8_unrolled_kernelILi4ELi32ELi2EdEEv20rocsparse_direction_iiPKiS3_PT2_S3_PiS3_S6_21rocsparse_index_base_.num_vgpr, 66
	.set _ZN9rocsparseL26bsric0_2_8_unrolled_kernelILi4ELi32ELi2EdEEv20rocsparse_direction_iiPKiS3_PT2_S3_PiS3_S6_21rocsparse_index_base_.num_agpr, 0
	.set _ZN9rocsparseL26bsric0_2_8_unrolled_kernelILi4ELi32ELi2EdEEv20rocsparse_direction_iiPKiS3_PT2_S3_PiS3_S6_21rocsparse_index_base_.numbered_sgpr, 42
	.set _ZN9rocsparseL26bsric0_2_8_unrolled_kernelILi4ELi32ELi2EdEEv20rocsparse_direction_iiPKiS3_PT2_S3_PiS3_S6_21rocsparse_index_base_.num_named_barrier, 0
	.set _ZN9rocsparseL26bsric0_2_8_unrolled_kernelILi4ELi32ELi2EdEEv20rocsparse_direction_iiPKiS3_PT2_S3_PiS3_S6_21rocsparse_index_base_.private_seg_size, 0
	.set _ZN9rocsparseL26bsric0_2_8_unrolled_kernelILi4ELi32ELi2EdEEv20rocsparse_direction_iiPKiS3_PT2_S3_PiS3_S6_21rocsparse_index_base_.uses_vcc, 1
	.set _ZN9rocsparseL26bsric0_2_8_unrolled_kernelILi4ELi32ELi2EdEEv20rocsparse_direction_iiPKiS3_PT2_S3_PiS3_S6_21rocsparse_index_base_.uses_flat_scratch, 0
	.set _ZN9rocsparseL26bsric0_2_8_unrolled_kernelILi4ELi32ELi2EdEEv20rocsparse_direction_iiPKiS3_PT2_S3_PiS3_S6_21rocsparse_index_base_.has_dyn_sized_stack, 0
	.set _ZN9rocsparseL26bsric0_2_8_unrolled_kernelILi4ELi32ELi2EdEEv20rocsparse_direction_iiPKiS3_PT2_S3_PiS3_S6_21rocsparse_index_base_.has_recursion, 0
	.set _ZN9rocsparseL26bsric0_2_8_unrolled_kernelILi4ELi32ELi2EdEEv20rocsparse_direction_iiPKiS3_PT2_S3_PiS3_S6_21rocsparse_index_base_.has_indirect_call, 0
	.section	.AMDGPU.csdata,"",@progbits
; Kernel info:
; codeLenInByte = 4736
; TotalNumSgprs: 48
; NumVgprs: 66
; NumAgprs: 0
; TotalNumVgprs: 66
; ScratchSize: 0
; MemoryBound: 1
; FloatMode: 240
; IeeeMode: 1
; LDSByteSize: 576 bytes/workgroup (compile time only)
; SGPRBlocks: 5
; VGPRBlocks: 8
; NumSGPRsForWavesPerEU: 48
; NumVGPRsForWavesPerEU: 66
; AccumOffset: 68
; Occupancy: 7
; WaveLimiterHint : 1
; COMPUTE_PGM_RSRC2:SCRATCH_EN: 0
; COMPUTE_PGM_RSRC2:USER_SGPR: 2
; COMPUTE_PGM_RSRC2:TRAP_HANDLER: 0
; COMPUTE_PGM_RSRC2:TGID_X_EN: 1
; COMPUTE_PGM_RSRC2:TGID_Y_EN: 0
; COMPUTE_PGM_RSRC2:TGID_Z_EN: 0
; COMPUTE_PGM_RSRC2:TIDIG_COMP_CNT: 1
; COMPUTE_PGM_RSRC3_GFX90A:ACCUM_OFFSET: 16
; COMPUTE_PGM_RSRC3_GFX90A:TG_SPLIT: 0
	.section	.text._ZN9rocsparseL26bsric0_2_8_unrolled_kernelILi9ELi32ELi3EdEEv20rocsparse_direction_iiPKiS3_PT2_S3_PiS3_S6_21rocsparse_index_base_,"axG",@progbits,_ZN9rocsparseL26bsric0_2_8_unrolled_kernelILi9ELi32ELi3EdEEv20rocsparse_direction_iiPKiS3_PT2_S3_PiS3_S6_21rocsparse_index_base_,comdat
	.globl	_ZN9rocsparseL26bsric0_2_8_unrolled_kernelILi9ELi32ELi3EdEEv20rocsparse_direction_iiPKiS3_PT2_S3_PiS3_S6_21rocsparse_index_base_ ; -- Begin function _ZN9rocsparseL26bsric0_2_8_unrolled_kernelILi9ELi32ELi3EdEEv20rocsparse_direction_iiPKiS3_PT2_S3_PiS3_S6_21rocsparse_index_base_
	.p2align	8
	.type	_ZN9rocsparseL26bsric0_2_8_unrolled_kernelILi9ELi32ELi3EdEEv20rocsparse_direction_iiPKiS3_PT2_S3_PiS3_S6_21rocsparse_index_base_,@function
_ZN9rocsparseL26bsric0_2_8_unrolled_kernelILi9ELi32ELi3EdEEv20rocsparse_direction_iiPKiS3_PT2_S3_PiS3_S6_21rocsparse_index_base_: ; @_ZN9rocsparseL26bsric0_2_8_unrolled_kernelILi9ELi32ELi3EdEEv20rocsparse_direction_iiPKiS3_PT2_S3_PiS3_S6_21rocsparse_index_base_
; %bb.0:
	s_load_dwordx8 s[4:11], s[0:1], 0x28
	s_mov_b32 s3, 0
	s_lshl_b64 s[2:3], s[2:3], 2
	v_and_b32_e32 v12, 0x3ff, v0
	v_bfe_u32 v13, v0, 10, 10
	s_waitcnt lgkmcnt(0)
	s_add_u32 s2, s8, s2
	s_addc_u32 s3, s9, s3
	s_load_dword s16, s[2:3], 0x0
	s_waitcnt lgkmcnt(0)
	s_ashr_i32 s17, s16, 31
	s_lshl_b64 s[8:9], s[16:17], 2
	s_add_u32 s2, s4, s8
	s_addc_u32 s3, s5, s9
	s_load_dword s30, s[2:3], 0x0
	s_load_dword s17, s[0:1], 0x48
	s_waitcnt lgkmcnt(0)
	s_cmp_lg_u32 s30, -1
	s_cbranch_scc0 .LBB23_96
; %bb.1:
	s_load_dwordx4 s[12:15], s[0:1], 0x10
	s_load_dwordx2 s[18:19], s[0:1], 0x20
	v_mad_u32_u24 v14, v13, 3, v12
	v_mul_u32_u24_e32 v15, 3, v13
	s_waitcnt lgkmcnt(0)
	s_add_u32 s2, s12, s8
	s_addc_u32 s3, s13, s9
	s_load_dword s26, s[2:3], 0x0
	s_waitcnt lgkmcnt(0)
	s_sub_i32 s31, s26, s17
	v_add_u32_e32 v0, s31, v14
	v_cmp_ge_i32_e32 vcc, s30, v0
	s_and_saveexec_b64 s[20:21], vcc
	s_cbranch_execz .LBB23_14
; %bb.2:
	v_add_u32_e32 v1, s26, v12
	v_add_u32_e32 v2, v1, v15
	v_subrev_u32_e32 v2, s17, v2
	v_add_u32_e32 v2, 9, v2
	s_add_i32 s2, s30, 1
	v_max_i32_e32 v2, s2, v2
	v_add_u32_e32 v2, s17, v2
	v_sub_u32_e32 v1, v2, v1
	v_add_u32_e32 v1, -9, v1
	v_cmp_ne_u32_e32 vcc, v1, v15
	s_mov_b64 s[22:23], -1
	s_nop 0
	v_addc_co_u32_e64 v2, s[2:3], 0, v15, vcc
	v_sub_u32_e32 v1, v1, v2
	s_mov_b32 s2, 0x38e38e39
	v_mul_hi_u32 v1, v1, s2
	v_lshrrev_b32_e32 v1, 1, v1
	v_addc_co_u32_e32 v4, vcc, 0, v1, vcc
	v_cmp_ne_u32_e32 vcc, 0, v4
	s_and_saveexec_b64 s[2:3], vcc
	s_cbranch_execz .LBB23_11
; %bb.3:
	v_add_u32_e32 v2, -1, v4
	v_add_u32_e32 v1, 9, v0
	v_lshrrev_b32_e32 v2, 1, v2
	v_add_u32_e32 v5, 1, v2
	v_cmp_lt_u32_e32 vcc, 14, v4
	v_mov_b64_e32 v[2:3], v[0:1]
	s_and_saveexec_b64 s[22:23], vcc
	s_cbranch_execz .LBB23_7
; %bb.4:
	v_and_b32_e32 v6, -8, v5
	s_mov_b64 s[24:25], 0
	v_mov_b64_e32 v[2:3], v[0:1]
.LBB23_5:                               ; =>This Inner Loop Header: Depth=1
	v_ashrrev_i32_e32 v11, 31, v2
	v_mov_b32_e32 v10, v2
	v_ashrrev_i32_e32 v9, 31, v3
	v_mov_b32_e32 v8, v3
	v_add_u32_e32 v16, 18, v2
	v_add_u32_e32 v18, 18, v3
	v_lshl_add_u64 v[10:11], v[10:11], 2, s[14:15]
	v_add_u32_e32 v20, 36, v2
	v_add_u32_e32 v22, 36, v3
	;; [unrolled: 1-line block ×12, first 2 shown]
	v_lshl_add_u64 v[8:9], v[8:9], 2, s[14:15]
	v_ashrrev_i32_e32 v19, 31, v18
	v_ashrrev_i32_e32 v17, 31, v16
	global_load_dword v1, v[10:11], off
	global_load_dword v7, v[8:9], off
	v_ashrrev_i32_e32 v23, 31, v22
	v_ashrrev_i32_e32 v21, 31, v20
	;; [unrolled: 1-line block ×12, first 2 shown]
	v_lshl_add_u64 v[8:9], v[16:17], 2, s[14:15]
	v_lshl_add_u64 v[10:11], v[18:19], 2, s[14:15]
	;; [unrolled: 1-line block ×13, first 2 shown]
	global_load_dword v17, v[10:11], off
	v_lshl_add_u64 v[10:11], v[42:43], 2, s[14:15]
	global_load_dword v19, v[8:9], off
	global_load_dword v21, v[46:47], off
	;; [unrolled: 1-line block ×13, first 2 shown]
	v_subrev_u32_e32 v9, s31, v2
	v_add_u32_e32 v6, -8, v6
	v_subrev_u32_e32 v8, s31, v3
	v_lshlrev_b32_e32 v9, 2, v9
	v_subrev_u32_e32 v11, s31, v16
	v_cmp_eq_u32_e32 vcc, 0, v6
	v_add_u32_e32 v3, 0x90, v3
	v_add_u32_e32 v2, 0x90, v2
	v_lshlrev_b32_e32 v8, 2, v8
	v_subrev_u32_e32 v10, s31, v18
	v_subrev_u32_e32 v16, s31, v22
	v_subrev_u32_e32 v18, s31, v20
	v_subrev_u32_e32 v20, s31, v26
	v_subrev_u32_e32 v22, s31, v24
	v_subrev_u32_e32 v24, s31, v30
	v_subrev_u32_e32 v26, s31, v28
	v_subrev_u32_e32 v28, s31, v34
	v_subrev_u32_e32 v30, s31, v32
	v_subrev_u32_e32 v32, s31, v38
	v_subrev_u32_e32 v34, s31, v36
	v_subrev_u32_e32 v36, s31, v42
	v_subrev_u32_e32 v38, s31, v40
	v_lshlrev_b32_e32 v11, 2, v11
	s_or_b64 s[24:25], vcc, s[24:25]
	v_lshlrev_b32_e32 v10, 2, v10
	v_lshlrev_b32_e32 v18, 2, v18
	;; [unrolled: 1-line block ×13, first 2 shown]
	s_waitcnt vmcnt(15)
	v_subrev_u32_e32 v1, s17, v1
	s_waitcnt vmcnt(14)
	v_subrev_u32_e32 v7, s17, v7
	ds_write_b32 v9, v1 offset:256
	ds_write_b32 v8, v7 offset:256
	s_waitcnt vmcnt(12)
	v_subrev_u32_e32 v7, s17, v19
	s_waitcnt vmcnt(11)
	v_subrev_u32_e32 v8, s17, v21
	;; [unrolled: 2-line block ×8, first 2 shown]
	v_subrev_u32_e32 v1, s17, v17
	v_subrev_u32_e32 v17, s17, v25
	;; [unrolled: 1-line block ×3, first 2 shown]
	s_waitcnt vmcnt(2)
	v_subrev_u32_e32 v31, s17, v39
	s_waitcnt vmcnt(1)
	v_subrev_u32_e32 v33, s17, v41
	;; [unrolled: 2-line block ×3, first 2 shown]
	ds_write_b32 v11, v7 offset:256
	ds_write_b32 v10, v1 offset:256
	;; [unrolled: 1-line block ×14, first 2 shown]
	s_andn2_b64 exec, exec, s[24:25]
	s_cbranch_execnz .LBB23_5
; %bb.6:
	s_or_b64 exec, exec, s[24:25]
.LBB23_7:
	s_or_b64 exec, exec, s[22:23]
	v_and_b32_e32 v1, 7, v5
	v_cmp_ne_u32_e32 vcc, 0, v1
	s_and_saveexec_b64 s[22:23], vcc
	s_cbranch_execz .LBB23_10
; %bb.8:
	v_sub_u32_e32 v1, 0, v1
	s_mov_b64 s[24:25], 0
.LBB23_9:                               ; =>This Inner Loop Header: Depth=1
	v_ashrrev_i32_e32 v7, 31, v3
	v_mov_b32_e32 v6, v3
	v_ashrrev_i32_e32 v9, 31, v2
	v_mov_b32_e32 v8, v2
	v_lshl_add_u64 v[6:7], v[6:7], 2, s[14:15]
	v_lshl_add_u64 v[8:9], v[8:9], 2, s[14:15]
	global_load_dword v5, v[6:7], off
	global_load_dword v10, v[8:9], off
	v_subrev_u32_e32 v7, s31, v2
	v_add_co_u32_e32 v1, vcc, 1, v1
	v_subrev_u32_e32 v6, s31, v3
	v_add_u32_e32 v3, 18, v3
	v_add_u32_e32 v2, 18, v2
	v_lshlrev_b32_e32 v7, 2, v7
	s_or_b64 s[24:25], vcc, s[24:25]
	v_lshlrev_b32_e32 v6, 2, v6
	s_waitcnt vmcnt(1)
	v_subrev_u32_e32 v5, s17, v5
	s_waitcnt vmcnt(0)
	v_subrev_u32_e32 v8, s17, v10
	ds_write_b32 v7, v8 offset:256
	ds_write_b32 v6, v5 offset:256
	s_andn2_b64 exec, exec, s[24:25]
	s_cbranch_execnz .LBB23_9
.LBB23_10:
	s_or_b64 exec, exec, s[22:23]
	v_add_u32_e32 v2, 1, v4
	v_and_b32_e32 v3, 0x7ffffffe, v2
	v_mad_u64_u32 v[0:1], s[22:23], v3, 9, v[0:1]
	v_cmp_ne_u32_e32 vcc, v2, v3
	s_orn2_b64 s[22:23], vcc, exec
.LBB23_11:
	s_or_b64 exec, exec, s[2:3]
	s_and_b64 exec, exec, s[22:23]
	s_cbranch_execz .LBB23_14
; %bb.12:
	v_add_u32_e32 v1, s17, v0
	v_subrev_u32_e32 v1, s26, v1
	v_mov_b32_e32 v2, 0x100
	v_lshl_add_u32 v4, v1, 2, v2
	v_ashrrev_i32_e32 v1, 31, v0
	v_lshl_add_u64 v[2:3], v[0:1], 2, s[14:15]
	s_mov_b64 s[2:3], 0
.LBB23_13:                              ; =>This Inner Loop Header: Depth=1
	global_load_dword v1, v[2:3], off
	v_add_u32_e32 v0, 9, v0
	v_cmp_lt_i32_e32 vcc, s30, v0
	v_lshl_add_u64 v[2:3], v[2:3], 0, 36
	s_or_b64 s[2:3], vcc, s[2:3]
	s_waitcnt vmcnt(0)
	v_subrev_u32_e32 v1, s17, v1
	ds_write_b32 v4, v1
	v_add_u32_e32 v4, 36, v4
	s_andn2_b64 exec, exec, s[2:3]
	s_cbranch_execnz .LBB23_13
.LBB23_14:
	s_or_b64 exec, exec, s[20:21]
	s_load_dword s33, s[0:1], 0x0
	v_mov_b32_e32 v0, 0x2a0
	v_lshl_add_u32 v17, v13, 5, v0
	v_mov_b32_e32 v0, 0
	v_lshl_add_u32 v16, v12, 3, v17
	v_mov_b32_e32 v1, v0
	s_cmp_ge_i32 s31, s30
	v_mad_u32_u24 v3, v12, 3, v13
	ds_write_b64 v16, v[0:1]
	s_waitcnt lgkmcnt(0)
	s_cbranch_scc1 .LBB23_64
; %bb.15:
	s_cmp_lg_u32 s33, 0
	v_lshlrev_b32_e32 v4, 5, v13
	v_lshlrev_b32_e32 v5, 3, v12
	s_movk_i32 s0, 0x180
	s_cselect_b64 s[2:3], -1, 0
	s_cmp_eq_u32 s33, 0
	v_add_u32_e32 v18, 0x240, v4
	v_add3_u32 v20, v4, v5, s0
	v_add_u32_e32 v25, 0x1e0, v4
	v_mov_b32_e32 v4, 0x240
	v_mad_u32_u24 v2, v12, 3, v13
	v_lshl_add_u32 v27, v12, 5, v4
	v_or_b32_e32 v4, v12, v13
	s_cselect_b64 vcc, -1, 0
	v_mul_u32_u24_e32 v1, 3, v12
	v_add_u32_e32 v19, v18, v5
	v_add_u32_e32 v21, 3, v12
	;; [unrolled: 1-line block ×6, first 2 shown]
	v_cmp_ne_u32_e64 s[0:1], 0, v4
	v_cndmask_b32_e32 v2, v2, v14, vcc
	v_mov_b32_e32 v28, 0x3ff00000
	s_mov_b32 s20, s31
	s_branch .LBB23_18
.LBB23_16:                              ;   in Loop: Header=BB23_18 Depth=1
	s_or_b64 exec, exec, s[24:25]
	v_mov_b64_e32 v[8:9], 1.0
.LBB23_17:                              ;   in Loop: Header=BB23_18 Depth=1
	s_or_b64 exec, exec, s[22:23]
	ds_read_b128 v[30:33], v0 offset:448
	ds_read_b128 v[34:37], v18
	ds_read_b64 v[10:11], v25 offset:16
	s_add_i32 s20, s20, 1
	s_cmp_ge_i32 s20, s30
	s_waitcnt lgkmcnt(0)
	v_fmac_f64_e32 v[10:11], v[30:31], v[34:35]
	v_fmac_f64_e32 v[10:11], v[32:33], v[36:37]
	v_add_f64 v[6:7], v[6:7], -v[10:11]
	v_div_scale_f64 v[10:11], s[22:23], v[8:9], v[8:9], v[6:7]
	v_rcp_f64_e32 v[30:31], v[10:11]
	v_div_scale_f64 v[32:33], vcc, v[6:7], v[8:9], v[6:7]
	s_cselect_b64 s[22:23], -1, 0
	v_fma_f64 v[34:35], -v[10:11], v[30:31], 1.0
	v_fmac_f64_e32 v[30:31], v[30:31], v[34:35]
	v_fma_f64 v[34:35], -v[10:11], v[30:31], 1.0
	v_fmac_f64_e32 v[30:31], v[30:31], v[34:35]
	v_mul_f64 v[34:35], v[32:33], v[30:31]
	v_fma_f64 v[10:11], -v[10:11], v[34:35], v[32:33]
	v_div_fmas_f64 v[10:11], v[10:11], v[30:31], v[34:35]
	v_div_fixup_f64 v[6:7], v[10:11], v[8:9], v[6:7]
	ds_write_b64 v18, v[6:7] offset:16
	s_waitcnt lgkmcnt(0)
	ds_read_b64 v[8:9], v27 offset:16
	ds_read_b64 v[10:11], v16
	s_waitcnt lgkmcnt(0)
	v_fmac_f64_e32 v[10:11], v[6:7], v[8:9]
	ds_write_b64 v16, v[10:11]
	s_waitcnt lgkmcnt(0)
	ds_read_b64 v[6:7], v19
	s_waitcnt lgkmcnt(0)
	global_store_dwordx2 v[4:5], v[6:7], off
	buffer_wbl2 sc1
	s_waitcnt vmcnt(0)
	buffer_inv sc1
	s_and_b64 vcc, exec, s[22:23]
	s_cbranch_vccnz .LBB23_64
.LBB23_18:                              ; =>This Loop Header: Depth=1
                                        ;     Child Loop BB23_21 Depth 2
                                        ;     Child Loop BB23_32 Depth 2
	;; [unrolled: 1-line block ×3, first 2 shown]
	s_ashr_i32 s21, s20, 31
	s_lshl_b64 s[22:23], s[20:21], 2
	s_add_u32 s22, s14, s22
	s_addc_u32 s23, s15, s23
	s_load_dword s21, s[22:23], 0x0
	s_waitcnt lgkmcnt(0)
	s_sub_i32 s24, s21, s17
	s_ashr_i32 s25, s24, 31
	s_lshl_b64 s[22:23], s[24:25], 2
	s_add_u32 s26, s4, s22
	s_addc_u32 s27, s5, s23
	s_load_dword s25, s[26:27], 0x0
	s_waitcnt lgkmcnt(0)
	s_cmp_eq_u32 s25, -1
	s_cbranch_scc1 .LBB23_45
; %bb.19:                               ;   in Loop: Header=BB23_18 Depth=1
	v_mad_u64_u32 v[4:5], s[26:27], s20, 9, v[2:3]
	v_ashrrev_i32_e32 v5, 31, v4
	v_lshl_add_u64 v[4:5], v[4:5], 3, s[18:19]
	global_load_dwordx2 v[6:7], v[4:5], off
	s_add_u32 s26, s12, s22
	s_addc_u32 s27, s13, s23
	s_load_dword s26, s[26:27], 0x0
	ds_read_b32 v8, v0 offset:256
	s_mov_b32 s27, 0
	s_waitcnt lgkmcnt(0)
	s_sub_i32 s26, s26, s17
	s_cmp_le_i32 s26, s25
	v_cmp_ge_i32_e32 vcc, s24, v8
	s_cselect_b64 s[28:29], -1, 0
	s_and_b64 s[28:29], s[28:29], vcc
	s_andn2_b64 vcc, exec, s[28:29]
	s_waitcnt vmcnt(0)
	ds_write_b64 v19, v[6:7]
	s_cbranch_vccnz .LBB23_31
; %bb.20:                               ;   in Loop: Header=BB23_18 Depth=1
	s_mov_b32 s34, 0
	s_mov_b32 s35, 0
.LBB23_21:                              ;   Parent Loop BB23_18 Depth=1
                                        ; =>  This Inner Loop Header: Depth=2
	s_ashr_i32 s27, s26, 31
	s_lshl_b64 s[28:29], s[26:27], 2
	s_add_u32 s28, s14, s28
	s_addc_u32 s29, s15, s29
	s_load_dword s27, s[28:29], 0x0
	s_lshl_b32 s28, s35, 2
	v_mov_b32_e32 v6, s28
	ds_read_b32 v6, v6 offset:256
	s_mov_b64 s[28:29], -1
	s_waitcnt lgkmcnt(0)
	s_sub_i32 s39, s27, s17
                                        ; implicit-def: $sgpr27
                                        ; implicit-def: $sgpr38
                                        ; implicit-def: $sgpr37
	v_cmp_ge_i32_e32 vcc, s39, v6
	v_readfirstlane_b32 s36, v6
	s_cbranch_vccz .LBB23_27
; %bb.22:                               ;   in Loop: Header=BB23_21 Depth=2
	s_cmp_le_i32 s39, s36
                                        ; implicit-def: $sgpr27
                                        ; implicit-def: $sgpr38
                                        ; implicit-def: $sgpr37
	s_cbranch_scc0 .LBB23_24
; %bb.23:                               ;   in Loop: Header=BB23_21 Depth=2
	s_add_i32 s27, s35, s31
	s_mul_i32 s27, s27, 9
	s_lshl_b32 s28, s34, 2
	v_mov_b32_e32 v7, s27
	s_mul_i32 s27, s26, 9
	v_mov_b32_e32 v6, s28
	v_mov_b32_e32 v8, s27
	ds_write2_b32 v6, v8, v7 offset1:32
	s_add_i32 s37, s35, 1
	s_add_i32 s38, s26, 1
	;; [unrolled: 1-line block ×3, first 2 shown]
	s_mov_b64 s[28:29], 0
.LBB23_24:                              ;   in Loop: Header=BB23_21 Depth=2
	s_andn2_b64 vcc, exec, s[28:29]
	s_cbranch_vccnz .LBB23_26
; %bb.25:                               ;   in Loop: Header=BB23_21 Depth=2
	s_add_i32 s37, s35, 1
	s_mov_b32 s27, s34
	s_mov_b32 s38, s26
.LBB23_26:                              ;   in Loop: Header=BB23_21 Depth=2
	s_mov_b64 s[28:29], 0
.LBB23_27:                              ;   in Loop: Header=BB23_21 Depth=2
	s_andn2_b64 vcc, exec, s[28:29]
	s_cbranch_vccnz .LBB23_29
; %bb.28:                               ;   in Loop: Header=BB23_21 Depth=2
	s_add_i32 s38, s26, 1
	s_mov_b32 s37, s35
	s_mov_b32 s27, s34
.LBB23_29:                              ;   in Loop: Header=BB23_21 Depth=2
	s_cmp_le_i32 s38, s25
	s_cselect_b64 s[28:29], -1, 0
	s_cmp_le_i32 s36, s24
	s_cselect_b64 s[34:35], -1, 0
	s_and_b64 s[28:29], s[28:29], s[34:35]
	s_and_b64 vcc, exec, s[28:29]
	s_cbranch_vccz .LBB23_31
; %bb.30:                               ;   in Loop: Header=BB23_21 Depth=2
	s_mov_b32 s34, s27
	s_mov_b32 s26, s38
	;; [unrolled: 1-line block ×3, first 2 shown]
	s_branch .LBB23_21
.LBB23_31:                              ;   in Loop: Header=BB23_18 Depth=1
	s_add_u32 s22, s6, s22
	s_addc_u32 s23, s7, s23
	s_waitcnt lgkmcnt(0)
.LBB23_32:                              ;   Parent Loop BB23_18 Depth=1
                                        ; =>  This Inner Loop Header: Depth=2
	global_load_dword v6, v0, s[22:23] sc1
	s_waitcnt vmcnt(0)
	v_cmp_eq_u32_e32 vcc, 0, v6
	s_cbranch_vccnz .LBB23_32
; %bb.33:                               ;   in Loop: Header=BB23_18 Depth=1
	v_mad_u64_u32 v[6:7], s[22:23], s25, 9, v[2:3]
	v_ashrrev_i32_e32 v7, 31, v6
	v_lshl_add_u64 v[6:7], v[6:7], 3, s[18:19]
	buffer_inv sc1
	global_load_dwordx2 v[6:7], v[6:7], off
	s_cmp_lt_i32 s27, 2
	s_waitcnt vmcnt(0)
	ds_write_b64 v20, v[6:7]
	v_mov_b64_e32 v[6:7], 0
	s_waitcnt lgkmcnt(0)
	s_cbranch_scc1 .LBB23_53
; %bb.34:                               ;   in Loop: Header=BB23_18 Depth=1
	s_add_i32 s24, s27, -1
	s_cmp_eq_u32 s27, 2
	s_cbranch_scc1 .LBB23_46
; %bb.35:                               ;   in Loop: Header=BB23_18 Depth=1
	s_and_b32 s25, s24, -2
	s_mov_b32 s26, 0
	v_mov_b64_e32 v[6:7], 0
	s_mov_b32 s27, 0
	s_branch .LBB23_37
.LBB23_36:                              ;   in Loop: Header=BB23_37 Depth=2
	s_add_i32 s27, s27, 2
	s_add_i32 s26, s26, 8
	s_cmp_eq_u32 s25, s27
	s_cbranch_scc1 .LBB23_47
.LBB23_37:                              ;   Parent Loop BB23_18 Depth=1
                                        ; =>  This Inner Loop Header: Depth=2
	v_mov_b32_e32 v8, s26
	s_waitcnt lgkmcnt(0)
	ds_read2_b32 v[10:11], v8 offset1:32
	s_mov_b64 s[22:23], -1
	s_and_b64 vcc, exec, s[2:3]
                                        ; implicit-def: $vgpr8_vgpr9
	s_cbranch_vccz .LBB23_39
; %bb.38:                               ;   in Loop: Header=BB23_37 Depth=2
	s_waitcnt lgkmcnt(0)
	v_add_u32_e32 v8, v10, v12
	v_ashrrev_i32_e32 v9, 31, v8
	v_add_u32_e32 v30, v11, v13
	v_add_u32_e32 v32, v21, v10
	;; [unrolled: 1-line block ×3, first 2 shown]
	v_lshl_add_u64 v[8:9], v[8:9], 3, s[18:19]
	v_ashrrev_i32_e32 v31, 31, v30
	v_ashrrev_i32_e32 v33, 31, v32
	v_ashrrev_i32_e32 v35, 31, v34
	v_lshl_add_u64 v[30:31], v[30:31], 3, s[18:19]
	v_lshl_add_u64 v[32:33], v[32:33], 3, s[18:19]
	;; [unrolled: 1-line block ×3, first 2 shown]
	global_load_dwordx2 v[36:37], v[8:9], off
	global_load_dwordx2 v[38:39], v[30:31], off
	;; [unrolled: 1-line block ×4, first 2 shown]
	v_add_u32_e32 v8, v23, v10
	v_ashrrev_i32_e32 v9, 31, v8
	v_add_u32_e32 v30, v24, v11
	v_lshl_add_u64 v[8:9], v[8:9], 3, s[18:19]
	v_ashrrev_i32_e32 v31, 31, v30
	v_lshl_add_u64 v[30:31], v[30:31], 3, s[18:19]
	global_load_dwordx2 v[32:33], v[8:9], off
	global_load_dwordx2 v[34:35], v[30:31], off
	s_mov_b64 s[22:23], 0
	s_waitcnt vmcnt(4)
	v_fma_f64 v[8:9], v[36:37], v[38:39], v[6:7]
	s_waitcnt vmcnt(2)
	v_fmac_f64_e32 v[8:9], v[40:41], v[42:43]
	s_waitcnt vmcnt(0)
	v_fmac_f64_e32 v[8:9], v[32:33], v[34:35]
.LBB23_39:                              ;   in Loop: Header=BB23_37 Depth=2
	s_andn2_b64 vcc, exec, s[22:23]
	s_cbranch_vccnz .LBB23_41
; %bb.40:                               ;   in Loop: Header=BB23_37 Depth=2
	s_waitcnt lgkmcnt(0)
	v_add_u32_e32 v8, v10, v1
	v_ashrrev_i32_e32 v9, 31, v8
	v_lshl_add_u64 v[34:35], v[8:9], 3, s[18:19]
	v_add_u32_e32 v8, v11, v15
	v_ashrrev_i32_e32 v9, 31, v8
	v_lshl_add_u64 v[36:37], v[8:9], 3, s[18:19]
	global_load_dwordx4 v[8:11], v[36:37], off
	global_load_dwordx4 v[30:33], v[34:35], off
	global_load_dwordx2 v[38:39], v[34:35], off offset:16
	global_load_dwordx2 v[40:41], v[36:37], off offset:16
	s_waitcnt vmcnt(2)
	v_fmac_f64_e32 v[6:7], v[30:31], v[8:9]
	v_fmac_f64_e32 v[6:7], v[32:33], v[10:11]
	s_waitcnt vmcnt(0)
	v_fmac_f64_e32 v[6:7], v[38:39], v[40:41]
	v_mov_b64_e32 v[8:9], v[6:7]
.LBB23_41:                              ;   in Loop: Header=BB23_37 Depth=2
	v_mov_b32_e32 v6, s26
	s_waitcnt lgkmcnt(0)
	ds_read2_b32 v[10:11], v6 offset0:1 offset1:33
	s_andn2_b64 vcc, exec, s[2:3]
	s_mov_b64 s[22:23], -1
                                        ; implicit-def: $vgpr6_vgpr7
	s_cbranch_vccnz .LBB23_43
; %bb.42:                               ;   in Loop: Header=BB23_37 Depth=2
	s_waitcnt lgkmcnt(0)
	v_add_u32_e32 v6, v10, v12
	v_ashrrev_i32_e32 v7, 31, v6
	v_add_u32_e32 v30, v11, v13
	v_add_u32_e32 v32, v21, v10
	;; [unrolled: 1-line block ×3, first 2 shown]
	v_lshl_add_u64 v[6:7], v[6:7], 3, s[18:19]
	v_ashrrev_i32_e32 v31, 31, v30
	v_ashrrev_i32_e32 v33, 31, v32
	;; [unrolled: 1-line block ×3, first 2 shown]
	v_lshl_add_u64 v[30:31], v[30:31], 3, s[18:19]
	v_lshl_add_u64 v[32:33], v[32:33], 3, s[18:19]
	v_lshl_add_u64 v[34:35], v[34:35], 3, s[18:19]
	global_load_dwordx2 v[36:37], v[6:7], off
	global_load_dwordx2 v[38:39], v[30:31], off
	;; [unrolled: 1-line block ×4, first 2 shown]
	v_add_u32_e32 v6, v23, v10
	v_ashrrev_i32_e32 v7, 31, v6
	v_add_u32_e32 v30, v24, v11
	v_lshl_add_u64 v[6:7], v[6:7], 3, s[18:19]
	v_ashrrev_i32_e32 v31, 31, v30
	v_lshl_add_u64 v[30:31], v[30:31], 3, s[18:19]
	global_load_dwordx2 v[32:33], v[6:7], off
	global_load_dwordx2 v[34:35], v[30:31], off
	s_mov_b64 s[22:23], 0
	s_waitcnt vmcnt(4)
	v_fma_f64 v[6:7], v[36:37], v[38:39], v[8:9]
	s_waitcnt vmcnt(2)
	v_fmac_f64_e32 v[6:7], v[40:41], v[42:43]
	s_waitcnt vmcnt(0)
	v_fmac_f64_e32 v[6:7], v[32:33], v[34:35]
.LBB23_43:                              ;   in Loop: Header=BB23_37 Depth=2
	s_andn2_b64 vcc, exec, s[22:23]
	s_cbranch_vccnz .LBB23_36
; %bb.44:                               ;   in Loop: Header=BB23_37 Depth=2
	s_waitcnt lgkmcnt(0)
	v_add_u32_e32 v6, v10, v1
	v_add_u32_e32 v10, v11, v15
	v_ashrrev_i32_e32 v11, 31, v10
	v_ashrrev_i32_e32 v7, 31, v6
	v_lshl_add_u64 v[10:11], v[10:11], 3, s[18:19]
	v_lshl_add_u64 v[6:7], v[6:7], 3, s[18:19]
	global_load_dwordx4 v[30:33], v[10:11], off
	global_load_dwordx4 v[34:37], v[6:7], off
	global_load_dwordx2 v[38:39], v[6:7], off offset:16
	global_load_dwordx2 v[40:41], v[10:11], off offset:16
	s_waitcnt vmcnt(2)
	v_fmac_f64_e32 v[8:9], v[34:35], v[30:31]
	v_fmac_f64_e32 v[8:9], v[36:37], v[32:33]
	s_waitcnt vmcnt(0)
	v_fmac_f64_e32 v[8:9], v[38:39], v[40:41]
	v_mov_b64_e32 v[6:7], v[8:9]
	s_branch .LBB23_36
.LBB23_45:                              ;   in Loop: Header=BB23_18 Depth=1
                                        ; implicit-def: $sgpr20
	s_cbranch_execz .LBB23_18
	s_branch .LBB23_64
.LBB23_46:                              ;   in Loop: Header=BB23_18 Depth=1
	v_mov_b64_e32 v[6:7], 0
	s_mov_b32 s25, 0
.LBB23_47:                              ;   in Loop: Header=BB23_18 Depth=1
	s_bitcmp0_b32 s24, 0
	s_cbranch_scc1 .LBB23_53
; %bb.48:                               ;   in Loop: Header=BB23_18 Depth=1
	s_lshl_b32 s22, s25, 2
	v_mov_b32_e32 v8, s22
	ds_read2_b32 v[8:9], v8 offset1:32
	s_andn2_b64 vcc, exec, s[2:3]
	s_mov_b64 s[22:23], -1
                                        ; implicit-def: $vgpr10_vgpr11
	s_cbranch_vccnz .LBB23_50
; %bb.49:                               ;   in Loop: Header=BB23_18 Depth=1
	s_waitcnt lgkmcnt(0)
	v_add_u32_e32 v10, v8, v12
	v_ashrrev_i32_e32 v11, 31, v10
	v_add_u32_e32 v30, v9, v13
	v_add_u32_e32 v32, v21, v8
	v_add_u32_e32 v34, v22, v9
	v_lshl_add_u64 v[10:11], v[10:11], 3, s[18:19]
	v_ashrrev_i32_e32 v31, 31, v30
	v_ashrrev_i32_e32 v33, 31, v32
	;; [unrolled: 1-line block ×3, first 2 shown]
	v_lshl_add_u64 v[30:31], v[30:31], 3, s[18:19]
	v_lshl_add_u64 v[32:33], v[32:33], 3, s[18:19]
	v_lshl_add_u64 v[34:35], v[34:35], 3, s[18:19]
	global_load_dwordx2 v[36:37], v[10:11], off
	global_load_dwordx2 v[38:39], v[30:31], off
	;; [unrolled: 1-line block ×4, first 2 shown]
	v_add_u32_e32 v10, v23, v8
	v_ashrrev_i32_e32 v11, 31, v10
	v_add_u32_e32 v30, v24, v9
	v_lshl_add_u64 v[10:11], v[10:11], 3, s[18:19]
	v_ashrrev_i32_e32 v31, 31, v30
	v_lshl_add_u64 v[30:31], v[30:31], 3, s[18:19]
	global_load_dwordx2 v[32:33], v[10:11], off
	global_load_dwordx2 v[34:35], v[30:31], off
	s_mov_b64 s[22:23], 0
	s_waitcnt vmcnt(4)
	v_fma_f64 v[10:11], v[36:37], v[38:39], v[6:7]
	s_waitcnt vmcnt(2)
	v_fmac_f64_e32 v[10:11], v[40:41], v[42:43]
	s_waitcnt vmcnt(0)
	v_fmac_f64_e32 v[10:11], v[32:33], v[34:35]
.LBB23_50:                              ;   in Loop: Header=BB23_18 Depth=1
	s_andn2_b64 vcc, exec, s[22:23]
	s_cbranch_vccnz .LBB23_52
; %bb.51:                               ;   in Loop: Header=BB23_18 Depth=1
	s_waitcnt lgkmcnt(0)
	v_add_u32_e32 v10, v8, v1
	v_add_u32_e32 v8, v9, v15
	v_ashrrev_i32_e32 v9, 31, v8
	v_ashrrev_i32_e32 v11, 31, v10
	v_lshl_add_u64 v[36:37], v[8:9], 3, s[18:19]
	v_lshl_add_u64 v[34:35], v[10:11], 3, s[18:19]
	global_load_dwordx4 v[8:11], v[36:37], off
	global_load_dwordx4 v[30:33], v[34:35], off
	global_load_dwordx2 v[38:39], v[34:35], off offset:16
	global_load_dwordx2 v[40:41], v[36:37], off offset:16
	s_waitcnt vmcnt(2)
	v_fmac_f64_e32 v[6:7], v[30:31], v[8:9]
	v_fmac_f64_e32 v[6:7], v[32:33], v[10:11]
	s_waitcnt vmcnt(0)
	v_fmac_f64_e32 v[6:7], v[38:39], v[40:41]
	v_mov_b64_e32 v[10:11], v[6:7]
.LBB23_52:                              ;   in Loop: Header=BB23_18 Depth=1
	s_waitcnt lgkmcnt(1)
	v_mov_b64_e32 v[6:7], v[10:11]
.LBB23_53:                              ;   in Loop: Header=BB23_18 Depth=1
	ds_write_b64 v26, v[6:7]
	s_waitcnt lgkmcnt(0)
	ds_read_b64 v[8:9], v0 offset:384
	ds_read_b64 v[6:7], v18
	s_waitcnt lgkmcnt(1)
	v_cmp_neq_f64_e32 vcc, 0, v[8:9]
	s_nop 1
	v_cndmask_b32_e32 v9, v28, v9, vcc
	s_nor_b64 s[24:25], vcc, s[0:1]
	v_cndmask_b32_e32 v8, 0, v8, vcc
	s_and_saveexec_b64 s[22:23], s[24:25]
	s_cbranch_execz .LBB23_57
; %bb.54:                               ;   in Loop: Header=BB23_18 Depth=1
	v_mbcnt_lo_u32_b32 v8, exec_lo, 0
	v_mbcnt_hi_u32_b32 v8, exec_hi, v8
	v_cmp_eq_u32_e32 vcc, 0, v8
	s_and_saveexec_b64 s[24:25], vcc
	s_cbranch_execz .LBB23_56
; %bb.55:                               ;   in Loop: Header=BB23_18 Depth=1
	v_mov_b32_e32 v8, s21
	global_atomic_smin v0, v8, s[10:11]
.LBB23_56:                              ;   in Loop: Header=BB23_18 Depth=1
	s_or_b64 exec, exec, s[24:25]
	v_mov_b64_e32 v[8:9], 1.0
.LBB23_57:                              ;   in Loop: Header=BB23_18 Depth=1
	s_or_b64 exec, exec, s[22:23]
	ds_read_b64 v[10:11], v25
	s_waitcnt lgkmcnt(0)
	v_add_f64 v[6:7], v[6:7], -v[10:11]
	v_div_scale_f64 v[10:11], s[22:23], v[8:9], v[8:9], v[6:7]
	v_rcp_f64_e32 v[30:31], v[10:11]
	v_div_scale_f64 v[32:33], vcc, v[6:7], v[8:9], v[6:7]
	v_fma_f64 v[34:35], -v[10:11], v[30:31], 1.0
	v_fmac_f64_e32 v[30:31], v[30:31], v[34:35]
	v_fma_f64 v[34:35], -v[10:11], v[30:31], 1.0
	v_fmac_f64_e32 v[30:31], v[30:31], v[34:35]
	v_mul_f64 v[34:35], v[32:33], v[30:31]
	v_fma_f64 v[10:11], -v[10:11], v[34:35], v[32:33]
	v_div_fmas_f64 v[10:11], v[10:11], v[30:31], v[34:35]
	v_div_fixup_f64 v[6:7], v[10:11], v[8:9], v[6:7]
	ds_write_b64 v18, v[6:7]
	s_waitcnt lgkmcnt(0)
	ds_read_b64 v[8:9], v27
	ds_read_b64 v[10:11], v16
	s_waitcnt lgkmcnt(0)
	v_fmac_f64_e32 v[10:11], v[6:7], v[8:9]
	ds_write_b64 v16, v[10:11]
	s_waitcnt lgkmcnt(0)
	ds_read_b64 v[8:9], v0 offset:424
	ds_read_b64 v[6:7], v18 offset:8
	s_waitcnt lgkmcnt(1)
	v_cmp_neq_f64_e32 vcc, 0, v[8:9]
	s_nop 1
	v_cndmask_b32_e32 v9, v28, v9, vcc
	s_nor_b64 s[24:25], vcc, s[0:1]
	v_cndmask_b32_e32 v8, 0, v8, vcc
	s_and_saveexec_b64 s[22:23], s[24:25]
	s_cbranch_execz .LBB23_61
; %bb.58:                               ;   in Loop: Header=BB23_18 Depth=1
	v_mbcnt_lo_u32_b32 v8, exec_lo, 0
	v_mbcnt_hi_u32_b32 v8, exec_hi, v8
	v_cmp_eq_u32_e32 vcc, 0, v8
	s_and_saveexec_b64 s[24:25], vcc
	s_cbranch_execz .LBB23_60
; %bb.59:                               ;   in Loop: Header=BB23_18 Depth=1
	v_mov_b32_e32 v8, s21
	global_atomic_smin v0, v8, s[10:11]
.LBB23_60:                              ;   in Loop: Header=BB23_18 Depth=1
	s_or_b64 exec, exec, s[24:25]
	v_mov_b64_e32 v[8:9], 1.0
.LBB23_61:                              ;   in Loop: Header=BB23_18 Depth=1
	s_or_b64 exec, exec, s[22:23]
	ds_read_b64 v[10:11], v0 offset:416
	ds_read_b64 v[30:31], v18
	ds_read_b64 v[32:33], v25 offset:8
	s_waitcnt lgkmcnt(0)
	v_fmac_f64_e32 v[32:33], v[10:11], v[30:31]
	v_add_f64 v[6:7], v[6:7], -v[32:33]
	v_div_scale_f64 v[10:11], s[22:23], v[8:9], v[8:9], v[6:7]
	v_rcp_f64_e32 v[30:31], v[10:11]
	v_div_scale_f64 v[32:33], vcc, v[6:7], v[8:9], v[6:7]
	v_fma_f64 v[34:35], -v[10:11], v[30:31], 1.0
	v_fmac_f64_e32 v[30:31], v[30:31], v[34:35]
	v_fma_f64 v[34:35], -v[10:11], v[30:31], 1.0
	v_fmac_f64_e32 v[30:31], v[30:31], v[34:35]
	v_mul_f64 v[34:35], v[32:33], v[30:31]
	v_fma_f64 v[10:11], -v[10:11], v[34:35], v[32:33]
	v_div_fmas_f64 v[10:11], v[10:11], v[30:31], v[34:35]
	v_div_fixup_f64 v[6:7], v[10:11], v[8:9], v[6:7]
	ds_write_b64 v18, v[6:7] offset:8
	s_waitcnt lgkmcnt(0)
	ds_read_b64 v[8:9], v27 offset:8
	ds_read_b64 v[10:11], v16
	s_waitcnt lgkmcnt(0)
	v_fmac_f64_e32 v[10:11], v[6:7], v[8:9]
	ds_write_b64 v16, v[10:11]
	s_waitcnt lgkmcnt(0)
	ds_read_b64 v[8:9], v0 offset:464
	ds_read_b64 v[6:7], v18 offset:16
	s_waitcnt lgkmcnt(1)
	v_cmp_neq_f64_e32 vcc, 0, v[8:9]
	s_nop 1
	v_cndmask_b32_e32 v9, v28, v9, vcc
	s_nor_b64 s[24:25], vcc, s[0:1]
	v_cndmask_b32_e32 v8, 0, v8, vcc
	s_and_saveexec_b64 s[22:23], s[24:25]
	s_cbranch_execz .LBB23_17
; %bb.62:                               ;   in Loop: Header=BB23_18 Depth=1
	v_mbcnt_lo_u32_b32 v8, exec_lo, 0
	v_mbcnt_hi_u32_b32 v8, exec_hi, v8
	v_cmp_eq_u32_e32 vcc, 0, v8
	s_and_saveexec_b64 s[24:25], vcc
	s_cbranch_execz .LBB23_16
; %bb.63:                               ;   in Loop: Header=BB23_18 Depth=1
	v_mov_b32_e32 v8, s21
	global_atomic_smin v0, v8, s[10:11]
	s_branch .LBB23_16
.LBB23_64:
	s_cmp_lg_u32 s33, 0
	s_cselect_b64 s[4:5], -1, 0
	s_cmp_eq_u32 s33, 0
	v_mov_b32_e32 v0, v14
	s_cbranch_scc1 .LBB23_66
; %bb.65:
	v_mad_u32_u24 v0, v12, 3, v13
.LBB23_66:
	s_mul_i32 s30, s30, 9
	v_add_u32_e32 v0, s30, v0
	v_ashrrev_i32_e32 v1, 31, v0
	v_lshl_add_u64 v[0:1], v[0:1], 3, s[18:19]
	global_load_dwordx2 v[0:1], v[0:1], off
	v_mov_b32_e32 v2, 0x240
	v_lshl_add_u32 v4, v13, 5, v2
	v_cmp_ne_u32_e32 vcc, 0, v13
	v_lshl_add_u32 v2, v12, 3, v4
	v_cmp_eq_u32_e64 s[0:1], 0, v13
	s_waitcnt vmcnt(0)
	ds_write_b64 v2, v[0:1]
	s_waitcnt lgkmcnt(0)
	s_and_saveexec_b64 s[2:3], s[0:1]
	s_cbranch_execz .LBB23_68
; %bb.67:
	v_mov_b32_e32 v5, 0
	ds_read2_b64 v[6:9], v5 offset0:72 offset1:84
	s_mov_b32 s12, 0
	s_brev_b32 s13, 8
	v_mov_b32_e32 v15, 0x260
	s_waitcnt lgkmcnt(0)
	v_add_f64 v[0:1], v[6:7], -v[8:9]
	v_xor_b32_e32 v6, 0x80000000, v1
	v_cmp_gt_f64_e64 s[0:1], 0, v[0:1]
	s_nop 1
	v_cndmask_b32_e64 v1, v1, v6, s[0:1]
	v_cmp_gt_f64_e64 s[0:1], s[12:13], v[0:1]
	s_and_b64 s[0:1], s[0:1], exec
	s_cselect_b32 s0, 0x100, 0
	v_ldexp_f64 v[0:1], v[0:1], s0
	v_rsq_f64_e32 v[6:7], v[0:1]
	s_cselect_b32 s0, 0xffffff80, 0
	v_mul_f64 v[8:9], v[0:1], v[6:7]
	v_mul_f64 v[6:7], v[6:7], 0.5
	v_fma_f64 v[10:11], -v[6:7], v[8:9], 0.5
	v_fmac_f64_e32 v[8:9], v[8:9], v[10:11]
	v_fmac_f64_e32 v[6:7], v[6:7], v[10:11]
	v_fma_f64 v[10:11], -v[8:9], v[8:9], v[0:1]
	v_fmac_f64_e32 v[8:9], v[10:11], v[6:7]
	v_fma_f64 v[10:11], -v[8:9], v[8:9], v[0:1]
	v_fmac_f64_e32 v[8:9], v[10:11], v[6:7]
	v_ldexp_f64 v[6:7], v[8:9], s0
	v_cmp_class_f64_e64 s[0:1], v[0:1], v15
	s_nop 1
	v_cndmask_b32_e64 v1, v7, v1, s[0:1]
	v_cndmask_b32_e64 v0, v6, v0, s[0:1]
	ds_write_b64 v5, v[0:1] offset:576
.LBB23_68:
	s_or_b64 exec, exec, s[2:3]
	v_mov_b32_e32 v0, 0
	s_waitcnt lgkmcnt(0)
	ds_read_b64 v[0:1], v0 offset:576
	v_or_b32_e32 v5, v12, v13
	v_cmp_ne_u32_e64 s[0:1], 0, v5
	v_mov_b32_e32 v6, 0x3ff00000
	s_add_i32 s20, s16, s17
	s_waitcnt lgkmcnt(0)
	v_cmp_neq_f64_e64 s[2:3], 0, v[0:1]
	s_nor_b64 s[14:15], s[2:3], s[0:1]
	s_nop 0
	v_cndmask_b32_e64 v1, v6, v1, s[2:3]
	v_cndmask_b32_e64 v0, 0, v0, s[2:3]
	s_and_saveexec_b64 s[12:13], s[14:15]
	s_cbranch_execz .LBB23_72
; %bb.69:
	v_mbcnt_lo_u32_b32 v0, exec_lo, 0
	v_mbcnt_hi_u32_b32 v0, exec_hi, v0
	v_cmp_eq_u32_e64 s[2:3], 0, v0
	s_and_saveexec_b64 s[14:15], s[2:3]
	s_cbranch_execz .LBB23_71
; %bb.70:
	v_mov_b32_e32 v0, 0
	v_mov_b32_e32 v1, s20
	global_atomic_smin v0, v1, s[10:11]
.LBB23_71:
	s_or_b64 exec, exec, s[14:15]
	v_mov_b64_e32 v[0:1], 1.0
.LBB23_72:
	s_or_b64 exec, exec, s[12:13]
	v_mov_b32_e32 v6, 0x240
	v_lshl_add_u32 v6, v12, 5, v6
	s_and_saveexec_b64 s[2:3], vcc
	s_cbranch_execz .LBB23_74
; %bb.73:
	ds_read_b64 v[8:9], v4
	ds_read_b64 v[10:11], v17
	s_waitcnt lgkmcnt(0)
	v_add_f64 v[8:9], v[8:9], -v[10:11]
	v_div_scale_f64 v[10:11], s[12:13], v[0:1], v[0:1], v[8:9]
	v_rcp_f64_e32 v[18:19], v[10:11]
	v_div_scale_f64 v[20:21], vcc, v[8:9], v[0:1], v[8:9]
	v_fma_f64 v[22:23], -v[10:11], v[18:19], 1.0
	v_fmac_f64_e32 v[18:19], v[18:19], v[22:23]
	v_fma_f64 v[22:23], -v[10:11], v[18:19], 1.0
	v_fmac_f64_e32 v[18:19], v[18:19], v[22:23]
	v_mul_f64 v[22:23], v[20:21], v[18:19]
	v_fma_f64 v[10:11], -v[10:11], v[22:23], v[20:21]
	v_div_fmas_f64 v[10:11], v[10:11], v[18:19], v[22:23]
	v_div_fixup_f64 v[0:1], v[10:11], v[0:1], v[8:9]
	ds_write_b64 v4, v[0:1]
	s_waitcnt lgkmcnt(0)
	ds_read_b64 v[8:9], v6
	ds_read_b64 v[10:11], v16
	s_waitcnt lgkmcnt(0)
	v_fmac_f64_e32 v[10:11], v[0:1], v[8:9]
	ds_write_b64 v16, v[10:11]
.LBB23_74:
	s_or_b64 exec, exec, s[2:3]
	v_cmp_eq_u32_e32 vcc, 1, v13
	s_waitcnt lgkmcnt(0)
	s_and_saveexec_b64 s[2:3], vcc
	s_cbranch_execz .LBB23_76
; %bb.75:
	v_mov_b32_e32 v7, 0
	ds_read2_b64 v[8:11], v7 offset0:77 offset1:89
	s_mov_b32 s12, 0
	s_brev_b32 s13, 8
	v_mov_b32_e32 v15, 0x260
	s_waitcnt lgkmcnt(0)
	v_add_f64 v[0:1], v[8:9], -v[10:11]
	v_xor_b32_e32 v8, 0x80000000, v1
	v_cmp_gt_f64_e32 vcc, 0, v[0:1]
	s_nop 1
	v_cndmask_b32_e32 v1, v1, v8, vcc
	v_cmp_gt_f64_e32 vcc, s[12:13], v[0:1]
	s_and_b64 s[12:13], vcc, exec
	s_cselect_b32 s12, 0x100, 0
	v_ldexp_f64 v[0:1], v[0:1], s12
	v_rsq_f64_e32 v[8:9], v[0:1]
	s_cselect_b32 s12, 0xffffff80, 0
	v_cmp_class_f64_e32 vcc, v[0:1], v15
	v_mul_f64 v[10:11], v[0:1], v[8:9]
	v_mul_f64 v[8:9], v[8:9], 0.5
	v_fma_f64 v[18:19], -v[8:9], v[10:11], 0.5
	v_fmac_f64_e32 v[10:11], v[10:11], v[18:19]
	v_fmac_f64_e32 v[8:9], v[8:9], v[18:19]
	v_fma_f64 v[18:19], -v[10:11], v[10:11], v[0:1]
	v_fmac_f64_e32 v[10:11], v[18:19], v[8:9]
	v_fma_f64 v[18:19], -v[10:11], v[10:11], v[0:1]
	v_fmac_f64_e32 v[10:11], v[18:19], v[8:9]
	v_ldexp_f64 v[8:9], v[10:11], s12
	v_cndmask_b32_e32 v1, v9, v1, vcc
	v_cndmask_b32_e32 v0, v8, v0, vcc
	ds_write_b64 v7, v[0:1] offset:616
.LBB23_76:
	s_or_b64 exec, exec, s[2:3]
	v_mov_b32_e32 v0, 0
	s_waitcnt lgkmcnt(0)
	ds_read_b64 v[0:1], v0 offset:616
	v_mov_b32_e32 v7, 0x3ff00000
	s_waitcnt lgkmcnt(0)
	v_cmp_neq_f64_e32 vcc, 0, v[0:1]
	s_nop 1
	v_cndmask_b32_e32 v1, v7, v1, vcc
	s_nor_b64 s[12:13], vcc, s[0:1]
	v_cndmask_b32_e32 v0, 0, v0, vcc
	s_and_saveexec_b64 s[2:3], s[12:13]
	s_cbranch_execz .LBB23_80
; %bb.77:
	v_mbcnt_lo_u32_b32 v0, exec_lo, 0
	v_mbcnt_hi_u32_b32 v0, exec_hi, v0
	v_cmp_eq_u32_e32 vcc, 0, v0
	s_and_saveexec_b64 s[12:13], vcc
	s_cbranch_execz .LBB23_79
; %bb.78:
	v_mov_b32_e32 v0, 0
	v_mov_b32_e32 v1, s20
	global_atomic_smin v0, v1, s[10:11]
.LBB23_79:
	s_or_b64 exec, exec, s[12:13]
	v_mov_b64_e32 v[0:1], 1.0
.LBB23_80:
	s_or_b64 exec, exec, s[2:3]
	v_cmp_lt_u32_e32 vcc, 1, v13
	s_and_saveexec_b64 s[2:3], vcc
	s_cbranch_execz .LBB23_82
; %bb.81:
	ds_read_b64 v[8:9], v4 offset:8
	ds_read_b64 v[10:11], v17 offset:8
	s_waitcnt lgkmcnt(0)
	v_add_f64 v[8:9], v[8:9], -v[10:11]
	v_div_scale_f64 v[10:11], s[12:13], v[0:1], v[0:1], v[8:9]
	v_rcp_f64_e32 v[18:19], v[10:11]
	v_div_scale_f64 v[20:21], vcc, v[8:9], v[0:1], v[8:9]
	v_fma_f64 v[22:23], -v[10:11], v[18:19], 1.0
	v_fmac_f64_e32 v[18:19], v[18:19], v[22:23]
	v_fma_f64 v[22:23], -v[10:11], v[18:19], 1.0
	v_fmac_f64_e32 v[18:19], v[18:19], v[22:23]
	v_mul_f64 v[22:23], v[20:21], v[18:19]
	v_fma_f64 v[10:11], -v[10:11], v[22:23], v[20:21]
	v_div_fmas_f64 v[10:11], v[10:11], v[18:19], v[22:23]
	v_div_fixup_f64 v[0:1], v[10:11], v[0:1], v[8:9]
	ds_write_b64 v4, v[0:1] offset:8
	s_waitcnt lgkmcnt(0)
	ds_read_b64 v[8:9], v6 offset:8
	ds_read_b64 v[10:11], v16
	s_waitcnt lgkmcnt(0)
	v_fmac_f64_e32 v[10:11], v[0:1], v[8:9]
	ds_write_b64 v16, v[10:11]
.LBB23_82:
	s_or_b64 exec, exec, s[2:3]
	v_cmp_eq_u32_e32 vcc, 2, v13
	s_waitcnt lgkmcnt(0)
	s_and_saveexec_b64 s[2:3], vcc
	s_cbranch_execz .LBB23_84
; %bb.83:
	v_mov_b32_e32 v7, 0
	ds_read2_b64 v[8:11], v7 offset0:82 offset1:94
	s_mov_b32 s12, 0
	s_brev_b32 s13, 8
	v_mov_b32_e32 v15, 0x260
	s_waitcnt lgkmcnt(0)
	v_add_f64 v[0:1], v[8:9], -v[10:11]
	v_xor_b32_e32 v8, 0x80000000, v1
	v_cmp_gt_f64_e32 vcc, 0, v[0:1]
	s_nop 1
	v_cndmask_b32_e32 v1, v1, v8, vcc
	v_cmp_gt_f64_e32 vcc, s[12:13], v[0:1]
	s_and_b64 s[12:13], vcc, exec
	s_cselect_b32 s12, 0x100, 0
	v_ldexp_f64 v[0:1], v[0:1], s12
	v_rsq_f64_e32 v[8:9], v[0:1]
	s_cselect_b32 s12, 0xffffff80, 0
	v_cmp_class_f64_e32 vcc, v[0:1], v15
	v_mul_f64 v[10:11], v[0:1], v[8:9]
	v_mul_f64 v[8:9], v[8:9], 0.5
	v_fma_f64 v[18:19], -v[8:9], v[10:11], 0.5
	v_fmac_f64_e32 v[10:11], v[10:11], v[18:19]
	v_fmac_f64_e32 v[8:9], v[8:9], v[18:19]
	v_fma_f64 v[18:19], -v[10:11], v[10:11], v[0:1]
	v_fmac_f64_e32 v[10:11], v[18:19], v[8:9]
	v_fma_f64 v[18:19], -v[10:11], v[10:11], v[0:1]
	v_fmac_f64_e32 v[10:11], v[18:19], v[8:9]
	v_ldexp_f64 v[8:9], v[10:11], s12
	v_cndmask_b32_e32 v1, v9, v1, vcc
	v_cndmask_b32_e32 v0, v8, v0, vcc
	ds_write_b64 v7, v[0:1] offset:656
.LBB23_84:
	s_or_b64 exec, exec, s[2:3]
	v_mov_b32_e32 v0, 0
	s_waitcnt lgkmcnt(0)
	ds_read_b64 v[0:1], v0 offset:656
	v_mov_b32_e32 v7, 0x3ff00000
	s_waitcnt lgkmcnt(0)
	v_cmp_neq_f64_e32 vcc, 0, v[0:1]
	s_nop 1
	v_cndmask_b32_e32 v1, v7, v1, vcc
	s_nor_b64 s[2:3], vcc, s[0:1]
	v_cndmask_b32_e32 v0, 0, v0, vcc
	s_and_saveexec_b64 s[0:1], s[2:3]
	s_cbranch_execz .LBB23_88
; %bb.85:
	v_mbcnt_lo_u32_b32 v0, exec_lo, 0
	v_mbcnt_hi_u32_b32 v0, exec_hi, v0
	v_cmp_eq_u32_e32 vcc, 0, v0
	s_and_saveexec_b64 s[2:3], vcc
	s_cbranch_execz .LBB23_87
; %bb.86:
	v_mov_b32_e32 v0, 0
	v_mov_b32_e32 v1, s20
	global_atomic_smin v0, v1, s[10:11]
.LBB23_87:
	s_or_b64 exec, exec, s[2:3]
	v_mov_b64_e32 v[0:1], 1.0
.LBB23_88:
	s_or_b64 exec, exec, s[0:1]
	v_cmp_lt_u32_e32 vcc, 2, v13
	s_and_saveexec_b64 s[0:1], vcc
	s_cbranch_execz .LBB23_90
; %bb.89:
	ds_read_b64 v[8:9], v4 offset:16
	ds_read_b64 v[10:11], v17 offset:16
	s_waitcnt lgkmcnt(0)
	v_add_f64 v[8:9], v[8:9], -v[10:11]
	v_div_scale_f64 v[10:11], s[2:3], v[0:1], v[0:1], v[8:9]
	v_rcp_f64_e32 v[18:19], v[10:11]
	v_div_scale_f64 v[20:21], vcc, v[8:9], v[0:1], v[8:9]
	v_fma_f64 v[22:23], -v[10:11], v[18:19], 1.0
	v_fmac_f64_e32 v[18:19], v[18:19], v[22:23]
	v_fma_f64 v[22:23], -v[10:11], v[18:19], 1.0
	v_fmac_f64_e32 v[18:19], v[18:19], v[22:23]
	v_mul_f64 v[22:23], v[20:21], v[18:19]
	v_fma_f64 v[10:11], -v[10:11], v[22:23], v[20:21]
	v_div_fmas_f64 v[10:11], v[10:11], v[18:19], v[22:23]
	v_div_fixup_f64 v[0:1], v[10:11], v[0:1], v[8:9]
	ds_write_b64 v4, v[0:1] offset:16
	s_waitcnt lgkmcnt(0)
	ds_read_b64 v[6:7], v6 offset:16
	ds_read_b64 v[8:9], v16
	s_waitcnt lgkmcnt(0)
	v_fmac_f64_e32 v[8:9], v[0:1], v[6:7]
	ds_write_b64 v16, v[8:9]
.LBB23_90:
	s_or_b64 exec, exec, s[0:1]
	s_waitcnt lgkmcnt(0)
	ds_read_b64 v[0:1], v2
	s_andn2_b64 vcc, exec, s[4:5]
	s_cbranch_vccnz .LBB23_92
; %bb.91:
	v_mov_b32_e32 v14, v3
.LBB23_92:
	v_add_u32_e32 v2, s30, v14
	v_ashrrev_i32_e32 v3, 31, v2
	v_lshl_add_u64 v[2:3], v[2:3], 3, s[18:19]
	v_cmp_eq_u32_e32 vcc, 0, v5
	s_waitcnt lgkmcnt(0)
	global_store_dwordx2 v[2:3], v[0:1], off
	s_and_saveexec_b64 s[0:1], vcc
	s_cbranch_execz .LBB23_94
; %bb.93:
	s_add_u32 s2, s6, s8
	s_addc_u32 s3, s7, s9
	v_mov_b32_e32 v0, 0
	v_mov_b32_e32 v1, 1
	buffer_wbl2 sc1
	s_waitcnt vmcnt(0)
	global_store_dword v0, v1, s[2:3] sc1
.LBB23_94:
	s_or_b64 exec, exec, s[0:1]
.LBB23_95:
	s_endpgm
.LBB23_96:
	s_cbranch_execz .LBB23_95
; %bb.97:
	v_or_b32_e32 v0, v12, v13
	v_cmp_eq_u32_e32 vcc, 0, v0
	s_and_saveexec_b64 s[0:1], vcc
	s_cbranch_execz .LBB23_95
; %bb.98:
	v_mbcnt_lo_u32_b32 v0, exec_lo, 0
	v_mbcnt_hi_u32_b32 v0, exec_hi, v0
	v_cmp_eq_u32_e32 vcc, 0, v0
	s_and_saveexec_b64 s[0:1], vcc
	s_cbranch_execz .LBB23_100
; %bb.99:
	s_add_i32 s2, s16, s17
	v_mov_b32_e32 v0, 0
	v_mov_b32_e32 v1, s2
	global_atomic_smin v0, v1, s[10:11]
.LBB23_100:
	s_or_b64 exec, exec, s[0:1]
	s_add_u32 s0, s6, s8
	s_addc_u32 s1, s7, s9
	v_mov_b32_e32 v0, 0
	v_mov_b32_e32 v1, 1
	buffer_wbl2 sc1
	s_waitcnt vmcnt(0)
	global_store_dword v0, v1, s[0:1] sc1
	s_endpgm
	.section	.rodata,"a",@progbits
	.p2align	6, 0x0
	.amdhsa_kernel _ZN9rocsparseL26bsric0_2_8_unrolled_kernelILi9ELi32ELi3EdEEv20rocsparse_direction_iiPKiS3_PT2_S3_PiS3_S6_21rocsparse_index_base_
		.amdhsa_group_segment_fixed_size 768
		.amdhsa_private_segment_fixed_size 0
		.amdhsa_kernarg_size 76
		.amdhsa_user_sgpr_count 2
		.amdhsa_user_sgpr_dispatch_ptr 0
		.amdhsa_user_sgpr_queue_ptr 0
		.amdhsa_user_sgpr_kernarg_segment_ptr 1
		.amdhsa_user_sgpr_dispatch_id 0
		.amdhsa_user_sgpr_kernarg_preload_length 0
		.amdhsa_user_sgpr_kernarg_preload_offset 0
		.amdhsa_user_sgpr_private_segment_size 0
		.amdhsa_uses_dynamic_stack 0
		.amdhsa_enable_private_segment 0
		.amdhsa_system_sgpr_workgroup_id_x 1
		.amdhsa_system_sgpr_workgroup_id_y 0
		.amdhsa_system_sgpr_workgroup_id_z 0
		.amdhsa_system_sgpr_workgroup_info 0
		.amdhsa_system_vgpr_workitem_id 1
		.amdhsa_next_free_vgpr 66
		.amdhsa_next_free_sgpr 40
		.amdhsa_accum_offset 68
		.amdhsa_reserve_vcc 1
		.amdhsa_float_round_mode_32 0
		.amdhsa_float_round_mode_16_64 0
		.amdhsa_float_denorm_mode_32 3
		.amdhsa_float_denorm_mode_16_64 3
		.amdhsa_dx10_clamp 1
		.amdhsa_ieee_mode 1
		.amdhsa_fp16_overflow 0
		.amdhsa_tg_split 0
		.amdhsa_exception_fp_ieee_invalid_op 0
		.amdhsa_exception_fp_denorm_src 0
		.amdhsa_exception_fp_ieee_div_zero 0
		.amdhsa_exception_fp_ieee_overflow 0
		.amdhsa_exception_fp_ieee_underflow 0
		.amdhsa_exception_fp_ieee_inexact 0
		.amdhsa_exception_int_div_zero 0
	.end_amdhsa_kernel
	.section	.text._ZN9rocsparseL26bsric0_2_8_unrolled_kernelILi9ELi32ELi3EdEEv20rocsparse_direction_iiPKiS3_PT2_S3_PiS3_S6_21rocsparse_index_base_,"axG",@progbits,_ZN9rocsparseL26bsric0_2_8_unrolled_kernelILi9ELi32ELi3EdEEv20rocsparse_direction_iiPKiS3_PT2_S3_PiS3_S6_21rocsparse_index_base_,comdat
.Lfunc_end23:
	.size	_ZN9rocsparseL26bsric0_2_8_unrolled_kernelILi9ELi32ELi3EdEEv20rocsparse_direction_iiPKiS3_PT2_S3_PiS3_S6_21rocsparse_index_base_, .Lfunc_end23-_ZN9rocsparseL26bsric0_2_8_unrolled_kernelILi9ELi32ELi3EdEEv20rocsparse_direction_iiPKiS3_PT2_S3_PiS3_S6_21rocsparse_index_base_
                                        ; -- End function
	.set _ZN9rocsparseL26bsric0_2_8_unrolled_kernelILi9ELi32ELi3EdEEv20rocsparse_direction_iiPKiS3_PT2_S3_PiS3_S6_21rocsparse_index_base_.num_vgpr, 66
	.set _ZN9rocsparseL26bsric0_2_8_unrolled_kernelILi9ELi32ELi3EdEEv20rocsparse_direction_iiPKiS3_PT2_S3_PiS3_S6_21rocsparse_index_base_.num_agpr, 0
	.set _ZN9rocsparseL26bsric0_2_8_unrolled_kernelILi9ELi32ELi3EdEEv20rocsparse_direction_iiPKiS3_PT2_S3_PiS3_S6_21rocsparse_index_base_.numbered_sgpr, 40
	.set _ZN9rocsparseL26bsric0_2_8_unrolled_kernelILi9ELi32ELi3EdEEv20rocsparse_direction_iiPKiS3_PT2_S3_PiS3_S6_21rocsparse_index_base_.num_named_barrier, 0
	.set _ZN9rocsparseL26bsric0_2_8_unrolled_kernelILi9ELi32ELi3EdEEv20rocsparse_direction_iiPKiS3_PT2_S3_PiS3_S6_21rocsparse_index_base_.private_seg_size, 0
	.set _ZN9rocsparseL26bsric0_2_8_unrolled_kernelILi9ELi32ELi3EdEEv20rocsparse_direction_iiPKiS3_PT2_S3_PiS3_S6_21rocsparse_index_base_.uses_vcc, 1
	.set _ZN9rocsparseL26bsric0_2_8_unrolled_kernelILi9ELi32ELi3EdEEv20rocsparse_direction_iiPKiS3_PT2_S3_PiS3_S6_21rocsparse_index_base_.uses_flat_scratch, 0
	.set _ZN9rocsparseL26bsric0_2_8_unrolled_kernelILi9ELi32ELi3EdEEv20rocsparse_direction_iiPKiS3_PT2_S3_PiS3_S6_21rocsparse_index_base_.has_dyn_sized_stack, 0
	.set _ZN9rocsparseL26bsric0_2_8_unrolled_kernelILi9ELi32ELi3EdEEv20rocsparse_direction_iiPKiS3_PT2_S3_PiS3_S6_21rocsparse_index_base_.has_recursion, 0
	.set _ZN9rocsparseL26bsric0_2_8_unrolled_kernelILi9ELi32ELi3EdEEv20rocsparse_direction_iiPKiS3_PT2_S3_PiS3_S6_21rocsparse_index_base_.has_indirect_call, 0
	.section	.AMDGPU.csdata,"",@progbits
; Kernel info:
; codeLenInByte = 5800
; TotalNumSgprs: 46
; NumVgprs: 66
; NumAgprs: 0
; TotalNumVgprs: 66
; ScratchSize: 0
; MemoryBound: 1
; FloatMode: 240
; IeeeMode: 1
; LDSByteSize: 768 bytes/workgroup (compile time only)
; SGPRBlocks: 5
; VGPRBlocks: 8
; NumSGPRsForWavesPerEU: 46
; NumVGPRsForWavesPerEU: 66
; AccumOffset: 68
; Occupancy: 7
; WaveLimiterHint : 1
; COMPUTE_PGM_RSRC2:SCRATCH_EN: 0
; COMPUTE_PGM_RSRC2:USER_SGPR: 2
; COMPUTE_PGM_RSRC2:TRAP_HANDLER: 0
; COMPUTE_PGM_RSRC2:TGID_X_EN: 1
; COMPUTE_PGM_RSRC2:TGID_Y_EN: 0
; COMPUTE_PGM_RSRC2:TGID_Z_EN: 0
; COMPUTE_PGM_RSRC2:TIDIG_COMP_CNT: 1
; COMPUTE_PGM_RSRC3_GFX90A:ACCUM_OFFSET: 16
; COMPUTE_PGM_RSRC3_GFX90A:TG_SPLIT: 0
	.section	.text._ZN9rocsparseL26bsric0_2_8_unrolled_kernelILi16ELi32ELi4EdEEv20rocsparse_direction_iiPKiS3_PT2_S3_PiS3_S6_21rocsparse_index_base_,"axG",@progbits,_ZN9rocsparseL26bsric0_2_8_unrolled_kernelILi16ELi32ELi4EdEEv20rocsparse_direction_iiPKiS3_PT2_S3_PiS3_S6_21rocsparse_index_base_,comdat
	.globl	_ZN9rocsparseL26bsric0_2_8_unrolled_kernelILi16ELi32ELi4EdEEv20rocsparse_direction_iiPKiS3_PT2_S3_PiS3_S6_21rocsparse_index_base_ ; -- Begin function _ZN9rocsparseL26bsric0_2_8_unrolled_kernelILi16ELi32ELi4EdEEv20rocsparse_direction_iiPKiS3_PT2_S3_PiS3_S6_21rocsparse_index_base_
	.p2align	8
	.type	_ZN9rocsparseL26bsric0_2_8_unrolled_kernelILi16ELi32ELi4EdEEv20rocsparse_direction_iiPKiS3_PT2_S3_PiS3_S6_21rocsparse_index_base_,@function
_ZN9rocsparseL26bsric0_2_8_unrolled_kernelILi16ELi32ELi4EdEEv20rocsparse_direction_iiPKiS3_PT2_S3_PiS3_S6_21rocsparse_index_base_: ; @_ZN9rocsparseL26bsric0_2_8_unrolled_kernelILi16ELi32ELi4EdEEv20rocsparse_direction_iiPKiS3_PT2_S3_PiS3_S6_21rocsparse_index_base_
; %bb.0:
	s_load_dwordx8 s[4:11], s[0:1], 0x28
	s_mov_b32 s3, 0
	s_lshl_b64 s[2:3], s[2:3], 2
	v_and_b32_e32 v8, 0x3ff, v0
	v_bfe_u32 v9, v0, 10, 10
	s_waitcnt lgkmcnt(0)
	s_add_u32 s2, s8, s2
	s_addc_u32 s3, s9, s3
	s_load_dword s16, s[2:3], 0x0
	s_waitcnt lgkmcnt(0)
	s_ashr_i32 s17, s16, 31
	s_lshl_b64 s[8:9], s[16:17], 2
	s_add_u32 s2, s4, s8
	s_addc_u32 s3, s5, s9
	s_load_dword s30, s[2:3], 0x0
	s_load_dword s17, s[0:1], 0x48
	s_waitcnt lgkmcnt(0)
	s_cmp_lg_u32 s30, -1
	s_cbranch_scc0 .LBB24_16
; %bb.1:
	s_load_dwordx4 s[12:15], s[0:1], 0x10
	v_lshlrev_b32_e32 v14, 2, v9
	v_add_u32_e32 v13, v14, v8
	s_waitcnt lgkmcnt(0)
	s_add_u32 s2, s12, s8
	s_addc_u32 s3, s13, s9
	s_load_dword s24, s[2:3], 0x0
	s_waitcnt lgkmcnt(0)
	s_sub_i32 s31, s24, s17
	v_add_u32_e32 v0, s31, v13
	v_cmp_ge_i32_e32 vcc, s30, v0
	s_and_saveexec_b64 s[2:3], vcc
	s_cbranch_execz .LBB24_14
; %bb.2:
	v_add_u32_e32 v1, s24, v13
	v_subrev_u32_e32 v1, s17, v1
	v_add_u32_e32 v1, 16, v1
	s_add_i32 s18, s30, 1
	v_max_i32_e32 v1, s18, v1
	v_not_b32_e32 v2, v8
	v_add3_u32 v1, s17, v1, v2
	v_add_u32_e32 v2, s24, v14
	v_sub_u32_e32 v1, v1, v2
	v_cmp_lt_u32_e32 vcc, 15, v1
	s_mov_b64 s[20:21], -1
	s_and_saveexec_b64 s[18:19], vcc
	s_cbranch_execz .LBB24_11
; %bb.3:
	v_lshrrev_b32_e32 v4, 4, v1
	v_add_u32_e32 v2, -1, v4
	v_add_u32_e32 v1, 16, v0
	v_lshrrev_b32_e32 v3, 1, v2
	v_add_u32_e32 v5, 1, v3
	v_cmp_lt_u32_e32 vcc, 13, v2
	v_mov_b64_e32 v[2:3], v[0:1]
	s_and_saveexec_b64 s[20:21], vcc
	s_cbranch_execz .LBB24_7
; %bb.4:
	v_and_b32_e32 v6, -8, v5
	s_mov_b64 s[22:23], 0
	v_mov_b64_e32 v[2:3], v[0:1]
.LBB24_5:                               ; =>This Inner Loop Header: Depth=1
	v_ashrrev_i32_e32 v17, 31, v2
	v_mov_b32_e32 v16, v2
	v_ashrrev_i32_e32 v11, 31, v3
	v_mov_b32_e32 v10, v3
	v_add_u32_e32 v18, 32, v2
	v_add_u32_e32 v20, 32, v3
	v_lshl_add_u64 v[16:17], v[16:17], 2, s[14:15]
	v_add_u32_e32 v22, 64, v2
	v_add_u32_e32 v24, 64, v3
	;; [unrolled: 1-line block ×12, first 2 shown]
	v_lshl_add_u64 v[10:11], v[10:11], 2, s[14:15]
	v_ashrrev_i32_e32 v21, 31, v20
	v_ashrrev_i32_e32 v19, 31, v18
	global_load_dword v1, v[16:17], off
	global_load_dword v7, v[10:11], off
	v_ashrrev_i32_e32 v25, 31, v24
	v_ashrrev_i32_e32 v23, 31, v22
	;; [unrolled: 1-line block ×12, first 2 shown]
	v_lshl_add_u64 v[10:11], v[18:19], 2, s[14:15]
	v_lshl_add_u64 v[16:17], v[20:21], 2, s[14:15]
	;; [unrolled: 1-line block ×13, first 2 shown]
	global_load_dword v12, v[16:17], off
	v_lshl_add_u64 v[16:17], v[44:45], 2, s[14:15]
	global_load_dword v15, v[10:11], off
	global_load_dword v19, v[48:49], off
	;; [unrolled: 1-line block ×13, first 2 shown]
	v_subrev_u32_e32 v11, s31, v2
	v_add_u32_e32 v6, -8, v6
	v_subrev_u32_e32 v10, s31, v3
	v_lshlrev_b32_e32 v11, 2, v11
	v_subrev_u32_e32 v17, s31, v18
	v_cmp_eq_u32_e32 vcc, 0, v6
	v_add_u32_e32 v3, 0x100, v3
	v_add_u32_e32 v2, 0x100, v2
	v_lshlrev_b32_e32 v10, 2, v10
	v_subrev_u32_e32 v16, s31, v20
	v_subrev_u32_e32 v18, s31, v24
	;; [unrolled: 1-line block ×13, first 2 shown]
	v_lshlrev_b32_e32 v17, 2, v17
	s_or_b64 s[22:23], vcc, s[22:23]
	v_lshlrev_b32_e32 v16, 2, v16
	v_lshlrev_b32_e32 v20, 2, v20
	;; [unrolled: 1-line block ×13, first 2 shown]
	s_waitcnt vmcnt(15)
	v_subrev_u32_e32 v1, s17, v1
	s_waitcnt vmcnt(14)
	v_subrev_u32_e32 v7, s17, v7
	ds_write_b32 v11, v1 offset:896
	ds_write_b32 v10, v7 offset:896
	s_waitcnt vmcnt(12)
	v_subrev_u32_e32 v7, s17, v15
	s_waitcnt vmcnt(11)
	v_subrev_u32_e32 v10, s17, v19
	;; [unrolled: 2-line block ×8, first 2 shown]
	v_subrev_u32_e32 v1, s17, v12
	v_subrev_u32_e32 v12, s17, v23
	;; [unrolled: 1-line block ×3, first 2 shown]
	s_waitcnt vmcnt(2)
	v_subrev_u32_e32 v29, s17, v37
	s_waitcnt vmcnt(1)
	v_subrev_u32_e32 v31, s17, v39
	;; [unrolled: 2-line block ×3, first 2 shown]
	ds_write_b32 v17, v7 offset:896
	ds_write_b32 v16, v1 offset:896
	;; [unrolled: 1-line block ×14, first 2 shown]
	s_andn2_b64 exec, exec, s[22:23]
	s_cbranch_execnz .LBB24_5
; %bb.6:
	s_or_b64 exec, exec, s[22:23]
.LBB24_7:
	s_or_b64 exec, exec, s[20:21]
	v_and_b32_e32 v1, 7, v5
	v_cmp_ne_u32_e32 vcc, 0, v1
	s_and_saveexec_b64 s[20:21], vcc
	s_cbranch_execz .LBB24_10
; %bb.8:
	s_mov_b64 s[22:23], 0
.LBB24_9:                               ; =>This Inner Loop Header: Depth=1
	v_ashrrev_i32_e32 v7, 31, v3
	v_mov_b32_e32 v6, v3
	v_ashrrev_i32_e32 v11, 31, v2
	v_mov_b32_e32 v10, v2
	v_lshl_add_u64 v[6:7], v[6:7], 2, s[14:15]
	v_lshl_add_u64 v[10:11], v[10:11], 2, s[14:15]
	global_load_dword v5, v[6:7], off
	global_load_dword v12, v[10:11], off
	v_add_u32_e32 v1, -1, v1
	v_subrev_u32_e32 v7, s31, v2
	v_cmp_eq_u32_e32 vcc, 0, v1
	v_subrev_u32_e32 v6, s31, v3
	v_add_u32_e32 v3, 32, v3
	v_add_u32_e32 v2, 32, v2
	v_lshlrev_b32_e32 v7, 2, v7
	s_or_b64 s[22:23], vcc, s[22:23]
	v_lshlrev_b32_e32 v6, 2, v6
	s_waitcnt vmcnt(1)
	v_subrev_u32_e32 v5, s17, v5
	s_waitcnt vmcnt(0)
	v_subrev_u32_e32 v10, s17, v12
	ds_write_b32 v7, v10 offset:896
	ds_write_b32 v6, v5 offset:896
	s_andn2_b64 exec, exec, s[22:23]
	s_cbranch_execnz .LBB24_9
.LBB24_10:
	s_or_b64 exec, exec, s[20:21]
	v_add_u32_e32 v1, 1, v4
	v_and_b32_e32 v2, 0x1ffffffe, v1
	v_cmp_ne_u32_e32 vcc, v1, v2
	v_lshl_add_u32 v0, v2, 4, v0
	s_orn2_b64 s[20:21], vcc, exec
.LBB24_11:
	s_or_b64 exec, exec, s[18:19]
	s_and_b64 exec, exec, s[20:21]
	s_cbranch_execz .LBB24_14
; %bb.12:
	v_add_u32_e32 v1, s17, v0
	v_subrev_u32_e32 v1, s24, v1
	v_mov_b32_e32 v2, 0x380
	v_lshl_add_u32 v4, v1, 2, v2
	v_ashrrev_i32_e32 v1, 31, v0
	v_lshl_add_u64 v[2:3], v[0:1], 2, s[14:15]
	s_mov_b64 s[18:19], 0
.LBB24_13:                              ; =>This Inner Loop Header: Depth=1
	global_load_dword v1, v[2:3], off
	v_add_u32_e32 v0, 16, v0
	v_cmp_lt_i32_e32 vcc, s30, v0
	v_lshl_add_u64 v[2:3], v[2:3], 0, 64
	s_or_b64 s[18:19], vcc, s[18:19]
	s_waitcnt vmcnt(0)
	v_subrev_u32_e32 v1, s17, v1
	ds_write_b32 v4, v1
	v_add_u32_e32 v4, 64, v4
	s_andn2_b64 exec, exec, s[18:19]
	s_cbranch_execnz .LBB24_13
.LBB24_14:
	s_or_b64 exec, exec, s[2:3]
	s_load_dwordx2 s[2:3], s[0:1], 0x20
	v_mov_b32_e32 v0, 0x1e0
	v_mad_u32_u24 v11, v9, 40, v0
	v_mov_b32_e32 v0, 0
	v_lshl_add_u32 v10, v8, 3, v11
	v_mov_b32_e32 v1, v0
	s_cmp_lt_i32 s31, s30
	ds_write_b64 v10, v[0:1]
	s_waitcnt lgkmcnt(0)
	s_cbranch_scc1 .LBB24_18
; %bb.15:
	v_lshl_add_u32 v15, v8, 2, v9
	v_or_b32_e32 v12, v8, v9
	s_load_dword s33, s[0:1], 0x0
	s_cbranch_execz .LBB24_19
	s_branch .LBB24_72
.LBB24_16:
	s_cbranch_execnz .LBB24_107
.LBB24_17:
	s_endpgm
.LBB24_18:
                                        ; implicit-def: $vgpr15
                                        ; implicit-def: $vgpr12
	s_load_dword s33, s[0:1], 0x0
.LBB24_19:
	s_waitcnt lgkmcnt(0)
	s_cmp_lg_u32 s33, 0
	s_cselect_b64 s[18:19], -1, 0
	s_cmp_eq_u32 s33, 0
	v_lshlrev_b32_e32 v16, 2, v8
	v_mov_b32_e32 v0, 0x140
	v_mov_b32_e32 v2, 0xa0
	v_add_u32_e32 v15, v16, v9
	v_mad_u32_u24 v17, v9, 40, v0
	v_lshlrev_b32_e32 v1, 3, v8
	v_mad_u32_u24 v26, v9, 40, v2
	v_or_b32_e32 v12, v8, v9
	s_cselect_b64 vcc, -1, 0
	v_add_u32_e32 v18, v17, v1
	v_mad_u32_u24 v19, v9, 40, v1
	v_add_u32_e32 v20, 4, v8
	v_add_u32_e32 v21, 4, v9
	;; [unrolled: 1-line block ×7, first 2 shown]
	v_mad_u32_u24 v28, v8, 40, v0
	v_cmp_ne_u32_e64 s[0:1], 0, v12
	v_cndmask_b32_e32 v29, v15, v13, vcc
	v_mov_b32_e32 v30, 0
	v_mov_b32_e32 v31, 0x3ff00000
	s_mov_b32 s20, s31
	s_branch .LBB24_22
.LBB24_20:                              ;   in Loop: Header=BB24_22 Depth=1
	s_or_b64 exec, exec, s[24:25]
	v_mov_b64_e32 v[4:5], 1.0
.LBB24_21:                              ;   in Loop: Header=BB24_22 Depth=1
	s_or_b64 exec, exec, s[22:23]
	ds_read2_b64 v[32:35], v30 offset0:15 offset1:16
	ds_read_b64 v[6:7], v26 offset:24
	ds_read2_b64 v[36:39], v17 offset1:1
	ds_read_b64 v[40:41], v17 offset:16
	ds_read_b64 v[42:43], v30 offset:136
	s_add_i32 s20, s20, 1
	s_cmp_ge_i32 s20, s30
	s_waitcnt lgkmcnt(2)
	v_fmac_f64_e32 v[6:7], v[32:33], v[36:37]
	v_fmac_f64_e32 v[6:7], v[34:35], v[38:39]
	s_waitcnt lgkmcnt(0)
	v_fmac_f64_e32 v[6:7], v[42:43], v[40:41]
	v_add_f64 v[2:3], v[2:3], -v[6:7]
	v_div_scale_f64 v[6:7], s[22:23], v[4:5], v[4:5], v[2:3]
	v_rcp_f64_e32 v[32:33], v[6:7]
	v_div_scale_f64 v[34:35], vcc, v[2:3], v[4:5], v[2:3]
	s_cselect_b64 s[22:23], -1, 0
	v_fma_f64 v[36:37], -v[6:7], v[32:33], 1.0
	v_fmac_f64_e32 v[32:33], v[32:33], v[36:37]
	v_fma_f64 v[36:37], -v[6:7], v[32:33], 1.0
	v_fmac_f64_e32 v[32:33], v[32:33], v[36:37]
	v_mul_f64 v[36:37], v[34:35], v[32:33]
	v_fma_f64 v[6:7], -v[6:7], v[36:37], v[34:35]
	v_div_fmas_f64 v[6:7], v[6:7], v[32:33], v[36:37]
	v_div_fixup_f64 v[2:3], v[6:7], v[4:5], v[2:3]
	ds_write_b64 v17, v[2:3] offset:24
	s_waitcnt lgkmcnt(0)
	ds_read_b64 v[4:5], v28 offset:24
	ds_read_b64 v[6:7], v10
	s_waitcnt lgkmcnt(0)
	v_fmac_f64_e32 v[6:7], v[2:3], v[4:5]
	ds_write_b64 v10, v[6:7]
	s_waitcnt lgkmcnt(0)
	ds_read_b64 v[2:3], v18
	s_waitcnt lgkmcnt(0)
	global_store_dwordx2 v[0:1], v[2:3], off
	buffer_wbl2 sc1
	s_waitcnt vmcnt(0)
	buffer_inv sc1
	s_and_b64 vcc, exec, s[22:23]
	s_cbranch_vccnz .LBB24_72
.LBB24_22:                              ; =>This Loop Header: Depth=1
                                        ;     Child Loop BB24_25 Depth 2
                                        ;     Child Loop BB24_36 Depth 2
	;; [unrolled: 1-line block ×3, first 2 shown]
	s_ashr_i32 s21, s20, 31
	s_lshl_b64 s[22:23], s[20:21], 2
	s_add_u32 s22, s14, s22
	s_addc_u32 s23, s15, s23
	s_load_dword s21, s[22:23], 0x0
	s_waitcnt lgkmcnt(0)
	s_sub_i32 s24, s21, s17
	s_ashr_i32 s25, s24, 31
	s_lshl_b64 s[22:23], s[24:25], 2
	s_add_u32 s26, s4, s22
	s_addc_u32 s27, s5, s23
	s_load_dword s25, s[26:27], 0x0
	s_waitcnt lgkmcnt(0)
	s_cmp_eq_u32 s25, -1
	s_cbranch_scc1 .LBB24_49
; %bb.23:                               ;   in Loop: Header=BB24_22 Depth=1
	v_lshl_add_u32 v0, s20, 4, v29
	v_ashrrev_i32_e32 v1, 31, v0
	v_lshl_add_u64 v[0:1], v[0:1], 3, s[2:3]
	global_load_dwordx2 v[2:3], v[0:1], off
	s_add_u32 s26, s12, s22
	s_addc_u32 s27, s13, s23
	s_load_dword s26, s[26:27], 0x0
	ds_read_b32 v4, v30 offset:896
	s_mov_b32 s27, 0
	s_waitcnt lgkmcnt(0)
	s_sub_i32 s26, s26, s17
	s_cmp_le_i32 s26, s25
	v_cmp_ge_i32_e32 vcc, s24, v4
	s_cselect_b64 s[28:29], -1, 0
	s_and_b64 s[28:29], s[28:29], vcc
	s_andn2_b64 vcc, exec, s[28:29]
	s_waitcnt vmcnt(0)
	ds_write_b64 v18, v[2:3]
	s_cbranch_vccnz .LBB24_35
; %bb.24:                               ;   in Loop: Header=BB24_22 Depth=1
	s_mov_b32 s34, 0
	s_mov_b32 s35, 0
.LBB24_25:                              ;   Parent Loop BB24_22 Depth=1
                                        ; =>  This Inner Loop Header: Depth=2
	s_ashr_i32 s27, s26, 31
	s_lshl_b64 s[28:29], s[26:27], 2
	s_add_u32 s28, s14, s28
	s_addc_u32 s29, s15, s29
	s_load_dword s27, s[28:29], 0x0
	s_lshl_b32 s28, s35, 2
	v_mov_b32_e32 v2, s28
	ds_read_b32 v2, v2 offset:896
	s_mov_b64 s[28:29], -1
	s_waitcnt lgkmcnt(0)
	s_sub_i32 s39, s27, s17
                                        ; implicit-def: $sgpr27
                                        ; implicit-def: $sgpr38
                                        ; implicit-def: $sgpr37
	v_cmp_ge_i32_e32 vcc, s39, v2
	v_readfirstlane_b32 s36, v2
	s_cbranch_vccz .LBB24_31
; %bb.26:                               ;   in Loop: Header=BB24_25 Depth=2
	s_cmp_le_i32 s39, s36
                                        ; implicit-def: $sgpr27
                                        ; implicit-def: $sgpr38
                                        ; implicit-def: $sgpr37
	s_cbranch_scc0 .LBB24_28
; %bb.27:                               ;   in Loop: Header=BB24_25 Depth=2
	s_add_i32 s27, s35, s31
	s_lshl_b32 s27, s27, 4
	s_lshl_b32 s28, s34, 2
	v_mov_b32_e32 v3, s27
	s_lshl_b32 s27, s26, 4
	v_mov_b32_e32 v2, s28
	v_mov_b32_e32 v4, s27
	ds_write2_b32 v2, v4, v3 offset0:160 offset1:192
	s_add_i32 s37, s35, 1
	s_add_i32 s38, s26, 1
	;; [unrolled: 1-line block ×3, first 2 shown]
	s_mov_b64 s[28:29], 0
.LBB24_28:                              ;   in Loop: Header=BB24_25 Depth=2
	s_andn2_b64 vcc, exec, s[28:29]
	s_cbranch_vccnz .LBB24_30
; %bb.29:                               ;   in Loop: Header=BB24_25 Depth=2
	s_add_i32 s37, s35, 1
	s_mov_b32 s27, s34
	s_mov_b32 s38, s26
.LBB24_30:                              ;   in Loop: Header=BB24_25 Depth=2
	s_mov_b64 s[28:29], 0
.LBB24_31:                              ;   in Loop: Header=BB24_25 Depth=2
	s_andn2_b64 vcc, exec, s[28:29]
	s_cbranch_vccnz .LBB24_33
; %bb.32:                               ;   in Loop: Header=BB24_25 Depth=2
	s_add_i32 s38, s26, 1
	s_mov_b32 s37, s35
	s_mov_b32 s27, s34
.LBB24_33:                              ;   in Loop: Header=BB24_25 Depth=2
	s_cmp_le_i32 s38, s25
	s_cselect_b64 s[28:29], -1, 0
	s_cmp_le_i32 s36, s24
	s_cselect_b64 s[34:35], -1, 0
	s_and_b64 s[28:29], s[28:29], s[34:35]
	s_and_b64 vcc, exec, s[28:29]
	s_cbranch_vccz .LBB24_35
; %bb.34:                               ;   in Loop: Header=BB24_25 Depth=2
	s_mov_b32 s34, s27
	s_mov_b32 s26, s38
	;; [unrolled: 1-line block ×3, first 2 shown]
	s_branch .LBB24_25
.LBB24_35:                              ;   in Loop: Header=BB24_22 Depth=1
	s_add_u32 s22, s6, s22
	s_addc_u32 s23, s7, s23
	s_waitcnt lgkmcnt(0)
.LBB24_36:                              ;   Parent Loop BB24_22 Depth=1
                                        ; =>  This Inner Loop Header: Depth=2
	global_load_dword v2, v30, s[22:23] sc1
	s_waitcnt vmcnt(0)
	v_cmp_eq_u32_e32 vcc, 0, v2
	s_cbranch_vccnz .LBB24_36
; %bb.37:                               ;   in Loop: Header=BB24_22 Depth=1
	v_lshl_add_u32 v2, s25, 4, v29
	v_ashrrev_i32_e32 v3, 31, v2
	v_lshl_add_u64 v[2:3], v[2:3], 3, s[2:3]
	buffer_inv sc1
	global_load_dwordx2 v[2:3], v[2:3], off
	s_cmp_lt_i32 s27, 2
	s_waitcnt vmcnt(0)
	ds_write_b64 v19, v[2:3]
	v_mov_b64_e32 v[2:3], 0
	s_waitcnt lgkmcnt(0)
	s_cbranch_scc1 .LBB24_57
; %bb.38:                               ;   in Loop: Header=BB24_22 Depth=1
	s_add_i32 s24, s27, -1
	s_cmp_eq_u32 s27, 2
	s_cbranch_scc1 .LBB24_50
; %bb.39:                               ;   in Loop: Header=BB24_22 Depth=1
	s_and_b32 s25, s24, -2
	s_mov_b32 s26, 0
	v_mov_b64_e32 v[2:3], 0
	s_movk_i32 s27, 0x280
	s_branch .LBB24_41
.LBB24_40:                              ;   in Loop: Header=BB24_41 Depth=2
	s_add_i32 s26, s26, 2
	s_add_i32 s27, s27, 8
	s_cmp_eq_u32 s25, s26
	s_cbranch_scc1 .LBB24_51
.LBB24_41:                              ;   Parent Loop BB24_22 Depth=1
                                        ; =>  This Inner Loop Header: Depth=2
	v_mov_b32_e32 v4, s27
	s_waitcnt lgkmcnt(0)
	ds_read2_b32 v[6:7], v4 offset1:32
	s_mov_b64 s[22:23], -1
	s_and_b64 vcc, exec, s[18:19]
                                        ; implicit-def: $vgpr4_vgpr5
	s_cbranch_vccz .LBB24_43
; %bb.42:                               ;   in Loop: Header=BB24_41 Depth=2
	s_waitcnt lgkmcnt(0)
	v_add_u32_e32 v4, v6, v8
	v_ashrrev_i32_e32 v5, 31, v4
	v_add_u32_e32 v32, v7, v9
	v_add_u32_e32 v34, v20, v6
	;; [unrolled: 1-line block ×3, first 2 shown]
	v_lshl_add_u64 v[4:5], v[4:5], 3, s[2:3]
	v_ashrrev_i32_e32 v33, 31, v32
	v_ashrrev_i32_e32 v35, 31, v34
	;; [unrolled: 1-line block ×3, first 2 shown]
	v_lshl_add_u64 v[32:33], v[32:33], 3, s[2:3]
	v_lshl_add_u64 v[34:35], v[34:35], 3, s[2:3]
	v_lshl_add_u64 v[36:37], v[36:37], 3, s[2:3]
	global_load_dwordx2 v[38:39], v[4:5], off
	global_load_dwordx2 v[40:41], v[32:33], off
	;; [unrolled: 1-line block ×4, first 2 shown]
	v_add_u32_e32 v4, v22, v6
	v_ashrrev_i32_e32 v5, 31, v4
	v_add_u32_e32 v32, v23, v7
	v_add_u32_e32 v34, v24, v6
	;; [unrolled: 1-line block ×3, first 2 shown]
	v_lshl_add_u64 v[4:5], v[4:5], 3, s[2:3]
	v_ashrrev_i32_e32 v33, 31, v32
	v_ashrrev_i32_e32 v35, 31, v34
	;; [unrolled: 1-line block ×3, first 2 shown]
	v_lshl_add_u64 v[32:33], v[32:33], 3, s[2:3]
	v_lshl_add_u64 v[34:35], v[34:35], 3, s[2:3]
	;; [unrolled: 1-line block ×3, first 2 shown]
	global_load_dwordx2 v[46:47], v[4:5], off
	global_load_dwordx2 v[48:49], v[32:33], off
	;; [unrolled: 1-line block ×4, first 2 shown]
	s_mov_b64 s[22:23], 0
	s_waitcnt vmcnt(6)
	v_fma_f64 v[4:5], v[38:39], v[40:41], v[2:3]
	s_waitcnt vmcnt(4)
	v_fmac_f64_e32 v[4:5], v[42:43], v[44:45]
	s_waitcnt vmcnt(2)
	v_fmac_f64_e32 v[4:5], v[46:47], v[48:49]
	;; [unrolled: 2-line block ×3, first 2 shown]
.LBB24_43:                              ;   in Loop: Header=BB24_41 Depth=2
	s_andn2_b64 vcc, exec, s[22:23]
	s_cbranch_vccnz .LBB24_45
; %bb.44:                               ;   in Loop: Header=BB24_41 Depth=2
	s_waitcnt lgkmcnt(0)
	v_add_u32_e32 v4, v6, v16
	v_ashrrev_i32_e32 v5, 31, v4
	v_lshl_add_u64 v[44:45], v[4:5], 3, s[2:3]
	v_add_u32_e32 v4, v7, v14
	v_ashrrev_i32_e32 v5, 31, v4
	v_lshl_add_u64 v[46:47], v[4:5], 3, s[2:3]
	global_load_dwordx4 v[4:7], v[46:47], off
	global_load_dwordx4 v[32:35], v[44:45], off
	global_load_dwordx4 v[36:39], v[44:45], off offset:16
	global_load_dwordx4 v[40:43], v[46:47], off offset:16
	s_waitcnt vmcnt(2)
	v_fmac_f64_e32 v[2:3], v[32:33], v[4:5]
	v_fmac_f64_e32 v[2:3], v[34:35], v[6:7]
	s_waitcnt vmcnt(0)
	v_fmac_f64_e32 v[2:3], v[36:37], v[40:41]
	v_fmac_f64_e32 v[2:3], v[38:39], v[42:43]
	v_mov_b64_e32 v[4:5], v[2:3]
.LBB24_45:                              ;   in Loop: Header=BB24_41 Depth=2
	v_mov_b32_e32 v2, s27
	s_waitcnt lgkmcnt(0)
	ds_read2_b32 v[6:7], v2 offset0:1 offset1:33
	s_andn2_b64 vcc, exec, s[18:19]
	s_mov_b64 s[22:23], -1
                                        ; implicit-def: $vgpr2_vgpr3
	s_cbranch_vccnz .LBB24_47
; %bb.46:                               ;   in Loop: Header=BB24_41 Depth=2
	s_waitcnt lgkmcnt(0)
	v_add_u32_e32 v2, v6, v8
	v_ashrrev_i32_e32 v3, 31, v2
	v_add_u32_e32 v32, v7, v9
	v_add_u32_e32 v34, v20, v6
	;; [unrolled: 1-line block ×3, first 2 shown]
	v_lshl_add_u64 v[2:3], v[2:3], 3, s[2:3]
	v_ashrrev_i32_e32 v33, 31, v32
	v_ashrrev_i32_e32 v35, 31, v34
	;; [unrolled: 1-line block ×3, first 2 shown]
	v_lshl_add_u64 v[32:33], v[32:33], 3, s[2:3]
	v_lshl_add_u64 v[34:35], v[34:35], 3, s[2:3]
	;; [unrolled: 1-line block ×3, first 2 shown]
	global_load_dwordx2 v[38:39], v[2:3], off
	global_load_dwordx2 v[40:41], v[32:33], off
	;; [unrolled: 1-line block ×4, first 2 shown]
	v_add_u32_e32 v2, v22, v6
	v_ashrrev_i32_e32 v3, 31, v2
	v_add_u32_e32 v32, v23, v7
	v_add_u32_e32 v34, v24, v6
	;; [unrolled: 1-line block ×3, first 2 shown]
	v_lshl_add_u64 v[2:3], v[2:3], 3, s[2:3]
	v_ashrrev_i32_e32 v33, 31, v32
	v_ashrrev_i32_e32 v35, 31, v34
	;; [unrolled: 1-line block ×3, first 2 shown]
	v_lshl_add_u64 v[32:33], v[32:33], 3, s[2:3]
	v_lshl_add_u64 v[34:35], v[34:35], 3, s[2:3]
	;; [unrolled: 1-line block ×3, first 2 shown]
	global_load_dwordx2 v[46:47], v[2:3], off
	global_load_dwordx2 v[48:49], v[32:33], off
	global_load_dwordx2 v[50:51], v[34:35], off
	global_load_dwordx2 v[52:53], v[36:37], off
	s_mov_b64 s[22:23], 0
	s_waitcnt vmcnt(6)
	v_fma_f64 v[2:3], v[38:39], v[40:41], v[4:5]
	s_waitcnt vmcnt(4)
	v_fmac_f64_e32 v[2:3], v[42:43], v[44:45]
	s_waitcnt vmcnt(2)
	v_fmac_f64_e32 v[2:3], v[46:47], v[48:49]
	s_waitcnt vmcnt(0)
	v_fmac_f64_e32 v[2:3], v[50:51], v[52:53]
.LBB24_47:                              ;   in Loop: Header=BB24_41 Depth=2
	s_andn2_b64 vcc, exec, s[22:23]
	s_cbranch_vccnz .LBB24_40
; %bb.48:                               ;   in Loop: Header=BB24_41 Depth=2
	s_waitcnt lgkmcnt(0)
	v_add_u32_e32 v2, v6, v16
	v_add_u32_e32 v6, v7, v14
	v_ashrrev_i32_e32 v7, 31, v6
	v_ashrrev_i32_e32 v3, 31, v2
	v_lshl_add_u64 v[6:7], v[6:7], 3, s[2:3]
	v_lshl_add_u64 v[2:3], v[2:3], 3, s[2:3]
	global_load_dwordx4 v[32:35], v[6:7], off
	global_load_dwordx4 v[36:39], v[2:3], off
	global_load_dwordx4 v[40:43], v[2:3], off offset:16
	global_load_dwordx4 v[44:47], v[6:7], off offset:16
	s_waitcnt vmcnt(2)
	v_fmac_f64_e32 v[4:5], v[36:37], v[32:33]
	v_fmac_f64_e32 v[4:5], v[38:39], v[34:35]
	s_waitcnt vmcnt(0)
	v_fmac_f64_e32 v[4:5], v[40:41], v[44:45]
	v_fmac_f64_e32 v[4:5], v[42:43], v[46:47]
	v_mov_b64_e32 v[2:3], v[4:5]
	s_branch .LBB24_40
.LBB24_49:                              ;   in Loop: Header=BB24_22 Depth=1
                                        ; implicit-def: $sgpr20
	s_cbranch_execz .LBB24_22
	s_branch .LBB24_72
.LBB24_50:                              ;   in Loop: Header=BB24_22 Depth=1
	v_mov_b64_e32 v[2:3], 0
	s_mov_b32 s25, 0
.LBB24_51:                              ;   in Loop: Header=BB24_22 Depth=1
	s_bitcmp0_b32 s24, 0
	s_cbranch_scc1 .LBB24_57
; %bb.52:                               ;   in Loop: Header=BB24_22 Depth=1
	s_lshl_b32 s22, s25, 2
	v_mov_b32_e32 v4, s22
	ds_read2_b32 v[4:5], v4 offset0:160 offset1:192
	s_andn2_b64 vcc, exec, s[18:19]
	s_mov_b64 s[22:23], -1
                                        ; implicit-def: $vgpr6_vgpr7
	s_cbranch_vccnz .LBB24_54
; %bb.53:                               ;   in Loop: Header=BB24_22 Depth=1
	s_waitcnt lgkmcnt(0)
	v_add_u32_e32 v6, v4, v8
	v_ashrrev_i32_e32 v7, 31, v6
	v_add_u32_e32 v32, v5, v9
	v_add_u32_e32 v34, v20, v4
	;; [unrolled: 1-line block ×3, first 2 shown]
	v_lshl_add_u64 v[6:7], v[6:7], 3, s[2:3]
	v_ashrrev_i32_e32 v33, 31, v32
	v_ashrrev_i32_e32 v35, 31, v34
	;; [unrolled: 1-line block ×3, first 2 shown]
	v_lshl_add_u64 v[32:33], v[32:33], 3, s[2:3]
	v_lshl_add_u64 v[34:35], v[34:35], 3, s[2:3]
	;; [unrolled: 1-line block ×3, first 2 shown]
	global_load_dwordx2 v[38:39], v[6:7], off
	global_load_dwordx2 v[40:41], v[32:33], off
	;; [unrolled: 1-line block ×4, first 2 shown]
	v_add_u32_e32 v6, v22, v4
	v_ashrrev_i32_e32 v7, 31, v6
	v_add_u32_e32 v32, v23, v5
	v_add_u32_e32 v34, v24, v4
	;; [unrolled: 1-line block ×3, first 2 shown]
	v_lshl_add_u64 v[6:7], v[6:7], 3, s[2:3]
	v_ashrrev_i32_e32 v33, 31, v32
	v_ashrrev_i32_e32 v35, 31, v34
	;; [unrolled: 1-line block ×3, first 2 shown]
	v_lshl_add_u64 v[32:33], v[32:33], 3, s[2:3]
	v_lshl_add_u64 v[34:35], v[34:35], 3, s[2:3]
	;; [unrolled: 1-line block ×3, first 2 shown]
	global_load_dwordx2 v[46:47], v[6:7], off
	global_load_dwordx2 v[48:49], v[32:33], off
	;; [unrolled: 1-line block ×4, first 2 shown]
	s_mov_b64 s[22:23], 0
	s_waitcnt vmcnt(6)
	v_fma_f64 v[6:7], v[38:39], v[40:41], v[2:3]
	s_waitcnt vmcnt(4)
	v_fmac_f64_e32 v[6:7], v[42:43], v[44:45]
	s_waitcnt vmcnt(2)
	v_fmac_f64_e32 v[6:7], v[46:47], v[48:49]
	;; [unrolled: 2-line block ×3, first 2 shown]
.LBB24_54:                              ;   in Loop: Header=BB24_22 Depth=1
	s_andn2_b64 vcc, exec, s[22:23]
	s_cbranch_vccnz .LBB24_56
; %bb.55:                               ;   in Loop: Header=BB24_22 Depth=1
	s_waitcnt lgkmcnt(0)
	v_add_u32_e32 v6, v4, v16
	v_add_u32_e32 v4, v5, v14
	v_ashrrev_i32_e32 v5, 31, v4
	v_ashrrev_i32_e32 v7, 31, v6
	v_lshl_add_u64 v[46:47], v[4:5], 3, s[2:3]
	v_lshl_add_u64 v[44:45], v[6:7], 3, s[2:3]
	global_load_dwordx4 v[4:7], v[46:47], off
	global_load_dwordx4 v[32:35], v[44:45], off
	global_load_dwordx4 v[36:39], v[44:45], off offset:16
	global_load_dwordx4 v[40:43], v[46:47], off offset:16
	s_waitcnt vmcnt(2)
	v_fmac_f64_e32 v[2:3], v[32:33], v[4:5]
	v_fmac_f64_e32 v[2:3], v[34:35], v[6:7]
	s_waitcnt vmcnt(0)
	v_fmac_f64_e32 v[2:3], v[36:37], v[40:41]
	v_fmac_f64_e32 v[2:3], v[38:39], v[42:43]
	v_mov_b64_e32 v[6:7], v[2:3]
.LBB24_56:                              ;   in Loop: Header=BB24_22 Depth=1
	s_waitcnt lgkmcnt(1)
	v_mov_b64_e32 v[2:3], v[6:7]
.LBB24_57:                              ;   in Loop: Header=BB24_22 Depth=1
	ds_write_b64 v27, v[2:3]
	s_waitcnt lgkmcnt(0)
	ds_read_b64 v[4:5], v30
	ds_read_b64 v[2:3], v17
	s_waitcnt lgkmcnt(1)
	v_cmp_neq_f64_e32 vcc, 0, v[4:5]
	s_nop 1
	v_cndmask_b32_e32 v5, v31, v5, vcc
	s_nor_b64 s[24:25], vcc, s[0:1]
	v_cndmask_b32_e32 v4, 0, v4, vcc
	s_and_saveexec_b64 s[22:23], s[24:25]
	s_cbranch_execz .LBB24_61
; %bb.58:                               ;   in Loop: Header=BB24_22 Depth=1
	v_mbcnt_lo_u32_b32 v4, exec_lo, 0
	v_mbcnt_hi_u32_b32 v4, exec_hi, v4
	v_cmp_eq_u32_e32 vcc, 0, v4
	s_and_saveexec_b64 s[24:25], vcc
	s_cbranch_execz .LBB24_60
; %bb.59:                               ;   in Loop: Header=BB24_22 Depth=1
	v_mov_b32_e32 v4, s21
	global_atomic_smin v30, v4, s[10:11]
.LBB24_60:                              ;   in Loop: Header=BB24_22 Depth=1
	s_or_b64 exec, exec, s[24:25]
	v_mov_b64_e32 v[4:5], 1.0
.LBB24_61:                              ;   in Loop: Header=BB24_22 Depth=1
	s_or_b64 exec, exec, s[22:23]
	ds_read_b64 v[6:7], v26
	s_waitcnt lgkmcnt(0)
	v_add_f64 v[2:3], v[2:3], -v[6:7]
	v_div_scale_f64 v[6:7], s[22:23], v[4:5], v[4:5], v[2:3]
	v_rcp_f64_e32 v[32:33], v[6:7]
	v_div_scale_f64 v[34:35], vcc, v[2:3], v[4:5], v[2:3]
	v_fma_f64 v[36:37], -v[6:7], v[32:33], 1.0
	v_fmac_f64_e32 v[32:33], v[32:33], v[36:37]
	v_fma_f64 v[36:37], -v[6:7], v[32:33], 1.0
	v_fmac_f64_e32 v[32:33], v[32:33], v[36:37]
	v_mul_f64 v[36:37], v[34:35], v[32:33]
	v_fma_f64 v[6:7], -v[6:7], v[36:37], v[34:35]
	v_div_fmas_f64 v[6:7], v[6:7], v[32:33], v[36:37]
	v_div_fixup_f64 v[2:3], v[6:7], v[4:5], v[2:3]
	ds_write_b64 v17, v[2:3]
	s_waitcnt lgkmcnt(0)
	ds_read_b64 v[4:5], v28
	ds_read_b64 v[6:7], v10
	s_waitcnt lgkmcnt(0)
	v_fmac_f64_e32 v[6:7], v[2:3], v[4:5]
	ds_write_b64 v10, v[6:7]
	s_waitcnt lgkmcnt(0)
	ds_read_b64 v[4:5], v30 offset:48
	ds_read_b64 v[2:3], v17 offset:8
	s_waitcnt lgkmcnt(1)
	v_cmp_neq_f64_e32 vcc, 0, v[4:5]
	s_nop 1
	v_cndmask_b32_e32 v5, v31, v5, vcc
	s_nor_b64 s[24:25], vcc, s[0:1]
	v_cndmask_b32_e32 v4, 0, v4, vcc
	s_and_saveexec_b64 s[22:23], s[24:25]
	s_cbranch_execz .LBB24_65
; %bb.62:                               ;   in Loop: Header=BB24_22 Depth=1
	v_mbcnt_lo_u32_b32 v4, exec_lo, 0
	v_mbcnt_hi_u32_b32 v4, exec_hi, v4
	v_cmp_eq_u32_e32 vcc, 0, v4
	s_and_saveexec_b64 s[24:25], vcc
	s_cbranch_execz .LBB24_64
; %bb.63:                               ;   in Loop: Header=BB24_22 Depth=1
	v_mov_b32_e32 v4, s21
	global_atomic_smin v30, v4, s[10:11]
.LBB24_64:                              ;   in Loop: Header=BB24_22 Depth=1
	s_or_b64 exec, exec, s[24:25]
	v_mov_b64_e32 v[4:5], 1.0
.LBB24_65:                              ;   in Loop: Header=BB24_22 Depth=1
	s_or_b64 exec, exec, s[22:23]
	ds_read_b64 v[6:7], v30 offset:40
	ds_read_b64 v[32:33], v17
	ds_read_b64 v[34:35], v26 offset:8
	s_waitcnt lgkmcnt(0)
	v_fmac_f64_e32 v[34:35], v[6:7], v[32:33]
	v_add_f64 v[2:3], v[2:3], -v[34:35]
	v_div_scale_f64 v[6:7], s[22:23], v[4:5], v[4:5], v[2:3]
	v_rcp_f64_e32 v[32:33], v[6:7]
	v_div_scale_f64 v[34:35], vcc, v[2:3], v[4:5], v[2:3]
	v_fma_f64 v[36:37], -v[6:7], v[32:33], 1.0
	v_fmac_f64_e32 v[32:33], v[32:33], v[36:37]
	v_fma_f64 v[36:37], -v[6:7], v[32:33], 1.0
	v_fmac_f64_e32 v[32:33], v[32:33], v[36:37]
	v_mul_f64 v[36:37], v[34:35], v[32:33]
	v_fma_f64 v[6:7], -v[6:7], v[36:37], v[34:35]
	v_div_fmas_f64 v[6:7], v[6:7], v[32:33], v[36:37]
	v_div_fixup_f64 v[2:3], v[6:7], v[4:5], v[2:3]
	ds_write_b64 v17, v[2:3] offset:8
	s_waitcnt lgkmcnt(0)
	ds_read_b64 v[4:5], v28 offset:8
	ds_read_b64 v[6:7], v10
	s_waitcnt lgkmcnt(0)
	v_fmac_f64_e32 v[6:7], v[2:3], v[4:5]
	ds_write_b64 v10, v[6:7]
	s_waitcnt lgkmcnt(0)
	ds_read_b64 v[4:5], v30 offset:96
	ds_read_b64 v[2:3], v17 offset:16
	s_waitcnt lgkmcnt(1)
	v_cmp_neq_f64_e32 vcc, 0, v[4:5]
	s_nop 1
	v_cndmask_b32_e32 v5, v31, v5, vcc
	s_nor_b64 s[24:25], vcc, s[0:1]
	v_cndmask_b32_e32 v4, 0, v4, vcc
	s_and_saveexec_b64 s[22:23], s[24:25]
	s_cbranch_execz .LBB24_69
; %bb.66:                               ;   in Loop: Header=BB24_22 Depth=1
	v_mbcnt_lo_u32_b32 v4, exec_lo, 0
	v_mbcnt_hi_u32_b32 v4, exec_hi, v4
	v_cmp_eq_u32_e32 vcc, 0, v4
	s_and_saveexec_b64 s[24:25], vcc
	s_cbranch_execz .LBB24_68
; %bb.67:                               ;   in Loop: Header=BB24_22 Depth=1
	v_mov_b32_e32 v4, s21
	global_atomic_smin v30, v4, s[10:11]
.LBB24_68:                              ;   in Loop: Header=BB24_22 Depth=1
	s_or_b64 exec, exec, s[24:25]
	v_mov_b64_e32 v[4:5], 1.0
.LBB24_69:                              ;   in Loop: Header=BB24_22 Depth=1
	s_or_b64 exec, exec, s[22:23]
	ds_read_b128 v[32:35], v30 offset:80
	ds_read2_b64 v[36:39], v17 offset1:1
	ds_read_b64 v[6:7], v26 offset:16
	s_waitcnt lgkmcnt(0)
	v_fmac_f64_e32 v[6:7], v[32:33], v[36:37]
	v_fmac_f64_e32 v[6:7], v[34:35], v[38:39]
	v_add_f64 v[2:3], v[2:3], -v[6:7]
	v_div_scale_f64 v[6:7], s[22:23], v[4:5], v[4:5], v[2:3]
	v_rcp_f64_e32 v[32:33], v[6:7]
	v_div_scale_f64 v[34:35], vcc, v[2:3], v[4:5], v[2:3]
	v_fma_f64 v[36:37], -v[6:7], v[32:33], 1.0
	v_fmac_f64_e32 v[32:33], v[32:33], v[36:37]
	v_fma_f64 v[36:37], -v[6:7], v[32:33], 1.0
	v_fmac_f64_e32 v[32:33], v[32:33], v[36:37]
	v_mul_f64 v[36:37], v[34:35], v[32:33]
	v_fma_f64 v[6:7], -v[6:7], v[36:37], v[34:35]
	v_div_fmas_f64 v[6:7], v[6:7], v[32:33], v[36:37]
	v_div_fixup_f64 v[2:3], v[6:7], v[4:5], v[2:3]
	ds_write_b64 v17, v[2:3] offset:16
	s_waitcnt lgkmcnt(0)
	ds_read_b64 v[4:5], v28 offset:16
	ds_read_b64 v[6:7], v10
	s_waitcnt lgkmcnt(0)
	v_fmac_f64_e32 v[6:7], v[2:3], v[4:5]
	ds_write_b64 v10, v[6:7]
	s_waitcnt lgkmcnt(0)
	ds_read_b64 v[4:5], v30 offset:144
	ds_read_b64 v[2:3], v17 offset:24
	s_waitcnt lgkmcnt(1)
	v_cmp_neq_f64_e32 vcc, 0, v[4:5]
	s_nop 1
	v_cndmask_b32_e32 v5, v31, v5, vcc
	s_nor_b64 s[24:25], vcc, s[0:1]
	v_cndmask_b32_e32 v4, 0, v4, vcc
	s_and_saveexec_b64 s[22:23], s[24:25]
	s_cbranch_execz .LBB24_21
; %bb.70:                               ;   in Loop: Header=BB24_22 Depth=1
	v_mbcnt_lo_u32_b32 v4, exec_lo, 0
	v_mbcnt_hi_u32_b32 v4, exec_hi, v4
	v_cmp_eq_u32_e32 vcc, 0, v4
	s_and_saveexec_b64 s[24:25], vcc
	s_cbranch_execz .LBB24_20
; %bb.71:                               ;   in Loop: Header=BB24_22 Depth=1
	v_mov_b32_e32 v4, s21
	global_atomic_smin v30, v4, s[10:11]
	s_branch .LBB24_20
.LBB24_72:
	s_waitcnt lgkmcnt(0)
	s_cmp_eq_u32 s33, 0
	s_cselect_b64 vcc, -1, 0
	v_cndmask_b32_e32 v0, v15, v13, vcc
	v_lshl_add_u32 v0, s30, 4, v0
	v_ashrrev_i32_e32 v1, 31, v0
	v_lshl_add_u64 v[0:1], v[0:1], 3, s[2:3]
	global_load_dwordx2 v[2:3], v[0:1], off
	v_mov_b32_e32 v4, 0x140
	v_mad_u32_u24 v5, v9, 40, v4
	v_cmp_ne_u32_e32 vcc, 0, v9
	v_lshl_add_u32 v4, v8, 3, v5
	v_cmp_eq_u32_e64 s[0:1], 0, v9
	s_waitcnt vmcnt(0)
	ds_write_b64 v4, v[2:3]
	s_waitcnt lgkmcnt(0)
	s_and_saveexec_b64 s[2:3], s[0:1]
	s_cbranch_execz .LBB24_74
; %bb.73:
	v_mov_b32_e32 v13, 0
	ds_read2_b64 v[14:17], v13 offset0:40 offset1:60
	s_mov_b32 s4, 0
	s_brev_b32 s5, 8
	v_mov_b32_e32 v18, 0x260
	s_waitcnt lgkmcnt(0)
	v_add_f64 v[2:3], v[14:15], -v[16:17]
	v_xor_b32_e32 v6, 0x80000000, v3
	v_cmp_gt_f64_e64 s[0:1], 0, v[2:3]
	s_nop 1
	v_cndmask_b32_e64 v3, v3, v6, s[0:1]
	v_cmp_gt_f64_e64 s[0:1], s[4:5], v[2:3]
	s_and_b64 s[0:1], s[0:1], exec
	s_cselect_b32 s0, 0x100, 0
	v_ldexp_f64 v[2:3], v[2:3], s0
	v_rsq_f64_e32 v[6:7], v[2:3]
	s_cselect_b32 s0, 0xffffff80, 0
	v_mul_f64 v[14:15], v[2:3], v[6:7]
	v_mul_f64 v[6:7], v[6:7], 0.5
	v_fma_f64 v[16:17], -v[6:7], v[14:15], 0.5
	v_fmac_f64_e32 v[14:15], v[14:15], v[16:17]
	v_fmac_f64_e32 v[6:7], v[6:7], v[16:17]
	v_fma_f64 v[16:17], -v[14:15], v[14:15], v[2:3]
	v_fmac_f64_e32 v[14:15], v[16:17], v[6:7]
	v_fma_f64 v[16:17], -v[14:15], v[14:15], v[2:3]
	v_fmac_f64_e32 v[14:15], v[16:17], v[6:7]
	v_ldexp_f64 v[6:7], v[14:15], s0
	v_cmp_class_f64_e64 s[0:1], v[2:3], v18
	s_nop 1
	v_cndmask_b32_e64 v3, v7, v3, s[0:1]
	v_cndmask_b32_e64 v2, v6, v2, s[0:1]
	ds_write_b64 v13, v[2:3] offset:320
.LBB24_74:
	s_or_b64 exec, exec, s[2:3]
	v_mov_b32_e32 v2, 0
	s_waitcnt lgkmcnt(0)
	ds_read_b64 v[2:3], v2 offset:320
	v_cmp_ne_u32_e64 s[0:1], 0, v12
	v_mov_b32_e32 v6, 0x3ff00000
	s_add_i32 s14, s16, s17
	s_waitcnt lgkmcnt(0)
	v_cmp_neq_f64_e64 s[2:3], 0, v[2:3]
	s_nor_b64 s[12:13], s[2:3], s[0:1]
	s_nop 0
	v_cndmask_b32_e64 v3, v6, v3, s[2:3]
	v_cndmask_b32_e64 v2, 0, v2, s[2:3]
	s_and_saveexec_b64 s[4:5], s[12:13]
	s_cbranch_execz .LBB24_78
; %bb.75:
	v_mbcnt_lo_u32_b32 v2, exec_lo, 0
	v_mbcnt_hi_u32_b32 v2, exec_hi, v2
	v_cmp_eq_u32_e64 s[2:3], 0, v2
	s_and_saveexec_b64 s[12:13], s[2:3]
	s_cbranch_execz .LBB24_77
; %bb.76:
	v_mov_b32_e32 v2, 0
	v_mov_b32_e32 v3, s14
	global_atomic_smin v2, v3, s[10:11]
.LBB24_77:
	s_or_b64 exec, exec, s[12:13]
	v_mov_b64_e32 v[2:3], 1.0
.LBB24_78:
	s_or_b64 exec, exec, s[4:5]
	v_mov_b32_e32 v6, 0x140
	v_mad_u32_u24 v6, v8, 40, v6
	s_and_saveexec_b64 s[2:3], vcc
	s_cbranch_execz .LBB24_80
; %bb.79:
	ds_read_b64 v[14:15], v5
	ds_read_b64 v[16:17], v11
	s_waitcnt lgkmcnt(0)
	v_add_f64 v[14:15], v[14:15], -v[16:17]
	v_div_scale_f64 v[16:17], s[4:5], v[2:3], v[2:3], v[14:15]
	v_rcp_f64_e32 v[18:19], v[16:17]
	v_div_scale_f64 v[20:21], vcc, v[14:15], v[2:3], v[14:15]
	v_fma_f64 v[22:23], -v[16:17], v[18:19], 1.0
	v_fmac_f64_e32 v[18:19], v[18:19], v[22:23]
	v_fma_f64 v[22:23], -v[16:17], v[18:19], 1.0
	v_fmac_f64_e32 v[18:19], v[18:19], v[22:23]
	v_mul_f64 v[22:23], v[20:21], v[18:19]
	v_fma_f64 v[16:17], -v[16:17], v[22:23], v[20:21]
	v_div_fmas_f64 v[16:17], v[16:17], v[18:19], v[22:23]
	v_div_fixup_f64 v[2:3], v[16:17], v[2:3], v[14:15]
	ds_write_b64 v5, v[2:3]
	s_waitcnt lgkmcnt(0)
	ds_read_b64 v[14:15], v6
	ds_read_b64 v[16:17], v10
	s_waitcnt lgkmcnt(0)
	v_fmac_f64_e32 v[16:17], v[2:3], v[14:15]
	ds_write_b64 v10, v[16:17]
.LBB24_80:
	s_or_b64 exec, exec, s[2:3]
	v_cmp_eq_u32_e32 vcc, 1, v9
	s_waitcnt lgkmcnt(0)
	s_and_saveexec_b64 s[2:3], vcc
	s_cbranch_execz .LBB24_82
; %bb.81:
	v_mov_b32_e32 v7, 0
	ds_read2_b64 v[14:17], v7 offset0:46 offset1:66
	s_mov_b32 s4, 0
	s_brev_b32 s5, 8
	s_waitcnt lgkmcnt(0)
	v_add_f64 v[2:3], v[14:15], -v[16:17]
	v_xor_b32_e32 v13, 0x80000000, v3
	v_cmp_gt_f64_e32 vcc, 0, v[2:3]
	s_nop 1
	v_cndmask_b32_e32 v3, v3, v13, vcc
	v_cmp_gt_f64_e32 vcc, s[4:5], v[2:3]
	s_and_b64 s[4:5], vcc, exec
	s_cselect_b32 s4, 0x100, 0
	v_ldexp_f64 v[2:3], v[2:3], s4
	v_rsq_f64_e32 v[14:15], v[2:3]
	v_mov_b32_e32 v13, 0x260
	s_cselect_b32 s4, 0xffffff80, 0
	v_cmp_class_f64_e32 vcc, v[2:3], v13
	v_mul_f64 v[16:17], v[2:3], v[14:15]
	v_mul_f64 v[14:15], v[14:15], 0.5
	v_fma_f64 v[18:19], -v[14:15], v[16:17], 0.5
	v_fmac_f64_e32 v[16:17], v[16:17], v[18:19]
	v_fmac_f64_e32 v[14:15], v[14:15], v[18:19]
	v_fma_f64 v[18:19], -v[16:17], v[16:17], v[2:3]
	v_fmac_f64_e32 v[16:17], v[18:19], v[14:15]
	v_fma_f64 v[18:19], -v[16:17], v[16:17], v[2:3]
	v_fmac_f64_e32 v[16:17], v[18:19], v[14:15]
	v_ldexp_f64 v[14:15], v[16:17], s4
	v_cndmask_b32_e32 v3, v15, v3, vcc
	v_cndmask_b32_e32 v2, v14, v2, vcc
	ds_write_b64 v7, v[2:3] offset:368
.LBB24_82:
	s_or_b64 exec, exec, s[2:3]
	v_mov_b32_e32 v2, 0
	s_waitcnt lgkmcnt(0)
	ds_read_b64 v[2:3], v2 offset:368
	v_mov_b32_e32 v7, 0x3ff00000
	s_waitcnt lgkmcnt(0)
	v_cmp_neq_f64_e32 vcc, 0, v[2:3]
	s_nop 1
	v_cndmask_b32_e32 v3, v7, v3, vcc
	s_nor_b64 s[4:5], vcc, s[0:1]
	v_cndmask_b32_e32 v2, 0, v2, vcc
	s_and_saveexec_b64 s[2:3], s[4:5]
	s_cbranch_execz .LBB24_86
; %bb.83:
	v_mbcnt_lo_u32_b32 v2, exec_lo, 0
	v_mbcnt_hi_u32_b32 v2, exec_hi, v2
	v_cmp_eq_u32_e32 vcc, 0, v2
	s_and_saveexec_b64 s[4:5], vcc
	s_cbranch_execz .LBB24_85
; %bb.84:
	v_mov_b32_e32 v2, 0
	v_mov_b32_e32 v3, s14
	global_atomic_smin v2, v3, s[10:11]
.LBB24_85:
	s_or_b64 exec, exec, s[4:5]
	v_mov_b64_e32 v[2:3], 1.0
.LBB24_86:
	s_or_b64 exec, exec, s[2:3]
	v_cmp_lt_u32_e32 vcc, 1, v9
	s_and_saveexec_b64 s[2:3], vcc
	s_cbranch_execz .LBB24_88
; %bb.87:
	ds_read_b64 v[14:15], v5 offset:8
	ds_read_b64 v[16:17], v11 offset:8
	s_waitcnt lgkmcnt(0)
	v_add_f64 v[14:15], v[14:15], -v[16:17]
	v_div_scale_f64 v[16:17], s[4:5], v[2:3], v[2:3], v[14:15]
	v_rcp_f64_e32 v[18:19], v[16:17]
	v_div_scale_f64 v[20:21], vcc, v[14:15], v[2:3], v[14:15]
	v_fma_f64 v[22:23], -v[16:17], v[18:19], 1.0
	v_fmac_f64_e32 v[18:19], v[18:19], v[22:23]
	v_fma_f64 v[22:23], -v[16:17], v[18:19], 1.0
	v_fmac_f64_e32 v[18:19], v[18:19], v[22:23]
	v_mul_f64 v[22:23], v[20:21], v[18:19]
	v_fma_f64 v[16:17], -v[16:17], v[22:23], v[20:21]
	v_div_fmas_f64 v[16:17], v[16:17], v[18:19], v[22:23]
	v_div_fixup_f64 v[2:3], v[16:17], v[2:3], v[14:15]
	ds_write_b64 v5, v[2:3] offset:8
	s_waitcnt lgkmcnt(0)
	ds_read_b64 v[14:15], v6 offset:8
	ds_read_b64 v[16:17], v10
	s_waitcnt lgkmcnt(0)
	v_fmac_f64_e32 v[16:17], v[2:3], v[14:15]
	ds_write_b64 v10, v[16:17]
.LBB24_88:
	s_or_b64 exec, exec, s[2:3]
	v_cmp_eq_u32_e32 vcc, 2, v9
	s_waitcnt lgkmcnt(0)
	s_and_saveexec_b64 s[2:3], vcc
	s_cbranch_execz .LBB24_90
; %bb.89:
	v_mov_b32_e32 v7, 0
	ds_read2_b64 v[14:17], v7 offset0:52 offset1:72
	s_mov_b32 s4, 0
	s_brev_b32 s5, 8
	s_waitcnt lgkmcnt(0)
	v_add_f64 v[2:3], v[14:15], -v[16:17]
	v_xor_b32_e32 v13, 0x80000000, v3
	v_cmp_gt_f64_e32 vcc, 0, v[2:3]
	s_nop 1
	v_cndmask_b32_e32 v3, v3, v13, vcc
	v_cmp_gt_f64_e32 vcc, s[4:5], v[2:3]
	s_and_b64 s[4:5], vcc, exec
	s_cselect_b32 s4, 0x100, 0
	v_ldexp_f64 v[2:3], v[2:3], s4
	v_rsq_f64_e32 v[14:15], v[2:3]
	v_mov_b32_e32 v13, 0x260
	s_cselect_b32 s4, 0xffffff80, 0
	v_cmp_class_f64_e32 vcc, v[2:3], v13
	v_mul_f64 v[16:17], v[2:3], v[14:15]
	v_mul_f64 v[14:15], v[14:15], 0.5
	v_fma_f64 v[18:19], -v[14:15], v[16:17], 0.5
	v_fmac_f64_e32 v[16:17], v[16:17], v[18:19]
	v_fmac_f64_e32 v[14:15], v[14:15], v[18:19]
	v_fma_f64 v[18:19], -v[16:17], v[16:17], v[2:3]
	v_fmac_f64_e32 v[16:17], v[18:19], v[14:15]
	v_fma_f64 v[18:19], -v[16:17], v[16:17], v[2:3]
	v_fmac_f64_e32 v[16:17], v[18:19], v[14:15]
	v_ldexp_f64 v[14:15], v[16:17], s4
	v_cndmask_b32_e32 v3, v15, v3, vcc
	v_cndmask_b32_e32 v2, v14, v2, vcc
	ds_write_b64 v7, v[2:3] offset:416
.LBB24_90:
	s_or_b64 exec, exec, s[2:3]
	v_mov_b32_e32 v2, 0
	s_waitcnt lgkmcnt(0)
	ds_read_b64 v[2:3], v2 offset:416
	v_mov_b32_e32 v7, 0x3ff00000
	s_waitcnt lgkmcnt(0)
	v_cmp_neq_f64_e32 vcc, 0, v[2:3]
	s_nop 1
	v_cndmask_b32_e32 v3, v7, v3, vcc
	s_nor_b64 s[4:5], vcc, s[0:1]
	v_cndmask_b32_e32 v2, 0, v2, vcc
	s_and_saveexec_b64 s[2:3], s[4:5]
	s_cbranch_execz .LBB24_94
; %bb.91:
	v_mbcnt_lo_u32_b32 v2, exec_lo, 0
	v_mbcnt_hi_u32_b32 v2, exec_hi, v2
	v_cmp_eq_u32_e32 vcc, 0, v2
	s_and_saveexec_b64 s[4:5], vcc
	s_cbranch_execz .LBB24_93
; %bb.92:
	v_mov_b32_e32 v2, 0
	v_mov_b32_e32 v3, s14
	global_atomic_smin v2, v3, s[10:11]
.LBB24_93:
	s_or_b64 exec, exec, s[4:5]
	v_mov_b64_e32 v[2:3], 1.0
.LBB24_94:
	s_or_b64 exec, exec, s[2:3]
	v_cmp_lt_u32_e32 vcc, 2, v9
	s_and_saveexec_b64 s[2:3], vcc
	s_cbranch_execz .LBB24_96
; %bb.95:
	ds_read_b64 v[14:15], v5 offset:16
	ds_read_b64 v[16:17], v11 offset:16
	s_waitcnt lgkmcnt(0)
	v_add_f64 v[14:15], v[14:15], -v[16:17]
	v_div_scale_f64 v[16:17], s[4:5], v[2:3], v[2:3], v[14:15]
	v_rcp_f64_e32 v[18:19], v[16:17]
	v_div_scale_f64 v[20:21], vcc, v[14:15], v[2:3], v[14:15]
	v_fma_f64 v[22:23], -v[16:17], v[18:19], 1.0
	v_fmac_f64_e32 v[18:19], v[18:19], v[22:23]
	v_fma_f64 v[22:23], -v[16:17], v[18:19], 1.0
	v_fmac_f64_e32 v[18:19], v[18:19], v[22:23]
	v_mul_f64 v[22:23], v[20:21], v[18:19]
	v_fma_f64 v[16:17], -v[16:17], v[22:23], v[20:21]
	v_div_fmas_f64 v[16:17], v[16:17], v[18:19], v[22:23]
	v_div_fixup_f64 v[2:3], v[16:17], v[2:3], v[14:15]
	ds_write_b64 v5, v[2:3] offset:16
	s_waitcnt lgkmcnt(0)
	ds_read_b64 v[14:15], v6 offset:16
	ds_read_b64 v[16:17], v10
	s_waitcnt lgkmcnt(0)
	v_fmac_f64_e32 v[16:17], v[2:3], v[14:15]
	ds_write_b64 v10, v[16:17]
.LBB24_96:
	s_or_b64 exec, exec, s[2:3]
	v_cmp_eq_u32_e32 vcc, 3, v9
	s_waitcnt lgkmcnt(0)
	s_and_saveexec_b64 s[2:3], vcc
	s_cbranch_execz .LBB24_98
; %bb.97:
	v_mov_b32_e32 v7, 0
	ds_read2_b64 v[14:17], v7 offset0:58 offset1:78
	s_mov_b32 s4, 0
	s_brev_b32 s5, 8
	s_waitcnt lgkmcnt(0)
	v_add_f64 v[2:3], v[14:15], -v[16:17]
	v_xor_b32_e32 v13, 0x80000000, v3
	v_cmp_gt_f64_e32 vcc, 0, v[2:3]
	s_nop 1
	v_cndmask_b32_e32 v3, v3, v13, vcc
	v_cmp_gt_f64_e32 vcc, s[4:5], v[2:3]
	s_and_b64 s[4:5], vcc, exec
	s_cselect_b32 s4, 0x100, 0
	v_ldexp_f64 v[2:3], v[2:3], s4
	v_rsq_f64_e32 v[14:15], v[2:3]
	v_mov_b32_e32 v13, 0x260
	s_cselect_b32 s4, 0xffffff80, 0
	v_cmp_class_f64_e32 vcc, v[2:3], v13
	v_mul_f64 v[16:17], v[2:3], v[14:15]
	v_mul_f64 v[14:15], v[14:15], 0.5
	v_fma_f64 v[18:19], -v[14:15], v[16:17], 0.5
	v_fmac_f64_e32 v[16:17], v[16:17], v[18:19]
	v_fmac_f64_e32 v[14:15], v[14:15], v[18:19]
	v_fma_f64 v[18:19], -v[16:17], v[16:17], v[2:3]
	v_fmac_f64_e32 v[16:17], v[18:19], v[14:15]
	v_fma_f64 v[18:19], -v[16:17], v[16:17], v[2:3]
	v_fmac_f64_e32 v[16:17], v[18:19], v[14:15]
	v_ldexp_f64 v[14:15], v[16:17], s4
	v_cndmask_b32_e32 v3, v15, v3, vcc
	v_cndmask_b32_e32 v2, v14, v2, vcc
	ds_write_b64 v7, v[2:3] offset:464
.LBB24_98:
	s_or_b64 exec, exec, s[2:3]
	v_mov_b32_e32 v2, 0
	s_waitcnt lgkmcnt(0)
	ds_read_b64 v[2:3], v2 offset:464
	v_mov_b32_e32 v7, 0x3ff00000
	s_waitcnt lgkmcnt(0)
	v_cmp_neq_f64_e32 vcc, 0, v[2:3]
	s_nop 1
	v_cndmask_b32_e32 v3, v7, v3, vcc
	s_nor_b64 s[2:3], vcc, s[0:1]
	v_cndmask_b32_e32 v2, 0, v2, vcc
	s_and_saveexec_b64 s[0:1], s[2:3]
	s_cbranch_execz .LBB24_102
; %bb.99:
	v_mbcnt_lo_u32_b32 v2, exec_lo, 0
	v_mbcnt_hi_u32_b32 v2, exec_hi, v2
	v_cmp_eq_u32_e32 vcc, 0, v2
	s_and_saveexec_b64 s[2:3], vcc
	s_cbranch_execz .LBB24_101
; %bb.100:
	v_mov_b32_e32 v2, 0
	v_mov_b32_e32 v3, s14
	global_atomic_smin v2, v3, s[10:11]
.LBB24_101:
	s_or_b64 exec, exec, s[2:3]
	v_mov_b64_e32 v[2:3], 1.0
.LBB24_102:
	s_or_b64 exec, exec, s[0:1]
	v_cmp_lt_u32_e32 vcc, 3, v9
	s_and_saveexec_b64 s[0:1], vcc
	s_cbranch_execz .LBB24_104
; %bb.103:
	ds_read_b64 v[14:15], v5 offset:24
	ds_read_b64 v[16:17], v11 offset:24
	s_waitcnt lgkmcnt(0)
	v_add_f64 v[14:15], v[14:15], -v[16:17]
	v_div_scale_f64 v[16:17], s[2:3], v[2:3], v[2:3], v[14:15]
	v_rcp_f64_e32 v[18:19], v[16:17]
	v_div_scale_f64 v[20:21], vcc, v[14:15], v[2:3], v[14:15]
	v_fma_f64 v[22:23], -v[16:17], v[18:19], 1.0
	v_fmac_f64_e32 v[18:19], v[18:19], v[22:23]
	v_fma_f64 v[22:23], -v[16:17], v[18:19], 1.0
	v_fmac_f64_e32 v[18:19], v[18:19], v[22:23]
	v_mul_f64 v[22:23], v[20:21], v[18:19]
	v_fma_f64 v[16:17], -v[16:17], v[22:23], v[20:21]
	v_div_fmas_f64 v[16:17], v[16:17], v[18:19], v[22:23]
	v_div_fixup_f64 v[2:3], v[16:17], v[2:3], v[14:15]
	ds_write_b64 v5, v[2:3] offset:24
	s_waitcnt lgkmcnt(0)
	ds_read_b64 v[6:7], v6 offset:24
	ds_read_b64 v[14:15], v10
	s_waitcnt lgkmcnt(0)
	v_fmac_f64_e32 v[14:15], v[2:3], v[6:7]
	ds_write_b64 v10, v[14:15]
.LBB24_104:
	s_or_b64 exec, exec, s[0:1]
	s_waitcnt lgkmcnt(0)
	ds_read_b64 v[2:3], v4
	v_cmp_eq_u32_e32 vcc, 0, v12
	s_waitcnt lgkmcnt(0)
	global_store_dwordx2 v[0:1], v[2:3], off
	s_and_saveexec_b64 s[0:1], vcc
	s_cbranch_execz .LBB24_106
; %bb.105:
	s_add_u32 s2, s6, s8
	s_addc_u32 s3, s7, s9
	v_mov_b32_e32 v0, 0
	v_mov_b32_e32 v1, 1
	buffer_wbl2 sc1
	s_waitcnt vmcnt(0)
	global_store_dword v0, v1, s[2:3] sc1
.LBB24_106:
	s_or_b64 exec, exec, s[0:1]
	s_branch .LBB24_17
.LBB24_107:
	v_or_b32_e32 v0, v8, v9
	v_cmp_eq_u32_e32 vcc, 0, v0
	s_and_saveexec_b64 s[0:1], vcc
	s_cbranch_execz .LBB24_17
; %bb.108:
	v_mbcnt_lo_u32_b32 v0, exec_lo, 0
	v_mbcnt_hi_u32_b32 v0, exec_hi, v0
	v_cmp_eq_u32_e32 vcc, 0, v0
	s_and_saveexec_b64 s[0:1], vcc
	s_cbranch_execz .LBB24_110
; %bb.109:
	s_add_i32 s2, s16, s17
	v_mov_b32_e32 v0, 0
	v_mov_b32_e32 v1, s2
	global_atomic_smin v0, v1, s[10:11]
.LBB24_110:
	s_or_b64 exec, exec, s[0:1]
	s_add_u32 s0, s6, s8
	s_addc_u32 s1, s7, s9
	v_mov_b32_e32 v0, 0
	v_mov_b32_e32 v1, 1
	buffer_wbl2 sc1
	s_waitcnt vmcnt(0)
	global_store_dword v0, v1, s[0:1] sc1
	s_endpgm
	.section	.rodata,"a",@progbits
	.p2align	6, 0x0
	.amdhsa_kernel _ZN9rocsparseL26bsric0_2_8_unrolled_kernelILi16ELi32ELi4EdEEv20rocsparse_direction_iiPKiS3_PT2_S3_PiS3_S6_21rocsparse_index_base_
		.amdhsa_group_segment_fixed_size 1024
		.amdhsa_private_segment_fixed_size 0
		.amdhsa_kernarg_size 76
		.amdhsa_user_sgpr_count 2
		.amdhsa_user_sgpr_dispatch_ptr 0
		.amdhsa_user_sgpr_queue_ptr 0
		.amdhsa_user_sgpr_kernarg_segment_ptr 1
		.amdhsa_user_sgpr_dispatch_id 0
		.amdhsa_user_sgpr_kernarg_preload_length 0
		.amdhsa_user_sgpr_kernarg_preload_offset 0
		.amdhsa_user_sgpr_private_segment_size 0
		.amdhsa_uses_dynamic_stack 0
		.amdhsa_enable_private_segment 0
		.amdhsa_system_sgpr_workgroup_id_x 1
		.amdhsa_system_sgpr_workgroup_id_y 0
		.amdhsa_system_sgpr_workgroup_id_z 0
		.amdhsa_system_sgpr_workgroup_info 0
		.amdhsa_system_vgpr_workitem_id 1
		.amdhsa_next_free_vgpr 68
		.amdhsa_next_free_sgpr 40
		.amdhsa_accum_offset 68
		.amdhsa_reserve_vcc 1
		.amdhsa_float_round_mode_32 0
		.amdhsa_float_round_mode_16_64 0
		.amdhsa_float_denorm_mode_32 3
		.amdhsa_float_denorm_mode_16_64 3
		.amdhsa_dx10_clamp 1
		.amdhsa_ieee_mode 1
		.amdhsa_fp16_overflow 0
		.amdhsa_tg_split 0
		.amdhsa_exception_fp_ieee_invalid_op 0
		.amdhsa_exception_fp_denorm_src 0
		.amdhsa_exception_fp_ieee_div_zero 0
		.amdhsa_exception_fp_ieee_overflow 0
		.amdhsa_exception_fp_ieee_underflow 0
		.amdhsa_exception_fp_ieee_inexact 0
		.amdhsa_exception_int_div_zero 0
	.end_amdhsa_kernel
	.section	.text._ZN9rocsparseL26bsric0_2_8_unrolled_kernelILi16ELi32ELi4EdEEv20rocsparse_direction_iiPKiS3_PT2_S3_PiS3_S6_21rocsparse_index_base_,"axG",@progbits,_ZN9rocsparseL26bsric0_2_8_unrolled_kernelILi16ELi32ELi4EdEEv20rocsparse_direction_iiPKiS3_PT2_S3_PiS3_S6_21rocsparse_index_base_,comdat
.Lfunc_end24:
	.size	_ZN9rocsparseL26bsric0_2_8_unrolled_kernelILi16ELi32ELi4EdEEv20rocsparse_direction_iiPKiS3_PT2_S3_PiS3_S6_21rocsparse_index_base_, .Lfunc_end24-_ZN9rocsparseL26bsric0_2_8_unrolled_kernelILi16ELi32ELi4EdEEv20rocsparse_direction_iiPKiS3_PT2_S3_PiS3_S6_21rocsparse_index_base_
                                        ; -- End function
	.set _ZN9rocsparseL26bsric0_2_8_unrolled_kernelILi16ELi32ELi4EdEEv20rocsparse_direction_iiPKiS3_PT2_S3_PiS3_S6_21rocsparse_index_base_.num_vgpr, 68
	.set _ZN9rocsparseL26bsric0_2_8_unrolled_kernelILi16ELi32ELi4EdEEv20rocsparse_direction_iiPKiS3_PT2_S3_PiS3_S6_21rocsparse_index_base_.num_agpr, 0
	.set _ZN9rocsparseL26bsric0_2_8_unrolled_kernelILi16ELi32ELi4EdEEv20rocsparse_direction_iiPKiS3_PT2_S3_PiS3_S6_21rocsparse_index_base_.numbered_sgpr, 40
	.set _ZN9rocsparseL26bsric0_2_8_unrolled_kernelILi16ELi32ELi4EdEEv20rocsparse_direction_iiPKiS3_PT2_S3_PiS3_S6_21rocsparse_index_base_.num_named_barrier, 0
	.set _ZN9rocsparseL26bsric0_2_8_unrolled_kernelILi16ELi32ELi4EdEEv20rocsparse_direction_iiPKiS3_PT2_S3_PiS3_S6_21rocsparse_index_base_.private_seg_size, 0
	.set _ZN9rocsparseL26bsric0_2_8_unrolled_kernelILi16ELi32ELi4EdEEv20rocsparse_direction_iiPKiS3_PT2_S3_PiS3_S6_21rocsparse_index_base_.uses_vcc, 1
	.set _ZN9rocsparseL26bsric0_2_8_unrolled_kernelILi16ELi32ELi4EdEEv20rocsparse_direction_iiPKiS3_PT2_S3_PiS3_S6_21rocsparse_index_base_.uses_flat_scratch, 0
	.set _ZN9rocsparseL26bsric0_2_8_unrolled_kernelILi16ELi32ELi4EdEEv20rocsparse_direction_iiPKiS3_PT2_S3_PiS3_S6_21rocsparse_index_base_.has_dyn_sized_stack, 0
	.set _ZN9rocsparseL26bsric0_2_8_unrolled_kernelILi16ELi32ELi4EdEEv20rocsparse_direction_iiPKiS3_PT2_S3_PiS3_S6_21rocsparse_index_base_.has_recursion, 0
	.set _ZN9rocsparseL26bsric0_2_8_unrolled_kernelILi16ELi32ELi4EdEEv20rocsparse_direction_iiPKiS3_PT2_S3_PiS3_S6_21rocsparse_index_base_.has_indirect_call, 0
	.section	.AMDGPU.csdata,"",@progbits
; Kernel info:
; codeLenInByte = 6708
; TotalNumSgprs: 46
; NumVgprs: 68
; NumAgprs: 0
; TotalNumVgprs: 68
; ScratchSize: 0
; MemoryBound: 1
; FloatMode: 240
; IeeeMode: 1
; LDSByteSize: 1024 bytes/workgroup (compile time only)
; SGPRBlocks: 5
; VGPRBlocks: 8
; NumSGPRsForWavesPerEU: 46
; NumVGPRsForWavesPerEU: 68
; AccumOffset: 68
; Occupancy: 7
; WaveLimiterHint : 1
; COMPUTE_PGM_RSRC2:SCRATCH_EN: 0
; COMPUTE_PGM_RSRC2:USER_SGPR: 2
; COMPUTE_PGM_RSRC2:TRAP_HANDLER: 0
; COMPUTE_PGM_RSRC2:TGID_X_EN: 1
; COMPUTE_PGM_RSRC2:TGID_Y_EN: 0
; COMPUTE_PGM_RSRC2:TGID_Z_EN: 0
; COMPUTE_PGM_RSRC2:TIDIG_COMP_CNT: 1
; COMPUTE_PGM_RSRC3_GFX90A:ACCUM_OFFSET: 16
; COMPUTE_PGM_RSRC3_GFX90A:TG_SPLIT: 0
	.section	.text._ZN9rocsparseL26bsric0_2_8_unrolled_kernelILi25ELi32ELi5EdEEv20rocsparse_direction_iiPKiS3_PT2_S3_PiS3_S6_21rocsparse_index_base_,"axG",@progbits,_ZN9rocsparseL26bsric0_2_8_unrolled_kernelILi25ELi32ELi5EdEEv20rocsparse_direction_iiPKiS3_PT2_S3_PiS3_S6_21rocsparse_index_base_,comdat
	.globl	_ZN9rocsparseL26bsric0_2_8_unrolled_kernelILi25ELi32ELi5EdEEv20rocsparse_direction_iiPKiS3_PT2_S3_PiS3_S6_21rocsparse_index_base_ ; -- Begin function _ZN9rocsparseL26bsric0_2_8_unrolled_kernelILi25ELi32ELi5EdEEv20rocsparse_direction_iiPKiS3_PT2_S3_PiS3_S6_21rocsparse_index_base_
	.p2align	8
	.type	_ZN9rocsparseL26bsric0_2_8_unrolled_kernelILi25ELi32ELi5EdEEv20rocsparse_direction_iiPKiS3_PT2_S3_PiS3_S6_21rocsparse_index_base_,@function
_ZN9rocsparseL26bsric0_2_8_unrolled_kernelILi25ELi32ELi5EdEEv20rocsparse_direction_iiPKiS3_PT2_S3_PiS3_S6_21rocsparse_index_base_: ; @_ZN9rocsparseL26bsric0_2_8_unrolled_kernelILi25ELi32ELi5EdEEv20rocsparse_direction_iiPKiS3_PT2_S3_PiS3_S6_21rocsparse_index_base_
; %bb.0:
	s_load_dwordx8 s[4:11], s[0:1], 0x28
	s_mov_b32 s3, 0
	s_lshl_b64 s[2:3], s[2:3], 2
	v_and_b32_e32 v12, 0x3ff, v0
	v_bfe_u32 v13, v0, 10, 10
	s_waitcnt lgkmcnt(0)
	s_add_u32 s2, s8, s2
	s_addc_u32 s3, s9, s3
	s_load_dword s16, s[2:3], 0x0
	s_waitcnt lgkmcnt(0)
	s_ashr_i32 s17, s16, 31
	s_lshl_b64 s[8:9], s[16:17], 2
	s_add_u32 s2, s4, s8
	s_addc_u32 s3, s5, s9
	s_load_dword s30, s[2:3], 0x0
	s_load_dword s17, s[0:1], 0x48
	s_waitcnt lgkmcnt(0)
	s_cmp_lg_u32 s30, -1
	s_cbranch_scc0 .LBB25_109
; %bb.1:
	s_load_dwordx4 s[12:15], s[0:1], 0x10
	s_load_dwordx2 s[18:19], s[0:1], 0x20
	v_mad_u32_u24 v14, v13, 5, v12
	v_mul_u32_u24_e32 v17, 5, v13
	s_waitcnt lgkmcnt(0)
	s_add_u32 s2, s12, s8
	s_addc_u32 s3, s13, s9
	s_load_dword s26, s[2:3], 0x0
	s_waitcnt lgkmcnt(0)
	s_sub_i32 s31, s26, s17
	v_add_u32_e32 v0, s31, v14
	v_cmp_ge_i32_e32 vcc, s30, v0
	s_and_saveexec_b64 s[20:21], vcc
	s_cbranch_execz .LBB25_14
; %bb.2:
	v_add_u32_e32 v1, s26, v12
	v_add_u32_e32 v2, v1, v17
	v_subrev_u32_e32 v2, s17, v2
	v_add_u32_e32 v2, 25, v2
	s_add_i32 s2, s30, 1
	v_max_i32_e32 v2, s2, v2
	v_add_u32_e32 v2, s17, v2
	v_sub_u32_e32 v1, v2, v1
	v_subrev_u32_e32 v1, 25, v1
	v_cmp_ne_u32_e32 vcc, v1, v17
	s_mov_b64 s[22:23], -1
	s_nop 0
	v_addc_co_u32_e64 v2, s[2:3], 0, v17, vcc
	v_sub_u32_e32 v1, v1, v2
	s_mov_b32 s2, 0x51eb851f
	v_mul_hi_u32 v1, v1, s2
	v_lshrrev_b32_e32 v1, 3, v1
	v_addc_co_u32_e32 v4, vcc, 0, v1, vcc
	v_cmp_ne_u32_e32 vcc, 0, v4
	s_and_saveexec_b64 s[2:3], vcc
	s_cbranch_execz .LBB25_11
; %bb.3:
	v_add_u32_e32 v2, -1, v4
	v_add_u32_e32 v1, 25, v0
	v_lshrrev_b32_e32 v2, 1, v2
	v_add_u32_e32 v5, 1, v2
	v_cmp_lt_u32_e32 vcc, 14, v4
	v_mov_b64_e32 v[2:3], v[0:1]
	s_and_saveexec_b64 s[22:23], vcc
	s_cbranch_execz .LBB25_7
; %bb.4:
	v_and_b32_e32 v6, -8, v5
	s_mov_b64 s[24:25], 0
	v_mov_b64_e32 v[2:3], v[0:1]
.LBB25_5:                               ; =>This Inner Loop Header: Depth=1
	v_ashrrev_i32_e32 v11, 31, v2
	v_mov_b32_e32 v10, v2
	v_ashrrev_i32_e32 v9, 31, v3
	v_mov_b32_e32 v8, v3
	v_add_u32_e32 v18, 50, v2
	v_add_u32_e32 v20, 50, v3
	v_lshl_add_u64 v[10:11], v[10:11], 2, s[14:15]
	v_add_u32_e32 v22, 0x64, v2
	v_add_u32_e32 v24, 0x64, v3
	;; [unrolled: 1-line block ×12, first 2 shown]
	v_lshl_add_u64 v[8:9], v[8:9], 2, s[14:15]
	v_ashrrev_i32_e32 v21, 31, v20
	v_ashrrev_i32_e32 v19, 31, v18
	global_load_dword v1, v[10:11], off
	global_load_dword v7, v[8:9], off
	v_ashrrev_i32_e32 v25, 31, v24
	v_ashrrev_i32_e32 v23, 31, v22
	;; [unrolled: 1-line block ×12, first 2 shown]
	v_lshl_add_u64 v[8:9], v[18:19], 2, s[14:15]
	v_lshl_add_u64 v[10:11], v[20:21], 2, s[14:15]
	;; [unrolled: 1-line block ×13, first 2 shown]
	global_load_dword v15, v[10:11], off
	v_lshl_add_u64 v[10:11], v[44:45], 2, s[14:15]
	global_load_dword v16, v[8:9], off
	global_load_dword v19, v[48:49], off
	;; [unrolled: 1-line block ×13, first 2 shown]
	v_subrev_u32_e32 v9, s31, v2
	v_add_u32_e32 v6, -8, v6
	v_subrev_u32_e32 v8, s31, v3
	v_lshlrev_b32_e32 v9, 2, v9
	v_subrev_u32_e32 v11, s31, v18
	v_cmp_eq_u32_e32 vcc, 0, v6
	v_add_u32_e32 v3, 0x190, v3
	v_add_u32_e32 v2, 0x190, v2
	v_lshlrev_b32_e32 v8, 2, v8
	v_subrev_u32_e32 v10, s31, v20
	v_subrev_u32_e32 v18, s31, v24
	;; [unrolled: 1-line block ×13, first 2 shown]
	v_lshlrev_b32_e32 v11, 2, v11
	s_or_b64 s[24:25], vcc, s[24:25]
	v_lshlrev_b32_e32 v10, 2, v10
	v_lshlrev_b32_e32 v20, 2, v20
	;; [unrolled: 1-line block ×13, first 2 shown]
	s_waitcnt vmcnt(15)
	v_subrev_u32_e32 v1, s17, v1
	s_waitcnt vmcnt(14)
	v_subrev_u32_e32 v7, s17, v7
	ds_write_b32 v9, v1 offset:1216
	ds_write_b32 v8, v7 offset:1216
	s_waitcnt vmcnt(12)
	v_subrev_u32_e32 v7, s17, v16
	s_waitcnt vmcnt(11)
	v_subrev_u32_e32 v8, s17, v19
	;; [unrolled: 2-line block ×8, first 2 shown]
	v_subrev_u32_e32 v1, s17, v15
	v_subrev_u32_e32 v15, s17, v23
	;; [unrolled: 1-line block ×3, first 2 shown]
	s_waitcnt vmcnt(2)
	v_subrev_u32_e32 v29, s17, v37
	s_waitcnt vmcnt(1)
	v_subrev_u32_e32 v31, s17, v39
	;; [unrolled: 2-line block ×3, first 2 shown]
	ds_write_b32 v11, v7 offset:1216
	ds_write_b32 v10, v1 offset:1216
	;; [unrolled: 1-line block ×14, first 2 shown]
	s_andn2_b64 exec, exec, s[24:25]
	s_cbranch_execnz .LBB25_5
; %bb.6:
	s_or_b64 exec, exec, s[24:25]
.LBB25_7:
	s_or_b64 exec, exec, s[22:23]
	v_and_b32_e32 v1, 7, v5
	v_cmp_ne_u32_e32 vcc, 0, v1
	s_and_saveexec_b64 s[22:23], vcc
	s_cbranch_execz .LBB25_10
; %bb.8:
	v_sub_u32_e32 v1, 0, v1
	s_mov_b64 s[24:25], 0
.LBB25_9:                               ; =>This Inner Loop Header: Depth=1
	v_ashrrev_i32_e32 v7, 31, v3
	v_mov_b32_e32 v6, v3
	v_ashrrev_i32_e32 v9, 31, v2
	v_mov_b32_e32 v8, v2
	v_lshl_add_u64 v[6:7], v[6:7], 2, s[14:15]
	v_lshl_add_u64 v[8:9], v[8:9], 2, s[14:15]
	global_load_dword v5, v[6:7], off
	global_load_dword v10, v[8:9], off
	v_subrev_u32_e32 v7, s31, v2
	v_add_co_u32_e32 v1, vcc, 1, v1
	v_subrev_u32_e32 v6, s31, v3
	v_add_u32_e32 v3, 50, v3
	v_add_u32_e32 v2, 50, v2
	v_lshlrev_b32_e32 v7, 2, v7
	s_or_b64 s[24:25], vcc, s[24:25]
	v_lshlrev_b32_e32 v6, 2, v6
	s_waitcnt vmcnt(1)
	v_subrev_u32_e32 v5, s17, v5
	s_waitcnt vmcnt(0)
	v_subrev_u32_e32 v8, s17, v10
	ds_write_b32 v7, v8 offset:1216
	ds_write_b32 v6, v5 offset:1216
	s_andn2_b64 exec, exec, s[24:25]
	s_cbranch_execnz .LBB25_9
.LBB25_10:
	s_or_b64 exec, exec, s[22:23]
	v_add_u32_e32 v2, 1, v4
	v_and_b32_e32 v3, 0x3ffffffe, v2
	v_mad_u64_u32 v[0:1], s[22:23], v3, 25, v[0:1]
	v_cmp_ne_u32_e32 vcc, v2, v3
	s_orn2_b64 s[22:23], vcc, exec
.LBB25_11:
	s_or_b64 exec, exec, s[2:3]
	s_and_b64 exec, exec, s[22:23]
	s_cbranch_execz .LBB25_14
; %bb.12:
	v_add_u32_e32 v1, s17, v0
	v_subrev_u32_e32 v1, s26, v1
	v_mov_b32_e32 v2, 0x4c0
	v_lshl_add_u32 v4, v1, 2, v2
	v_ashrrev_i32_e32 v1, 31, v0
	v_lshl_add_u64 v[2:3], v[0:1], 2, s[14:15]
	s_mov_b64 s[2:3], 0
	s_mov_b64 s[22:23], 0x64
.LBB25_13:                              ; =>This Inner Loop Header: Depth=1
	global_load_dword v1, v[2:3], off
	v_add_u32_e32 v0, 25, v0
	v_cmp_lt_i32_e32 vcc, s30, v0
	v_lshl_add_u64 v[2:3], v[2:3], 0, s[22:23]
	s_or_b64 s[2:3], vcc, s[2:3]
	s_waitcnt vmcnt(0)
	v_subrev_u32_e32 v1, s17, v1
	ds_write_b32 v4, v1
	v_add_u32_e32 v4, 0x64, v4
	s_andn2_b64 exec, exec, s[2:3]
	s_cbranch_execnz .LBB25_13
.LBB25_14:
	s_or_b64 exec, exec, s[20:21]
	s_load_dword s33, s[0:1], 0x0
	v_mov_b32_e32 v0, 0x2d0
	v_mad_u32_u24 v16, v13, 48, v0
	v_mov_b32_e32 v0, 0
	v_lshl_add_u32 v15, v12, 3, v16
	v_mov_b32_e32 v1, v0
	s_cmp_ge_i32 s31, s30
	v_mad_u32_u24 v3, v12, 5, v13
	ds_write_b64 v15, v[0:1]
	s_waitcnt lgkmcnt(0)
	s_cbranch_scc1 .LBB25_61
; %bb.15:
	s_cmp_lg_u32 s33, 0
	s_cselect_b64 s[2:3], -1, 0
	s_cmp_eq_u32 s33, 0
	v_mov_b32_e32 v4, 0x1e0
	v_mov_b32_e32 v6, 0xf0
	v_mad_u32_u24 v2, v12, 5, v13
	v_mad_u32_u24 v18, v13, 48, v4
	v_lshlrev_b32_e32 v5, 3, v12
	v_mad_u32_u24 v21, v13, 48, v6
	v_mad_u32_u24 v23, v12, 48, v4
	v_or_b32_e32 v4, v12, v13
	s_cselect_b64 vcc, -1, 0
	v_mul_u32_u24_e32 v1, 5, v12
	v_add_u32_e32 v19, v18, v5
	v_mad_u32_u24 v20, v13, 48, v5
	v_add_u32_e32 v22, v21, v5
	v_cmp_ne_u32_e64 s[0:1], 0, v4
	v_cndmask_b32_e32 v2, v2, v14, vcc
	v_mov_b32_e32 v24, 0x3ff00000
	s_mov_b32 s20, s31
	s_branch .LBB25_18
.LBB25_16:                              ;   in Loop: Header=BB25_18 Depth=1
	s_or_b64 exec, exec, s[24:25]
	v_mov_b64_e32 v[8:9], 1.0
.LBB25_17:                              ;   in Loop: Header=BB25_18 Depth=1
	s_or_b64 exec, exec, s[22:23]
	ds_read_b128 v[26:29], v18
	ds_read_b128 v[30:33], v0 offset:192
	ds_read_b64 v[10:11], v21 offset:32
	ds_read_b128 v[34:37], v0 offset:208
	ds_read_b128 v[38:41], v18 offset:16
	s_add_i32 s20, s20, 1
	s_cmp_ge_i32 s20, s30
	s_waitcnt lgkmcnt(2)
	v_fmac_f64_e32 v[10:11], v[30:31], v[26:27]
	v_fmac_f64_e32 v[10:11], v[32:33], v[28:29]
	s_waitcnt lgkmcnt(0)
	v_fmac_f64_e32 v[10:11], v[34:35], v[38:39]
	v_fmac_f64_e32 v[10:11], v[36:37], v[40:41]
	v_add_f64 v[6:7], v[6:7], -v[10:11]
	v_div_scale_f64 v[10:11], s[22:23], v[8:9], v[8:9], v[6:7]
	v_rcp_f64_e32 v[26:27], v[10:11]
	v_div_scale_f64 v[28:29], vcc, v[6:7], v[8:9], v[6:7]
	s_cselect_b64 s[22:23], -1, 0
	v_fma_f64 v[30:31], -v[10:11], v[26:27], 1.0
	v_fmac_f64_e32 v[26:27], v[26:27], v[30:31]
	v_fma_f64 v[30:31], -v[10:11], v[26:27], 1.0
	v_fmac_f64_e32 v[26:27], v[26:27], v[30:31]
	v_mul_f64 v[30:31], v[28:29], v[26:27]
	v_fma_f64 v[10:11], -v[10:11], v[30:31], v[28:29]
	v_div_fmas_f64 v[10:11], v[10:11], v[26:27], v[30:31]
	v_div_fixup_f64 v[6:7], v[10:11], v[8:9], v[6:7]
	ds_write_b64 v18, v[6:7] offset:32
	s_waitcnt lgkmcnt(0)
	ds_read_b64 v[8:9], v23 offset:32
	ds_read_b64 v[10:11], v15
	s_waitcnt lgkmcnt(0)
	v_fmac_f64_e32 v[10:11], v[6:7], v[8:9]
	ds_write_b64 v15, v[10:11]
	s_waitcnt lgkmcnt(0)
	ds_read_b64 v[6:7], v19
	s_waitcnt lgkmcnt(0)
	global_store_dwordx2 v[4:5], v[6:7], off
	buffer_wbl2 sc1
	s_waitcnt vmcnt(0)
	buffer_inv sc1
	s_and_b64 vcc, exec, s[22:23]
	s_cbranch_vccnz .LBB25_61
.LBB25_18:                              ; =>This Loop Header: Depth=1
                                        ;     Child Loop BB25_21 Depth 2
                                        ;     Child Loop BB25_32 Depth 2
	;; [unrolled: 1-line block ×3, first 2 shown]
	s_ashr_i32 s21, s20, 31
	s_lshl_b64 s[22:23], s[20:21], 2
	s_add_u32 s22, s14, s22
	s_addc_u32 s23, s15, s23
	s_load_dword s21, s[22:23], 0x0
	s_waitcnt lgkmcnt(0)
	s_sub_i32 s24, s21, s17
	s_ashr_i32 s25, s24, 31
	s_lshl_b64 s[22:23], s[24:25], 2
	s_add_u32 s26, s4, s22
	s_addc_u32 s27, s5, s23
	s_load_dword s25, s[26:27], 0x0
	s_waitcnt lgkmcnt(0)
	s_cmp_eq_u32 s25, -1
	s_cbranch_scc1 .LBB25_60
; %bb.19:                               ;   in Loop: Header=BB25_18 Depth=1
	v_mad_u64_u32 v[4:5], s[26:27], s20, 25, v[2:3]
	v_ashrrev_i32_e32 v5, 31, v4
	v_lshl_add_u64 v[4:5], v[4:5], 3, s[18:19]
	global_load_dwordx2 v[6:7], v[4:5], off
	s_add_u32 s26, s12, s22
	s_addc_u32 s27, s13, s23
	s_load_dword s26, s[26:27], 0x0
	ds_read_b32 v8, v0 offset:1216
	s_mov_b32 s27, 0
	s_waitcnt lgkmcnt(0)
	s_sub_i32 s26, s26, s17
	s_cmp_le_i32 s26, s25
	v_cmp_ge_i32_e32 vcc, s24, v8
	s_cselect_b64 s[28:29], -1, 0
	s_and_b64 s[28:29], s[28:29], vcc
	s_andn2_b64 vcc, exec, s[28:29]
	s_waitcnt vmcnt(0)
	ds_write_b64 v19, v[6:7]
	s_cbranch_vccnz .LBB25_31
; %bb.20:                               ;   in Loop: Header=BB25_18 Depth=1
	s_mov_b32 s34, 0
	s_mov_b32 s35, 0
.LBB25_21:                              ;   Parent Loop BB25_18 Depth=1
                                        ; =>  This Inner Loop Header: Depth=2
	s_ashr_i32 s27, s26, 31
	s_lshl_b64 s[28:29], s[26:27], 2
	s_add_u32 s28, s14, s28
	s_addc_u32 s29, s15, s29
	s_load_dword s27, s[28:29], 0x0
	s_lshl_b32 s28, s35, 2
	v_mov_b32_e32 v6, s28
	ds_read_b32 v6, v6 offset:1216
	s_mov_b64 s[28:29], -1
	s_waitcnt lgkmcnt(0)
	s_sub_i32 s39, s27, s17
                                        ; implicit-def: $sgpr27
                                        ; implicit-def: $sgpr38
                                        ; implicit-def: $sgpr37
	v_cmp_ge_i32_e32 vcc, s39, v6
	v_readfirstlane_b32 s36, v6
	s_cbranch_vccz .LBB25_27
; %bb.22:                               ;   in Loop: Header=BB25_21 Depth=2
	s_cmp_le_i32 s39, s36
                                        ; implicit-def: $sgpr27
                                        ; implicit-def: $sgpr38
                                        ; implicit-def: $sgpr37
	s_cbranch_scc0 .LBB25_24
; %bb.23:                               ;   in Loop: Header=BB25_21 Depth=2
	s_add_i32 s27, s35, s31
	s_mul_i32 s27, s27, 25
	s_lshl_b32 s28, s34, 2
	v_mov_b32_e32 v6, s28
	v_mov_b32_e32 v7, s27
	s_mul_i32 s27, s26, 25
	v_mov_b32_e32 v8, s27
	v_add_u32_e32 v6, 0x200, v6
	ds_write2_b32 v6, v8, v7 offset0:112 offset1:144
	s_add_i32 s37, s35, 1
	s_add_i32 s38, s26, 1
	;; [unrolled: 1-line block ×3, first 2 shown]
	s_mov_b64 s[28:29], 0
.LBB25_24:                              ;   in Loop: Header=BB25_21 Depth=2
	s_andn2_b64 vcc, exec, s[28:29]
	s_cbranch_vccnz .LBB25_26
; %bb.25:                               ;   in Loop: Header=BB25_21 Depth=2
	s_add_i32 s37, s35, 1
	s_mov_b32 s27, s34
	s_mov_b32 s38, s26
.LBB25_26:                              ;   in Loop: Header=BB25_21 Depth=2
	s_mov_b64 s[28:29], 0
.LBB25_27:                              ;   in Loop: Header=BB25_21 Depth=2
	s_andn2_b64 vcc, exec, s[28:29]
	s_cbranch_vccnz .LBB25_29
; %bb.28:                               ;   in Loop: Header=BB25_21 Depth=2
	s_add_i32 s38, s26, 1
	s_mov_b32 s37, s35
	s_mov_b32 s27, s34
.LBB25_29:                              ;   in Loop: Header=BB25_21 Depth=2
	s_cmp_le_i32 s38, s25
	s_cselect_b64 s[28:29], -1, 0
	s_cmp_le_i32 s36, s24
	s_cselect_b64 s[34:35], -1, 0
	s_and_b64 s[28:29], s[28:29], s[34:35]
	s_and_b64 vcc, exec, s[28:29]
	s_cbranch_vccz .LBB25_31
; %bb.30:                               ;   in Loop: Header=BB25_21 Depth=2
	s_mov_b32 s34, s27
	s_mov_b32 s26, s38
	;; [unrolled: 1-line block ×3, first 2 shown]
	s_branch .LBB25_21
.LBB25_31:                              ;   in Loop: Header=BB25_18 Depth=1
	s_add_u32 s22, s6, s22
	s_addc_u32 s23, s7, s23
	s_waitcnt lgkmcnt(0)
.LBB25_32:                              ;   Parent Loop BB25_18 Depth=1
                                        ; =>  This Inner Loop Header: Depth=2
	global_load_dword v6, v0, s[22:23] sc1
	s_waitcnt vmcnt(0)
	v_cmp_eq_u32_e32 vcc, 0, v6
	s_cbranch_vccnz .LBB25_32
; %bb.33:                               ;   in Loop: Header=BB25_18 Depth=1
	v_mad_u64_u32 v[6:7], s[22:23], s25, 25, v[2:3]
	v_ashrrev_i32_e32 v7, 31, v6
	v_lshl_add_u64 v[6:7], v[6:7], 3, s[18:19]
	buffer_inv sc1
	global_load_dwordx2 v[6:7], v[6:7], off
	s_cmp_lt_i32 s27, 2
	v_mov_b64_e32 v[10:11], 0
	s_waitcnt vmcnt(0)
	ds_write_b64 v20, v[6:7]
	s_waitcnt lgkmcnt(0)
	s_cbranch_scc1 .LBB25_41
; %bb.34:                               ;   in Loop: Header=BB25_18 Depth=1
	s_add_i32 s24, s27, -1
	v_mov_b64_e32 v[6:7], 0
	s_movk_i32 s25, 0x3c0
.LBB25_35:                              ;   Parent Loop BB25_18 Depth=1
                                        ; =>  This Inner Loop Header: Depth=2
	s_waitcnt lgkmcnt(0)
	v_mov_b32_e32 v8, s25
	ds_read2_b32 v[8:9], v8 offset1:32
	s_mov_b64 s[22:23], -1
	s_and_b64 vcc, exec, s[2:3]
                                        ; implicit-def: $vgpr10_vgpr11
	s_cbranch_vccz .LBB25_38
; %bb.36:                               ;   in Loop: Header=BB25_35 Depth=2
	s_waitcnt lgkmcnt(0)
	v_add_u32_e32 v10, v8, v12
	v_add_u32_e32 v28, v9, v13
	v_ashrrev_i32_e32 v11, 31, v10
	v_add_u32_e32 v32, 5, v10
	v_add_u32_e32 v34, 5, v28
	v_lshl_add_u64 v[26:27], v[10:11], 3, s[18:19]
	v_ashrrev_i32_e32 v29, 31, v28
	v_ashrrev_i32_e32 v33, 31, v32
	;; [unrolled: 1-line block ×3, first 2 shown]
	v_lshl_add_u64 v[30:31], v[28:29], 3, s[18:19]
	v_lshl_add_u64 v[32:33], v[32:33], 3, s[18:19]
	;; [unrolled: 1-line block ×3, first 2 shown]
	global_load_dwordx2 v[36:37], v[26:27], off
	global_load_dwordx2 v[38:39], v[30:31], off
	;; [unrolled: 1-line block ×4, first 2 shown]
	v_add_u32_e32 v26, 10, v10
	v_ashrrev_i32_e32 v27, 31, v26
	v_add_u32_e32 v30, 10, v28
	v_add_u32_e32 v32, 15, v10
	;; [unrolled: 1-line block ×3, first 2 shown]
	v_lshl_add_u64 v[26:27], v[26:27], 3, s[18:19]
	v_ashrrev_i32_e32 v31, 31, v30
	v_ashrrev_i32_e32 v33, 31, v32
	;; [unrolled: 1-line block ×3, first 2 shown]
	v_add_u32_e32 v10, 20, v10
	v_lshl_add_u64 v[30:31], v[30:31], 3, s[18:19]
	v_lshl_add_u64 v[32:33], v[32:33], 3, s[18:19]
	;; [unrolled: 1-line block ×3, first 2 shown]
	global_load_dwordx2 v[44:45], v[26:27], off
	global_load_dwordx2 v[46:47], v[30:31], off
	;; [unrolled: 1-line block ×4, first 2 shown]
	v_ashrrev_i32_e32 v11, 31, v10
	v_add_u32_e32 v26, 20, v28
	v_lshl_add_u64 v[10:11], v[10:11], 3, s[18:19]
	v_ashrrev_i32_e32 v27, 31, v26
	v_lshl_add_u64 v[26:27], v[26:27], 3, s[18:19]
	global_load_dwordx2 v[28:29], v[10:11], off
	global_load_dwordx2 v[30:31], v[26:27], off
	s_waitcnt vmcnt(8)
	v_fma_f64 v[10:11], v[36:37], v[38:39], v[6:7]
	s_waitcnt vmcnt(6)
	v_fmac_f64_e32 v[10:11], v[40:41], v[42:43]
	s_waitcnt vmcnt(4)
	v_fmac_f64_e32 v[10:11], v[44:45], v[46:47]
	;; [unrolled: 2-line block ×4, first 2 shown]
	s_cbranch_execz .LBB25_39
.LBB25_37:                              ;   in Loop: Header=BB25_35 Depth=2
	s_add_i32 s24, s24, -1
	s_add_i32 s25, s25, 4
	s_cmp_eq_u32 s24, 0
	s_cbranch_scc0 .LBB25_40
	s_branch .LBB25_41
.LBB25_38:                              ;   in Loop: Header=BB25_35 Depth=2
	s_andn2_b64 vcc, exec, s[22:23]
	s_cbranch_vccnz .LBB25_37
.LBB25_39:                              ;   in Loop: Header=BB25_35 Depth=2
	s_waitcnt lgkmcnt(0)
	v_add_u32_e32 v10, v8, v1
	v_add_u32_e32 v8, v9, v17
	v_ashrrev_i32_e32 v9, 31, v8
	v_ashrrev_i32_e32 v11, 31, v10
	v_lshl_add_u64 v[40:41], v[8:9], 3, s[18:19]
	v_lshl_add_u64 v[38:39], v[10:11], 3, s[18:19]
	global_load_dwordx4 v[8:11], v[40:41], off
	global_load_dwordx4 v[26:29], v[38:39], off
	global_load_dwordx4 v[30:33], v[38:39], off offset:16
	global_load_dwordx4 v[34:37], v[40:41], off offset:16
	global_load_dwordx2 v[42:43], v[38:39], off offset:32
	global_load_dwordx2 v[44:45], v[40:41], off offset:32
	s_waitcnt vmcnt(4)
	v_fmac_f64_e32 v[6:7], v[26:27], v[8:9]
	v_fmac_f64_e32 v[6:7], v[28:29], v[10:11]
	s_waitcnt vmcnt(2)
	v_fmac_f64_e32 v[6:7], v[30:31], v[34:35]
	v_fmac_f64_e32 v[6:7], v[32:33], v[36:37]
	s_waitcnt vmcnt(0)
	v_fmac_f64_e32 v[6:7], v[42:43], v[44:45]
	v_mov_b64_e32 v[10:11], v[6:7]
	s_add_i32 s24, s24, -1
	s_add_i32 s25, s25, 4
	s_cmp_eq_u32 s24, 0
	s_cbranch_scc1 .LBB25_41
.LBB25_40:                              ;   in Loop: Header=BB25_35 Depth=2
	v_mov_b64_e32 v[6:7], v[10:11]
	s_branch .LBB25_35
.LBB25_41:                              ;   in Loop: Header=BB25_18 Depth=1
	ds_write_b64 v22, v[10:11]
	s_waitcnt lgkmcnt(0)
	ds_read_b64 v[8:9], v0
	ds_read_b64 v[6:7], v18
	s_waitcnt lgkmcnt(1)
	v_cmp_neq_f64_e32 vcc, 0, v[8:9]
	s_nop 1
	v_cndmask_b32_e32 v9, v24, v9, vcc
	s_nor_b64 s[24:25], vcc, s[0:1]
	v_cndmask_b32_e32 v8, 0, v8, vcc
	s_and_saveexec_b64 s[22:23], s[24:25]
	s_cbranch_execz .LBB25_45
; %bb.42:                               ;   in Loop: Header=BB25_18 Depth=1
	v_mbcnt_lo_u32_b32 v8, exec_lo, 0
	v_mbcnt_hi_u32_b32 v8, exec_hi, v8
	v_cmp_eq_u32_e32 vcc, 0, v8
	s_and_saveexec_b64 s[24:25], vcc
	s_cbranch_execz .LBB25_44
; %bb.43:                               ;   in Loop: Header=BB25_18 Depth=1
	v_mov_b32_e32 v8, s21
	global_atomic_smin v0, v8, s[10:11]
.LBB25_44:                              ;   in Loop: Header=BB25_18 Depth=1
	s_or_b64 exec, exec, s[24:25]
	v_mov_b64_e32 v[8:9], 1.0
.LBB25_45:                              ;   in Loop: Header=BB25_18 Depth=1
	s_or_b64 exec, exec, s[22:23]
	ds_read_b64 v[10:11], v21
	s_waitcnt lgkmcnt(0)
	v_add_f64 v[6:7], v[6:7], -v[10:11]
	v_div_scale_f64 v[10:11], s[22:23], v[8:9], v[8:9], v[6:7]
	v_rcp_f64_e32 v[26:27], v[10:11]
	v_div_scale_f64 v[28:29], vcc, v[6:7], v[8:9], v[6:7]
	v_fma_f64 v[30:31], -v[10:11], v[26:27], 1.0
	v_fmac_f64_e32 v[26:27], v[26:27], v[30:31]
	v_fma_f64 v[30:31], -v[10:11], v[26:27], 1.0
	v_fmac_f64_e32 v[26:27], v[26:27], v[30:31]
	v_mul_f64 v[30:31], v[28:29], v[26:27]
	v_fma_f64 v[10:11], -v[10:11], v[30:31], v[28:29]
	v_div_fmas_f64 v[10:11], v[10:11], v[26:27], v[30:31]
	v_div_fixup_f64 v[6:7], v[10:11], v[8:9], v[6:7]
	ds_write_b64 v18, v[6:7]
	s_waitcnt lgkmcnt(0)
	ds_read_b64 v[8:9], v23
	ds_read_b64 v[10:11], v15
	s_waitcnt lgkmcnt(0)
	v_fmac_f64_e32 v[10:11], v[6:7], v[8:9]
	ds_write_b64 v15, v[10:11]
	s_waitcnt lgkmcnt(0)
	ds_read_b64 v[8:9], v0 offset:56
	ds_read_b64 v[6:7], v18 offset:8
	s_waitcnt lgkmcnt(1)
	v_cmp_neq_f64_e32 vcc, 0, v[8:9]
	s_nop 1
	v_cndmask_b32_e32 v9, v24, v9, vcc
	s_nor_b64 s[24:25], vcc, s[0:1]
	v_cndmask_b32_e32 v8, 0, v8, vcc
	s_and_saveexec_b64 s[22:23], s[24:25]
	s_cbranch_execz .LBB25_49
; %bb.46:                               ;   in Loop: Header=BB25_18 Depth=1
	v_mbcnt_lo_u32_b32 v8, exec_lo, 0
	v_mbcnt_hi_u32_b32 v8, exec_hi, v8
	v_cmp_eq_u32_e32 vcc, 0, v8
	s_and_saveexec_b64 s[24:25], vcc
	s_cbranch_execz .LBB25_48
; %bb.47:                               ;   in Loop: Header=BB25_18 Depth=1
	v_mov_b32_e32 v8, s21
	global_atomic_smin v0, v8, s[10:11]
.LBB25_48:                              ;   in Loop: Header=BB25_18 Depth=1
	s_or_b64 exec, exec, s[24:25]
	v_mov_b64_e32 v[8:9], 1.0
.LBB25_49:                              ;   in Loop: Header=BB25_18 Depth=1
	s_or_b64 exec, exec, s[22:23]
	ds_read_b64 v[10:11], v0 offset:48
	ds_read_b64 v[26:27], v18
	ds_read_b64 v[28:29], v21 offset:8
	s_waitcnt lgkmcnt(0)
	v_fmac_f64_e32 v[28:29], v[10:11], v[26:27]
	v_add_f64 v[6:7], v[6:7], -v[28:29]
	v_div_scale_f64 v[10:11], s[22:23], v[8:9], v[8:9], v[6:7]
	v_rcp_f64_e32 v[26:27], v[10:11]
	v_div_scale_f64 v[28:29], vcc, v[6:7], v[8:9], v[6:7]
	v_fma_f64 v[30:31], -v[10:11], v[26:27], 1.0
	v_fmac_f64_e32 v[26:27], v[26:27], v[30:31]
	v_fma_f64 v[30:31], -v[10:11], v[26:27], 1.0
	v_fmac_f64_e32 v[26:27], v[26:27], v[30:31]
	v_mul_f64 v[30:31], v[28:29], v[26:27]
	v_fma_f64 v[10:11], -v[10:11], v[30:31], v[28:29]
	v_div_fmas_f64 v[10:11], v[10:11], v[26:27], v[30:31]
	v_div_fixup_f64 v[6:7], v[10:11], v[8:9], v[6:7]
	ds_write_b64 v18, v[6:7] offset:8
	s_waitcnt lgkmcnt(0)
	ds_read_b64 v[8:9], v23 offset:8
	ds_read_b64 v[10:11], v15
	s_waitcnt lgkmcnt(0)
	v_fmac_f64_e32 v[10:11], v[6:7], v[8:9]
	ds_write_b64 v15, v[10:11]
	s_waitcnt lgkmcnt(0)
	ds_read_b64 v[8:9], v0 offset:112
	ds_read_b64 v[6:7], v18 offset:16
	s_waitcnt lgkmcnt(1)
	v_cmp_neq_f64_e32 vcc, 0, v[8:9]
	s_nop 1
	v_cndmask_b32_e32 v9, v24, v9, vcc
	s_nor_b64 s[24:25], vcc, s[0:1]
	v_cndmask_b32_e32 v8, 0, v8, vcc
	s_and_saveexec_b64 s[22:23], s[24:25]
	s_cbranch_execz .LBB25_53
; %bb.50:                               ;   in Loop: Header=BB25_18 Depth=1
	v_mbcnt_lo_u32_b32 v8, exec_lo, 0
	v_mbcnt_hi_u32_b32 v8, exec_hi, v8
	v_cmp_eq_u32_e32 vcc, 0, v8
	s_and_saveexec_b64 s[24:25], vcc
	s_cbranch_execz .LBB25_52
; %bb.51:                               ;   in Loop: Header=BB25_18 Depth=1
	v_mov_b32_e32 v8, s21
	global_atomic_smin v0, v8, s[10:11]
.LBB25_52:                              ;   in Loop: Header=BB25_18 Depth=1
	s_or_b64 exec, exec, s[24:25]
	v_mov_b64_e32 v[8:9], 1.0
.LBB25_53:                              ;   in Loop: Header=BB25_18 Depth=1
	s_or_b64 exec, exec, s[22:23]
	ds_read_b128 v[26:29], v0 offset:96
	ds_read_b128 v[30:33], v18
	ds_read_b64 v[10:11], v21 offset:16
	s_waitcnt lgkmcnt(0)
	v_fmac_f64_e32 v[10:11], v[26:27], v[30:31]
	v_fmac_f64_e32 v[10:11], v[28:29], v[32:33]
	v_add_f64 v[6:7], v[6:7], -v[10:11]
	v_div_scale_f64 v[10:11], s[22:23], v[8:9], v[8:9], v[6:7]
	v_rcp_f64_e32 v[26:27], v[10:11]
	v_div_scale_f64 v[28:29], vcc, v[6:7], v[8:9], v[6:7]
	v_fma_f64 v[30:31], -v[10:11], v[26:27], 1.0
	v_fmac_f64_e32 v[26:27], v[26:27], v[30:31]
	v_fma_f64 v[30:31], -v[10:11], v[26:27], 1.0
	v_fmac_f64_e32 v[26:27], v[26:27], v[30:31]
	v_mul_f64 v[30:31], v[28:29], v[26:27]
	v_fma_f64 v[10:11], -v[10:11], v[30:31], v[28:29]
	v_div_fmas_f64 v[10:11], v[10:11], v[26:27], v[30:31]
	v_div_fixup_f64 v[6:7], v[10:11], v[8:9], v[6:7]
	ds_write_b64 v18, v[6:7] offset:16
	s_waitcnt lgkmcnt(0)
	ds_read_b64 v[8:9], v23 offset:16
	ds_read_b64 v[10:11], v15
	s_waitcnt lgkmcnt(0)
	v_fmac_f64_e32 v[10:11], v[6:7], v[8:9]
	ds_write_b64 v15, v[10:11]
	s_waitcnt lgkmcnt(0)
	ds_read_b64 v[8:9], v0 offset:168
	ds_read_b64 v[6:7], v18 offset:24
	s_waitcnt lgkmcnt(1)
	v_cmp_neq_f64_e32 vcc, 0, v[8:9]
	s_nop 1
	v_cndmask_b32_e32 v9, v24, v9, vcc
	s_nor_b64 s[24:25], vcc, s[0:1]
	v_cndmask_b32_e32 v8, 0, v8, vcc
	s_and_saveexec_b64 s[22:23], s[24:25]
	s_cbranch_execz .LBB25_57
; %bb.54:                               ;   in Loop: Header=BB25_18 Depth=1
	v_mbcnt_lo_u32_b32 v8, exec_lo, 0
	v_mbcnt_hi_u32_b32 v8, exec_hi, v8
	v_cmp_eq_u32_e32 vcc, 0, v8
	s_and_saveexec_b64 s[24:25], vcc
	s_cbranch_execz .LBB25_56
; %bb.55:                               ;   in Loop: Header=BB25_18 Depth=1
	v_mov_b32_e32 v8, s21
	global_atomic_smin v0, v8, s[10:11]
.LBB25_56:                              ;   in Loop: Header=BB25_18 Depth=1
	s_or_b64 exec, exec, s[24:25]
	v_mov_b64_e32 v[8:9], 1.0
.LBB25_57:                              ;   in Loop: Header=BB25_18 Depth=1
	s_or_b64 exec, exec, s[22:23]
	ds_read_b128 v[26:29], v18
	ds_read_b128 v[30:33], v0 offset:144
	ds_read_b64 v[10:11], v21 offset:24
	ds_read_b64 v[34:35], v0 offset:160
	;; [unrolled: 1-line block ×3, first 2 shown]
	s_waitcnt lgkmcnt(2)
	v_fmac_f64_e32 v[10:11], v[30:31], v[26:27]
	v_fmac_f64_e32 v[10:11], v[32:33], v[28:29]
	s_waitcnt lgkmcnt(0)
	v_fmac_f64_e32 v[10:11], v[34:35], v[36:37]
	v_add_f64 v[6:7], v[6:7], -v[10:11]
	v_div_scale_f64 v[10:11], s[22:23], v[8:9], v[8:9], v[6:7]
	v_rcp_f64_e32 v[26:27], v[10:11]
	v_div_scale_f64 v[28:29], vcc, v[6:7], v[8:9], v[6:7]
	v_fma_f64 v[30:31], -v[10:11], v[26:27], 1.0
	v_fmac_f64_e32 v[26:27], v[26:27], v[30:31]
	v_fma_f64 v[30:31], -v[10:11], v[26:27], 1.0
	v_fmac_f64_e32 v[26:27], v[26:27], v[30:31]
	v_mul_f64 v[30:31], v[28:29], v[26:27]
	v_fma_f64 v[10:11], -v[10:11], v[30:31], v[28:29]
	v_div_fmas_f64 v[10:11], v[10:11], v[26:27], v[30:31]
	v_div_fixup_f64 v[6:7], v[10:11], v[8:9], v[6:7]
	ds_write_b64 v18, v[6:7] offset:24
	s_waitcnt lgkmcnt(0)
	ds_read_b64 v[8:9], v23 offset:24
	ds_read_b64 v[10:11], v15
	s_waitcnt lgkmcnt(0)
	v_fmac_f64_e32 v[10:11], v[6:7], v[8:9]
	ds_write_b64 v15, v[10:11]
	s_waitcnt lgkmcnt(0)
	ds_read_b64 v[8:9], v0 offset:224
	ds_read_b64 v[6:7], v18 offset:32
	s_waitcnt lgkmcnt(1)
	v_cmp_neq_f64_e32 vcc, 0, v[8:9]
	s_nop 1
	v_cndmask_b32_e32 v9, v24, v9, vcc
	s_nor_b64 s[24:25], vcc, s[0:1]
	v_cndmask_b32_e32 v8, 0, v8, vcc
	s_and_saveexec_b64 s[22:23], s[24:25]
	s_cbranch_execz .LBB25_17
; %bb.58:                               ;   in Loop: Header=BB25_18 Depth=1
	v_mbcnt_lo_u32_b32 v8, exec_lo, 0
	v_mbcnt_hi_u32_b32 v8, exec_hi, v8
	v_cmp_eq_u32_e32 vcc, 0, v8
	s_and_saveexec_b64 s[24:25], vcc
	s_cbranch_execz .LBB25_16
; %bb.59:                               ;   in Loop: Header=BB25_18 Depth=1
	v_mov_b32_e32 v8, s21
	global_atomic_smin v0, v8, s[10:11]
	s_branch .LBB25_16
.LBB25_60:                              ;   in Loop: Header=BB25_18 Depth=1
                                        ; implicit-def: $sgpr20
	s_cbranch_execz .LBB25_18
.LBB25_61:
	s_cmp_lg_u32 s33, 0
	s_cselect_b64 s[4:5], -1, 0
	s_cmp_eq_u32 s33, 0
	v_mov_b32_e32 v0, v14
	s_cbranch_scc1 .LBB25_63
; %bb.62:
	v_mad_u32_u24 v0, v12, 5, v13
.LBB25_63:
	s_mul_i32 s30, s30, 25
	v_add_u32_e32 v0, s30, v0
	v_ashrrev_i32_e32 v1, 31, v0
	v_lshl_add_u64 v[0:1], v[0:1], 3, s[18:19]
	global_load_dwordx2 v[0:1], v[0:1], off
	v_mov_b32_e32 v2, 0x1e0
	v_mad_u32_u24 v4, v13, 48, v2
	v_cmp_ne_u32_e32 vcc, 0, v13
	v_lshl_add_u32 v2, v12, 3, v4
	v_cmp_eq_u32_e64 s[0:1], 0, v13
	s_waitcnt vmcnt(0)
	ds_write_b64 v2, v[0:1]
	s_waitcnt lgkmcnt(0)
	s_and_saveexec_b64 s[2:3], s[0:1]
	s_cbranch_execz .LBB25_65
; %bb.64:
	v_mov_b32_e32 v5, 0
	ds_read2_b64 v[6:9], v5 offset0:60 offset1:90
	s_mov_b32 s12, 0
	s_brev_b32 s13, 8
	v_mov_b32_e32 v17, 0x260
	s_waitcnt lgkmcnt(0)
	v_add_f64 v[0:1], v[6:7], -v[8:9]
	v_xor_b32_e32 v6, 0x80000000, v1
	v_cmp_gt_f64_e64 s[0:1], 0, v[0:1]
	s_nop 1
	v_cndmask_b32_e64 v1, v1, v6, s[0:1]
	v_cmp_gt_f64_e64 s[0:1], s[12:13], v[0:1]
	s_and_b64 s[0:1], s[0:1], exec
	s_cselect_b32 s0, 0x100, 0
	v_ldexp_f64 v[0:1], v[0:1], s0
	v_rsq_f64_e32 v[6:7], v[0:1]
	s_cselect_b32 s0, 0xffffff80, 0
	v_mul_f64 v[8:9], v[0:1], v[6:7]
	v_mul_f64 v[6:7], v[6:7], 0.5
	v_fma_f64 v[10:11], -v[6:7], v[8:9], 0.5
	v_fmac_f64_e32 v[8:9], v[8:9], v[10:11]
	v_fmac_f64_e32 v[6:7], v[6:7], v[10:11]
	v_fma_f64 v[10:11], -v[8:9], v[8:9], v[0:1]
	v_fmac_f64_e32 v[8:9], v[10:11], v[6:7]
	v_fma_f64 v[10:11], -v[8:9], v[8:9], v[0:1]
	v_fmac_f64_e32 v[8:9], v[10:11], v[6:7]
	v_ldexp_f64 v[6:7], v[8:9], s0
	v_cmp_class_f64_e64 s[0:1], v[0:1], v17
	s_nop 1
	v_cndmask_b32_e64 v1, v7, v1, s[0:1]
	v_cndmask_b32_e64 v0, v6, v0, s[0:1]
	ds_write_b64 v5, v[0:1] offset:480
.LBB25_65:
	s_or_b64 exec, exec, s[2:3]
	v_mov_b32_e32 v0, 0
	s_waitcnt lgkmcnt(0)
	ds_read_b64 v[0:1], v0 offset:480
	v_or_b32_e32 v5, v12, v13
	v_cmp_ne_u32_e64 s[0:1], 0, v5
	v_mov_b32_e32 v6, 0x3ff00000
	s_add_i32 s20, s16, s17
	s_waitcnt lgkmcnt(0)
	v_cmp_neq_f64_e64 s[2:3], 0, v[0:1]
	s_nor_b64 s[14:15], s[2:3], s[0:1]
	s_nop 0
	v_cndmask_b32_e64 v1, v6, v1, s[2:3]
	v_cndmask_b32_e64 v0, 0, v0, s[2:3]
	s_and_saveexec_b64 s[12:13], s[14:15]
	s_cbranch_execz .LBB25_69
; %bb.66:
	v_mbcnt_lo_u32_b32 v0, exec_lo, 0
	v_mbcnt_hi_u32_b32 v0, exec_hi, v0
	v_cmp_eq_u32_e64 s[2:3], 0, v0
	s_and_saveexec_b64 s[14:15], s[2:3]
	s_cbranch_execz .LBB25_68
; %bb.67:
	v_mov_b32_e32 v0, 0
	v_mov_b32_e32 v1, s20
	global_atomic_smin v0, v1, s[10:11]
.LBB25_68:
	s_or_b64 exec, exec, s[14:15]
	v_mov_b64_e32 v[0:1], 1.0
.LBB25_69:
	s_or_b64 exec, exec, s[12:13]
	v_mov_b32_e32 v6, 0x1e0
	v_mad_u32_u24 v6, v12, 48, v6
	s_and_saveexec_b64 s[2:3], vcc
	s_cbranch_execz .LBB25_71
; %bb.70:
	ds_read_b64 v[8:9], v4
	ds_read_b64 v[10:11], v16
	s_waitcnt lgkmcnt(0)
	v_add_f64 v[8:9], v[8:9], -v[10:11]
	v_div_scale_f64 v[10:11], s[12:13], v[0:1], v[0:1], v[8:9]
	v_rcp_f64_e32 v[18:19], v[10:11]
	v_div_scale_f64 v[20:21], vcc, v[8:9], v[0:1], v[8:9]
	v_fma_f64 v[22:23], -v[10:11], v[18:19], 1.0
	v_fmac_f64_e32 v[18:19], v[18:19], v[22:23]
	v_fma_f64 v[22:23], -v[10:11], v[18:19], 1.0
	v_fmac_f64_e32 v[18:19], v[18:19], v[22:23]
	v_mul_f64 v[22:23], v[20:21], v[18:19]
	v_fma_f64 v[10:11], -v[10:11], v[22:23], v[20:21]
	v_div_fmas_f64 v[10:11], v[10:11], v[18:19], v[22:23]
	v_div_fixup_f64 v[0:1], v[10:11], v[0:1], v[8:9]
	ds_write_b64 v4, v[0:1]
	s_waitcnt lgkmcnt(0)
	ds_read_b64 v[8:9], v6
	ds_read_b64 v[10:11], v15
	s_waitcnt lgkmcnt(0)
	v_fmac_f64_e32 v[10:11], v[0:1], v[8:9]
	ds_write_b64 v15, v[10:11]
.LBB25_71:
	s_or_b64 exec, exec, s[2:3]
	v_cmp_eq_u32_e32 vcc, 1, v13
	s_waitcnt lgkmcnt(0)
	s_and_saveexec_b64 s[2:3], vcc
	s_cbranch_execz .LBB25_73
; %bb.72:
	v_mov_b32_e32 v7, 0
	ds_read2_b64 v[8:11], v7 offset0:67 offset1:97
	s_mov_b32 s12, 0
	s_brev_b32 s13, 8
	v_mov_b32_e32 v17, 0x260
	s_waitcnt lgkmcnt(0)
	v_add_f64 v[0:1], v[8:9], -v[10:11]
	v_xor_b32_e32 v8, 0x80000000, v1
	v_cmp_gt_f64_e32 vcc, 0, v[0:1]
	s_nop 1
	v_cndmask_b32_e32 v1, v1, v8, vcc
	v_cmp_gt_f64_e32 vcc, s[12:13], v[0:1]
	s_and_b64 s[12:13], vcc, exec
	s_cselect_b32 s12, 0x100, 0
	v_ldexp_f64 v[0:1], v[0:1], s12
	v_rsq_f64_e32 v[8:9], v[0:1]
	s_cselect_b32 s12, 0xffffff80, 0
	v_cmp_class_f64_e32 vcc, v[0:1], v17
	v_mul_f64 v[10:11], v[0:1], v[8:9]
	v_mul_f64 v[8:9], v[8:9], 0.5
	v_fma_f64 v[18:19], -v[8:9], v[10:11], 0.5
	v_fmac_f64_e32 v[10:11], v[10:11], v[18:19]
	v_fmac_f64_e32 v[8:9], v[8:9], v[18:19]
	v_fma_f64 v[18:19], -v[10:11], v[10:11], v[0:1]
	v_fmac_f64_e32 v[10:11], v[18:19], v[8:9]
	v_fma_f64 v[18:19], -v[10:11], v[10:11], v[0:1]
	v_fmac_f64_e32 v[10:11], v[18:19], v[8:9]
	v_ldexp_f64 v[8:9], v[10:11], s12
	v_cndmask_b32_e32 v1, v9, v1, vcc
	v_cndmask_b32_e32 v0, v8, v0, vcc
	ds_write_b64 v7, v[0:1] offset:536
.LBB25_73:
	s_or_b64 exec, exec, s[2:3]
	v_mov_b32_e32 v0, 0
	s_waitcnt lgkmcnt(0)
	ds_read_b64 v[0:1], v0 offset:536
	v_mov_b32_e32 v7, 0x3ff00000
	s_waitcnt lgkmcnt(0)
	v_cmp_neq_f64_e32 vcc, 0, v[0:1]
	s_nop 1
	v_cndmask_b32_e32 v1, v7, v1, vcc
	s_nor_b64 s[12:13], vcc, s[0:1]
	v_cndmask_b32_e32 v0, 0, v0, vcc
	s_and_saveexec_b64 s[2:3], s[12:13]
	s_cbranch_execz .LBB25_77
; %bb.74:
	v_mbcnt_lo_u32_b32 v0, exec_lo, 0
	v_mbcnt_hi_u32_b32 v0, exec_hi, v0
	v_cmp_eq_u32_e32 vcc, 0, v0
	s_and_saveexec_b64 s[12:13], vcc
	s_cbranch_execz .LBB25_76
; %bb.75:
	v_mov_b32_e32 v0, 0
	v_mov_b32_e32 v1, s20
	global_atomic_smin v0, v1, s[10:11]
.LBB25_76:
	s_or_b64 exec, exec, s[12:13]
	v_mov_b64_e32 v[0:1], 1.0
.LBB25_77:
	s_or_b64 exec, exec, s[2:3]
	v_cmp_lt_u32_e32 vcc, 1, v13
	s_and_saveexec_b64 s[2:3], vcc
	s_cbranch_execz .LBB25_79
; %bb.78:
	ds_read_b64 v[8:9], v4 offset:8
	ds_read_b64 v[10:11], v16 offset:8
	s_waitcnt lgkmcnt(0)
	v_add_f64 v[8:9], v[8:9], -v[10:11]
	v_div_scale_f64 v[10:11], s[12:13], v[0:1], v[0:1], v[8:9]
	v_rcp_f64_e32 v[18:19], v[10:11]
	v_div_scale_f64 v[20:21], vcc, v[8:9], v[0:1], v[8:9]
	v_fma_f64 v[22:23], -v[10:11], v[18:19], 1.0
	v_fmac_f64_e32 v[18:19], v[18:19], v[22:23]
	v_fma_f64 v[22:23], -v[10:11], v[18:19], 1.0
	v_fmac_f64_e32 v[18:19], v[18:19], v[22:23]
	v_mul_f64 v[22:23], v[20:21], v[18:19]
	v_fma_f64 v[10:11], -v[10:11], v[22:23], v[20:21]
	v_div_fmas_f64 v[10:11], v[10:11], v[18:19], v[22:23]
	v_div_fixup_f64 v[0:1], v[10:11], v[0:1], v[8:9]
	ds_write_b64 v4, v[0:1] offset:8
	s_waitcnt lgkmcnt(0)
	ds_read_b64 v[8:9], v6 offset:8
	ds_read_b64 v[10:11], v15
	s_waitcnt lgkmcnt(0)
	v_fmac_f64_e32 v[10:11], v[0:1], v[8:9]
	ds_write_b64 v15, v[10:11]
.LBB25_79:
	s_or_b64 exec, exec, s[2:3]
	v_cmp_eq_u32_e32 vcc, 2, v13
	s_waitcnt lgkmcnt(0)
	s_and_saveexec_b64 s[2:3], vcc
	s_cbranch_execz .LBB25_81
; %bb.80:
	v_mov_b32_e32 v7, 0
	ds_read2_b64 v[8:11], v7 offset0:74 offset1:104
	s_mov_b32 s12, 0
	s_brev_b32 s13, 8
	v_mov_b32_e32 v17, 0x260
	s_waitcnt lgkmcnt(0)
	v_add_f64 v[0:1], v[8:9], -v[10:11]
	v_xor_b32_e32 v8, 0x80000000, v1
	v_cmp_gt_f64_e32 vcc, 0, v[0:1]
	s_nop 1
	v_cndmask_b32_e32 v1, v1, v8, vcc
	v_cmp_gt_f64_e32 vcc, s[12:13], v[0:1]
	s_and_b64 s[12:13], vcc, exec
	s_cselect_b32 s12, 0x100, 0
	v_ldexp_f64 v[0:1], v[0:1], s12
	v_rsq_f64_e32 v[8:9], v[0:1]
	s_cselect_b32 s12, 0xffffff80, 0
	v_cmp_class_f64_e32 vcc, v[0:1], v17
	v_mul_f64 v[10:11], v[0:1], v[8:9]
	v_mul_f64 v[8:9], v[8:9], 0.5
	v_fma_f64 v[18:19], -v[8:9], v[10:11], 0.5
	v_fmac_f64_e32 v[10:11], v[10:11], v[18:19]
	v_fmac_f64_e32 v[8:9], v[8:9], v[18:19]
	v_fma_f64 v[18:19], -v[10:11], v[10:11], v[0:1]
	v_fmac_f64_e32 v[10:11], v[18:19], v[8:9]
	v_fma_f64 v[18:19], -v[10:11], v[10:11], v[0:1]
	v_fmac_f64_e32 v[10:11], v[18:19], v[8:9]
	v_ldexp_f64 v[8:9], v[10:11], s12
	v_cndmask_b32_e32 v1, v9, v1, vcc
	v_cndmask_b32_e32 v0, v8, v0, vcc
	ds_write_b64 v7, v[0:1] offset:592
.LBB25_81:
	s_or_b64 exec, exec, s[2:3]
	v_mov_b32_e32 v0, 0
	s_waitcnt lgkmcnt(0)
	ds_read_b64 v[0:1], v0 offset:592
	v_mov_b32_e32 v7, 0x3ff00000
	s_waitcnt lgkmcnt(0)
	v_cmp_neq_f64_e32 vcc, 0, v[0:1]
	s_nop 1
	v_cndmask_b32_e32 v1, v7, v1, vcc
	s_nor_b64 s[12:13], vcc, s[0:1]
	v_cndmask_b32_e32 v0, 0, v0, vcc
	s_and_saveexec_b64 s[2:3], s[12:13]
	s_cbranch_execz .LBB25_85
; %bb.82:
	v_mbcnt_lo_u32_b32 v0, exec_lo, 0
	v_mbcnt_hi_u32_b32 v0, exec_hi, v0
	v_cmp_eq_u32_e32 vcc, 0, v0
	s_and_saveexec_b64 s[12:13], vcc
	s_cbranch_execz .LBB25_84
; %bb.83:
	v_mov_b32_e32 v0, 0
	v_mov_b32_e32 v1, s20
	global_atomic_smin v0, v1, s[10:11]
.LBB25_84:
	s_or_b64 exec, exec, s[12:13]
	v_mov_b64_e32 v[0:1], 1.0
.LBB25_85:
	s_or_b64 exec, exec, s[2:3]
	v_cmp_lt_u32_e32 vcc, 2, v13
	s_and_saveexec_b64 s[2:3], vcc
	s_cbranch_execz .LBB25_87
; %bb.86:
	ds_read_b64 v[8:9], v4 offset:16
	ds_read_b64 v[10:11], v16 offset:16
	s_waitcnt lgkmcnt(0)
	v_add_f64 v[8:9], v[8:9], -v[10:11]
	v_div_scale_f64 v[10:11], s[12:13], v[0:1], v[0:1], v[8:9]
	v_rcp_f64_e32 v[18:19], v[10:11]
	v_div_scale_f64 v[20:21], vcc, v[8:9], v[0:1], v[8:9]
	v_fma_f64 v[22:23], -v[10:11], v[18:19], 1.0
	v_fmac_f64_e32 v[18:19], v[18:19], v[22:23]
	v_fma_f64 v[22:23], -v[10:11], v[18:19], 1.0
	v_fmac_f64_e32 v[18:19], v[18:19], v[22:23]
	v_mul_f64 v[22:23], v[20:21], v[18:19]
	v_fma_f64 v[10:11], -v[10:11], v[22:23], v[20:21]
	v_div_fmas_f64 v[10:11], v[10:11], v[18:19], v[22:23]
	v_div_fixup_f64 v[0:1], v[10:11], v[0:1], v[8:9]
	ds_write_b64 v4, v[0:1] offset:16
	s_waitcnt lgkmcnt(0)
	ds_read_b64 v[8:9], v6 offset:16
	ds_read_b64 v[10:11], v15
	s_waitcnt lgkmcnt(0)
	v_fmac_f64_e32 v[10:11], v[0:1], v[8:9]
	ds_write_b64 v15, v[10:11]
.LBB25_87:
	s_or_b64 exec, exec, s[2:3]
	v_cmp_eq_u32_e32 vcc, 3, v13
	s_waitcnt lgkmcnt(0)
	s_and_saveexec_b64 s[2:3], vcc
	s_cbranch_execz .LBB25_89
; %bb.88:
	v_mov_b32_e32 v7, 0
	ds_read2_b64 v[8:11], v7 offset0:81 offset1:111
	s_mov_b32 s12, 0
	s_brev_b32 s13, 8
	v_mov_b32_e32 v17, 0x260
	s_waitcnt lgkmcnt(0)
	v_add_f64 v[0:1], v[8:9], -v[10:11]
	v_xor_b32_e32 v8, 0x80000000, v1
	v_cmp_gt_f64_e32 vcc, 0, v[0:1]
	s_nop 1
	v_cndmask_b32_e32 v1, v1, v8, vcc
	v_cmp_gt_f64_e32 vcc, s[12:13], v[0:1]
	s_and_b64 s[12:13], vcc, exec
	s_cselect_b32 s12, 0x100, 0
	v_ldexp_f64 v[0:1], v[0:1], s12
	v_rsq_f64_e32 v[8:9], v[0:1]
	s_cselect_b32 s12, 0xffffff80, 0
	v_cmp_class_f64_e32 vcc, v[0:1], v17
	v_mul_f64 v[10:11], v[0:1], v[8:9]
	v_mul_f64 v[8:9], v[8:9], 0.5
	v_fma_f64 v[18:19], -v[8:9], v[10:11], 0.5
	v_fmac_f64_e32 v[10:11], v[10:11], v[18:19]
	v_fmac_f64_e32 v[8:9], v[8:9], v[18:19]
	v_fma_f64 v[18:19], -v[10:11], v[10:11], v[0:1]
	v_fmac_f64_e32 v[10:11], v[18:19], v[8:9]
	v_fma_f64 v[18:19], -v[10:11], v[10:11], v[0:1]
	v_fmac_f64_e32 v[10:11], v[18:19], v[8:9]
	v_ldexp_f64 v[8:9], v[10:11], s12
	v_cndmask_b32_e32 v1, v9, v1, vcc
	v_cndmask_b32_e32 v0, v8, v0, vcc
	ds_write_b64 v7, v[0:1] offset:648
.LBB25_89:
	s_or_b64 exec, exec, s[2:3]
	v_mov_b32_e32 v0, 0
	s_waitcnt lgkmcnt(0)
	ds_read_b64 v[0:1], v0 offset:648
	v_mov_b32_e32 v7, 0x3ff00000
	s_waitcnt lgkmcnt(0)
	v_cmp_neq_f64_e32 vcc, 0, v[0:1]
	s_nop 1
	v_cndmask_b32_e32 v1, v7, v1, vcc
	s_nor_b64 s[12:13], vcc, s[0:1]
	v_cndmask_b32_e32 v0, 0, v0, vcc
	s_and_saveexec_b64 s[2:3], s[12:13]
	s_cbranch_execz .LBB25_93
; %bb.90:
	v_mbcnt_lo_u32_b32 v0, exec_lo, 0
	v_mbcnt_hi_u32_b32 v0, exec_hi, v0
	v_cmp_eq_u32_e32 vcc, 0, v0
	s_and_saveexec_b64 s[12:13], vcc
	s_cbranch_execz .LBB25_92
; %bb.91:
	v_mov_b32_e32 v0, 0
	v_mov_b32_e32 v1, s20
	global_atomic_smin v0, v1, s[10:11]
.LBB25_92:
	s_or_b64 exec, exec, s[12:13]
	v_mov_b64_e32 v[0:1], 1.0
.LBB25_93:
	s_or_b64 exec, exec, s[2:3]
	v_cmp_lt_u32_e32 vcc, 3, v13
	s_and_saveexec_b64 s[2:3], vcc
	s_cbranch_execz .LBB25_95
; %bb.94:
	ds_read_b64 v[8:9], v4 offset:24
	ds_read_b64 v[10:11], v16 offset:24
	s_waitcnt lgkmcnt(0)
	v_add_f64 v[8:9], v[8:9], -v[10:11]
	v_div_scale_f64 v[10:11], s[12:13], v[0:1], v[0:1], v[8:9]
	v_rcp_f64_e32 v[18:19], v[10:11]
	v_div_scale_f64 v[20:21], vcc, v[8:9], v[0:1], v[8:9]
	v_fma_f64 v[22:23], -v[10:11], v[18:19], 1.0
	v_fmac_f64_e32 v[18:19], v[18:19], v[22:23]
	v_fma_f64 v[22:23], -v[10:11], v[18:19], 1.0
	v_fmac_f64_e32 v[18:19], v[18:19], v[22:23]
	v_mul_f64 v[22:23], v[20:21], v[18:19]
	v_fma_f64 v[10:11], -v[10:11], v[22:23], v[20:21]
	v_div_fmas_f64 v[10:11], v[10:11], v[18:19], v[22:23]
	v_div_fixup_f64 v[0:1], v[10:11], v[0:1], v[8:9]
	ds_write_b64 v4, v[0:1] offset:24
	s_waitcnt lgkmcnt(0)
	ds_read_b64 v[8:9], v6 offset:24
	ds_read_b64 v[10:11], v15
	s_waitcnt lgkmcnt(0)
	v_fmac_f64_e32 v[10:11], v[0:1], v[8:9]
	ds_write_b64 v15, v[10:11]
.LBB25_95:
	s_or_b64 exec, exec, s[2:3]
	v_cmp_eq_u32_e32 vcc, 4, v13
	s_waitcnt lgkmcnt(0)
	s_and_saveexec_b64 s[2:3], vcc
	s_cbranch_execz .LBB25_97
; %bb.96:
	v_mov_b32_e32 v7, 0
	ds_read2_b64 v[8:11], v7 offset0:88 offset1:118
	s_mov_b32 s12, 0
	s_brev_b32 s13, 8
	v_mov_b32_e32 v17, 0x260
	s_waitcnt lgkmcnt(0)
	v_add_f64 v[0:1], v[8:9], -v[10:11]
	v_xor_b32_e32 v8, 0x80000000, v1
	v_cmp_gt_f64_e32 vcc, 0, v[0:1]
	s_nop 1
	v_cndmask_b32_e32 v1, v1, v8, vcc
	v_cmp_gt_f64_e32 vcc, s[12:13], v[0:1]
	s_and_b64 s[12:13], vcc, exec
	s_cselect_b32 s12, 0x100, 0
	v_ldexp_f64 v[0:1], v[0:1], s12
	v_rsq_f64_e32 v[8:9], v[0:1]
	s_cselect_b32 s12, 0xffffff80, 0
	v_cmp_class_f64_e32 vcc, v[0:1], v17
	v_mul_f64 v[10:11], v[0:1], v[8:9]
	v_mul_f64 v[8:9], v[8:9], 0.5
	v_fma_f64 v[18:19], -v[8:9], v[10:11], 0.5
	v_fmac_f64_e32 v[10:11], v[10:11], v[18:19]
	v_fmac_f64_e32 v[8:9], v[8:9], v[18:19]
	v_fma_f64 v[18:19], -v[10:11], v[10:11], v[0:1]
	v_fmac_f64_e32 v[10:11], v[18:19], v[8:9]
	v_fma_f64 v[18:19], -v[10:11], v[10:11], v[0:1]
	v_fmac_f64_e32 v[10:11], v[18:19], v[8:9]
	v_ldexp_f64 v[8:9], v[10:11], s12
	v_cndmask_b32_e32 v1, v9, v1, vcc
	v_cndmask_b32_e32 v0, v8, v0, vcc
	ds_write_b64 v7, v[0:1] offset:704
.LBB25_97:
	s_or_b64 exec, exec, s[2:3]
	v_mov_b32_e32 v0, 0
	s_waitcnt lgkmcnt(0)
	ds_read_b64 v[0:1], v0 offset:704
	v_mov_b32_e32 v7, 0x3ff00000
	s_waitcnt lgkmcnt(0)
	v_cmp_neq_f64_e32 vcc, 0, v[0:1]
	s_nop 1
	v_cndmask_b32_e32 v1, v7, v1, vcc
	s_nor_b64 s[2:3], vcc, s[0:1]
	v_cndmask_b32_e32 v0, 0, v0, vcc
	s_and_saveexec_b64 s[0:1], s[2:3]
	s_cbranch_execz .LBB25_101
; %bb.98:
	v_mbcnt_lo_u32_b32 v0, exec_lo, 0
	v_mbcnt_hi_u32_b32 v0, exec_hi, v0
	v_cmp_eq_u32_e32 vcc, 0, v0
	s_and_saveexec_b64 s[2:3], vcc
	s_cbranch_execz .LBB25_100
; %bb.99:
	v_mov_b32_e32 v0, 0
	v_mov_b32_e32 v1, s20
	global_atomic_smin v0, v1, s[10:11]
.LBB25_100:
	s_or_b64 exec, exec, s[2:3]
	v_mov_b64_e32 v[0:1], 1.0
.LBB25_101:
	s_or_b64 exec, exec, s[0:1]
	v_cmp_lt_u32_e32 vcc, 4, v13
	s_and_saveexec_b64 s[0:1], vcc
	s_cbranch_execz .LBB25_103
; %bb.102:
	ds_read_b64 v[8:9], v4 offset:32
	ds_read_b64 v[10:11], v16 offset:32
	s_waitcnt lgkmcnt(0)
	v_add_f64 v[8:9], v[8:9], -v[10:11]
	v_div_scale_f64 v[10:11], s[2:3], v[0:1], v[0:1], v[8:9]
	v_rcp_f64_e32 v[16:17], v[10:11]
	v_div_scale_f64 v[18:19], vcc, v[8:9], v[0:1], v[8:9]
	v_fma_f64 v[20:21], -v[10:11], v[16:17], 1.0
	v_fmac_f64_e32 v[16:17], v[16:17], v[20:21]
	v_fma_f64 v[20:21], -v[10:11], v[16:17], 1.0
	v_fmac_f64_e32 v[16:17], v[16:17], v[20:21]
	v_mul_f64 v[20:21], v[18:19], v[16:17]
	v_fma_f64 v[10:11], -v[10:11], v[20:21], v[18:19]
	v_div_fmas_f64 v[10:11], v[10:11], v[16:17], v[20:21]
	v_div_fixup_f64 v[0:1], v[10:11], v[0:1], v[8:9]
	ds_write_b64 v4, v[0:1] offset:32
	s_waitcnt lgkmcnt(0)
	ds_read_b64 v[6:7], v6 offset:32
	ds_read_b64 v[8:9], v15
	s_waitcnt lgkmcnt(0)
	v_fmac_f64_e32 v[8:9], v[0:1], v[6:7]
	ds_write_b64 v15, v[8:9]
.LBB25_103:
	s_or_b64 exec, exec, s[0:1]
	s_waitcnt lgkmcnt(0)
	ds_read_b64 v[0:1], v2
	s_andn2_b64 vcc, exec, s[4:5]
	s_cbranch_vccnz .LBB25_105
; %bb.104:
	v_mov_b32_e32 v14, v3
.LBB25_105:
	v_add_u32_e32 v2, s30, v14
	v_ashrrev_i32_e32 v3, 31, v2
	v_lshl_add_u64 v[2:3], v[2:3], 3, s[18:19]
	v_cmp_eq_u32_e32 vcc, 0, v5
	s_waitcnt lgkmcnt(0)
	global_store_dwordx2 v[2:3], v[0:1], off
	s_and_saveexec_b64 s[0:1], vcc
	s_cbranch_execz .LBB25_107
; %bb.106:
	s_add_u32 s2, s6, s8
	s_addc_u32 s3, s7, s9
	v_mov_b32_e32 v0, 0
	v_mov_b32_e32 v1, 1
	buffer_wbl2 sc1
	s_waitcnt vmcnt(0)
	global_store_dword v0, v1, s[2:3] sc1
.LBB25_107:
	s_or_b64 exec, exec, s[0:1]
.LBB25_108:
	s_endpgm
.LBB25_109:
	s_cbranch_execz .LBB25_108
; %bb.110:
	v_or_b32_e32 v0, v12, v13
	v_cmp_eq_u32_e32 vcc, 0, v0
	s_and_saveexec_b64 s[0:1], vcc
	s_cbranch_execz .LBB25_108
; %bb.111:
	v_mbcnt_lo_u32_b32 v0, exec_lo, 0
	v_mbcnt_hi_u32_b32 v0, exec_hi, v0
	v_cmp_eq_u32_e32 vcc, 0, v0
	s_and_saveexec_b64 s[0:1], vcc
	s_cbranch_execz .LBB25_113
; %bb.112:
	s_add_i32 s2, s16, s17
	v_mov_b32_e32 v0, 0
	v_mov_b32_e32 v1, s2
	global_atomic_smin v0, v1, s[10:11]
.LBB25_113:
	s_or_b64 exec, exec, s[0:1]
	s_add_u32 s0, s6, s8
	s_addc_u32 s1, s7, s9
	v_mov_b32_e32 v0, 0
	v_mov_b32_e32 v1, 1
	buffer_wbl2 sc1
	s_waitcnt vmcnt(0)
	global_store_dword v0, v1, s[0:1] sc1
	s_endpgm
	.section	.rodata,"a",@progbits
	.p2align	6, 0x0
	.amdhsa_kernel _ZN9rocsparseL26bsric0_2_8_unrolled_kernelILi25ELi32ELi5EdEEv20rocsparse_direction_iiPKiS3_PT2_S3_PiS3_S6_21rocsparse_index_base_
		.amdhsa_group_segment_fixed_size 1344
		.amdhsa_private_segment_fixed_size 0
		.amdhsa_kernarg_size 76
		.amdhsa_user_sgpr_count 2
		.amdhsa_user_sgpr_dispatch_ptr 0
		.amdhsa_user_sgpr_queue_ptr 0
		.amdhsa_user_sgpr_kernarg_segment_ptr 1
		.amdhsa_user_sgpr_dispatch_id 0
		.amdhsa_user_sgpr_kernarg_preload_length 0
		.amdhsa_user_sgpr_kernarg_preload_offset 0
		.amdhsa_user_sgpr_private_segment_size 0
		.amdhsa_uses_dynamic_stack 0
		.amdhsa_enable_private_segment 0
		.amdhsa_system_sgpr_workgroup_id_x 1
		.amdhsa_system_sgpr_workgroup_id_y 0
		.amdhsa_system_sgpr_workgroup_id_z 0
		.amdhsa_system_sgpr_workgroup_info 0
		.amdhsa_system_vgpr_workitem_id 1
		.amdhsa_next_free_vgpr 68
		.amdhsa_next_free_sgpr 40
		.amdhsa_accum_offset 68
		.amdhsa_reserve_vcc 1
		.amdhsa_float_round_mode_32 0
		.amdhsa_float_round_mode_16_64 0
		.amdhsa_float_denorm_mode_32 3
		.amdhsa_float_denorm_mode_16_64 3
		.amdhsa_dx10_clamp 1
		.amdhsa_ieee_mode 1
		.amdhsa_fp16_overflow 0
		.amdhsa_tg_split 0
		.amdhsa_exception_fp_ieee_invalid_op 0
		.amdhsa_exception_fp_denorm_src 0
		.amdhsa_exception_fp_ieee_div_zero 0
		.amdhsa_exception_fp_ieee_overflow 0
		.amdhsa_exception_fp_ieee_underflow 0
		.amdhsa_exception_fp_ieee_inexact 0
		.amdhsa_exception_int_div_zero 0
	.end_amdhsa_kernel
	.section	.text._ZN9rocsparseL26bsric0_2_8_unrolled_kernelILi25ELi32ELi5EdEEv20rocsparse_direction_iiPKiS3_PT2_S3_PiS3_S6_21rocsparse_index_base_,"axG",@progbits,_ZN9rocsparseL26bsric0_2_8_unrolled_kernelILi25ELi32ELi5EdEEv20rocsparse_direction_iiPKiS3_PT2_S3_PiS3_S6_21rocsparse_index_base_,comdat
.Lfunc_end25:
	.size	_ZN9rocsparseL26bsric0_2_8_unrolled_kernelILi25ELi32ELi5EdEEv20rocsparse_direction_iiPKiS3_PT2_S3_PiS3_S6_21rocsparse_index_base_, .Lfunc_end25-_ZN9rocsparseL26bsric0_2_8_unrolled_kernelILi25ELi32ELi5EdEEv20rocsparse_direction_iiPKiS3_PT2_S3_PiS3_S6_21rocsparse_index_base_
                                        ; -- End function
	.set _ZN9rocsparseL26bsric0_2_8_unrolled_kernelILi25ELi32ELi5EdEEv20rocsparse_direction_iiPKiS3_PT2_S3_PiS3_S6_21rocsparse_index_base_.num_vgpr, 68
	.set _ZN9rocsparseL26bsric0_2_8_unrolled_kernelILi25ELi32ELi5EdEEv20rocsparse_direction_iiPKiS3_PT2_S3_PiS3_S6_21rocsparse_index_base_.num_agpr, 0
	.set _ZN9rocsparseL26bsric0_2_8_unrolled_kernelILi25ELi32ELi5EdEEv20rocsparse_direction_iiPKiS3_PT2_S3_PiS3_S6_21rocsparse_index_base_.numbered_sgpr, 40
	.set _ZN9rocsparseL26bsric0_2_8_unrolled_kernelILi25ELi32ELi5EdEEv20rocsparse_direction_iiPKiS3_PT2_S3_PiS3_S6_21rocsparse_index_base_.num_named_barrier, 0
	.set _ZN9rocsparseL26bsric0_2_8_unrolled_kernelILi25ELi32ELi5EdEEv20rocsparse_direction_iiPKiS3_PT2_S3_PiS3_S6_21rocsparse_index_base_.private_seg_size, 0
	.set _ZN9rocsparseL26bsric0_2_8_unrolled_kernelILi25ELi32ELi5EdEEv20rocsparse_direction_iiPKiS3_PT2_S3_PiS3_S6_21rocsparse_index_base_.uses_vcc, 1
	.set _ZN9rocsparseL26bsric0_2_8_unrolled_kernelILi25ELi32ELi5EdEEv20rocsparse_direction_iiPKiS3_PT2_S3_PiS3_S6_21rocsparse_index_base_.uses_flat_scratch, 0
	.set _ZN9rocsparseL26bsric0_2_8_unrolled_kernelILi25ELi32ELi5EdEEv20rocsparse_direction_iiPKiS3_PT2_S3_PiS3_S6_21rocsparse_index_base_.has_dyn_sized_stack, 0
	.set _ZN9rocsparseL26bsric0_2_8_unrolled_kernelILi25ELi32ELi5EdEEv20rocsparse_direction_iiPKiS3_PT2_S3_PiS3_S6_21rocsparse_index_base_.has_recursion, 0
	.set _ZN9rocsparseL26bsric0_2_8_unrolled_kernelILi25ELi32ELi5EdEEv20rocsparse_direction_iiPKiS3_PT2_S3_PiS3_S6_21rocsparse_index_base_.has_indirect_call, 0
	.section	.AMDGPU.csdata,"",@progbits
; Kernel info:
; codeLenInByte = 6860
; TotalNumSgprs: 46
; NumVgprs: 68
; NumAgprs: 0
; TotalNumVgprs: 68
; ScratchSize: 0
; MemoryBound: 1
; FloatMode: 240
; IeeeMode: 1
; LDSByteSize: 1344 bytes/workgroup (compile time only)
; SGPRBlocks: 5
; VGPRBlocks: 8
; NumSGPRsForWavesPerEU: 46
; NumVGPRsForWavesPerEU: 68
; AccumOffset: 68
; Occupancy: 7
; WaveLimiterHint : 1
; COMPUTE_PGM_RSRC2:SCRATCH_EN: 0
; COMPUTE_PGM_RSRC2:USER_SGPR: 2
; COMPUTE_PGM_RSRC2:TRAP_HANDLER: 0
; COMPUTE_PGM_RSRC2:TGID_X_EN: 1
; COMPUTE_PGM_RSRC2:TGID_Y_EN: 0
; COMPUTE_PGM_RSRC2:TGID_Z_EN: 0
; COMPUTE_PGM_RSRC2:TIDIG_COMP_CNT: 1
; COMPUTE_PGM_RSRC3_GFX90A:ACCUM_OFFSET: 16
; COMPUTE_PGM_RSRC3_GFX90A:TG_SPLIT: 0
	.section	.text._ZN9rocsparseL26bsric0_2_8_unrolled_kernelILi36ELi32ELi6EdEEv20rocsparse_direction_iiPKiS3_PT2_S3_PiS3_S6_21rocsparse_index_base_,"axG",@progbits,_ZN9rocsparseL26bsric0_2_8_unrolled_kernelILi36ELi32ELi6EdEEv20rocsparse_direction_iiPKiS3_PT2_S3_PiS3_S6_21rocsparse_index_base_,comdat
	.globl	_ZN9rocsparseL26bsric0_2_8_unrolled_kernelILi36ELi32ELi6EdEEv20rocsparse_direction_iiPKiS3_PT2_S3_PiS3_S6_21rocsparse_index_base_ ; -- Begin function _ZN9rocsparseL26bsric0_2_8_unrolled_kernelILi36ELi32ELi6EdEEv20rocsparse_direction_iiPKiS3_PT2_S3_PiS3_S6_21rocsparse_index_base_
	.p2align	8
	.type	_ZN9rocsparseL26bsric0_2_8_unrolled_kernelILi36ELi32ELi6EdEEv20rocsparse_direction_iiPKiS3_PT2_S3_PiS3_S6_21rocsparse_index_base_,@function
_ZN9rocsparseL26bsric0_2_8_unrolled_kernelILi36ELi32ELi6EdEEv20rocsparse_direction_iiPKiS3_PT2_S3_PiS3_S6_21rocsparse_index_base_: ; @_ZN9rocsparseL26bsric0_2_8_unrolled_kernelILi36ELi32ELi6EdEEv20rocsparse_direction_iiPKiS3_PT2_S3_PiS3_S6_21rocsparse_index_base_
; %bb.0:
	s_load_dwordx8 s[4:11], s[0:1], 0x28
	s_mov_b32 s3, 0
	s_lshl_b64 s[2:3], s[2:3], 2
	v_and_b32_e32 v12, 0x3ff, v0
	v_bfe_u32 v13, v0, 10, 10
	s_waitcnt lgkmcnt(0)
	s_add_u32 s2, s8, s2
	s_addc_u32 s3, s9, s3
	s_load_dword s16, s[2:3], 0x0
	s_waitcnt lgkmcnt(0)
	s_ashr_i32 s17, s16, 31
	s_lshl_b64 s[8:9], s[16:17], 2
	s_add_u32 s2, s4, s8
	s_addc_u32 s3, s5, s9
	s_load_dword s30, s[2:3], 0x0
	s_load_dword s17, s[0:1], 0x48
	s_waitcnt lgkmcnt(0)
	s_cmp_lg_u32 s30, -1
	s_cbranch_scc0 .LBB26_121
; %bb.1:
	s_load_dwordx4 s[12:15], s[0:1], 0x10
	s_load_dwordx2 s[18:19], s[0:1], 0x20
	v_mad_u32_u24 v14, v13, 6, v12
	v_mul_u32_u24_e32 v17, 6, v13
	s_waitcnt lgkmcnt(0)
	s_add_u32 s2, s12, s8
	s_addc_u32 s3, s13, s9
	s_load_dword s26, s[2:3], 0x0
	s_waitcnt lgkmcnt(0)
	s_sub_i32 s31, s26, s17
	v_add_u32_e32 v0, s31, v14
	v_cmp_ge_i32_e32 vcc, s30, v0
	s_and_saveexec_b64 s[2:3], vcc
	s_cbranch_execz .LBB26_14
; %bb.2:
	v_add_u32_e32 v1, s26, v12
	v_add_u32_e32 v2, v1, v17
	v_subrev_u32_e32 v2, s17, v2
	v_add_u32_e32 v2, 36, v2
	s_add_i32 s20, s30, 1
	v_max_i32_e32 v2, s20, v2
	v_add_u32_e32 v2, s17, v2
	v_sub_u32_e32 v1, v2, v1
	v_subrev_u32_e32 v1, 36, v1
	v_cmp_ne_u32_e32 vcc, v1, v17
	s_mov_b32 s20, 0x38e38e39
	s_mov_b64 s[22:23], -1
	v_cndmask_b32_e64 v2, 0, 1, vcc
	v_or_b32_e32 v2, v17, v2
	v_sub_u32_e32 v1, v1, v2
	v_mul_hi_u32 v1, v1, s20
	v_lshrrev_b32_e32 v1, 3, v1
	v_addc_co_u32_e32 v4, vcc, 0, v1, vcc
	v_cmp_ne_u32_e32 vcc, 0, v4
	s_and_saveexec_b64 s[20:21], vcc
	s_cbranch_execz .LBB26_11
; %bb.3:
	v_add_u32_e32 v2, -1, v4
	v_add_u32_e32 v1, 36, v0
	v_lshrrev_b32_e32 v2, 1, v2
	v_add_u32_e32 v5, 1, v2
	v_cmp_lt_u32_e32 vcc, 14, v4
	v_mov_b64_e32 v[2:3], v[0:1]
	s_and_saveexec_b64 s[22:23], vcc
	s_cbranch_execz .LBB26_7
; %bb.4:
	v_and_b32_e32 v6, -8, v5
	s_mov_b64 s[24:25], 0
	v_mov_b64_e32 v[2:3], v[0:1]
.LBB26_5:                               ; =>This Inner Loop Header: Depth=1
	v_ashrrev_i32_e32 v11, 31, v2
	v_mov_b32_e32 v10, v2
	v_ashrrev_i32_e32 v9, 31, v3
	v_mov_b32_e32 v8, v3
	v_add_u32_e32 v18, 0x48, v2
	v_add_u32_e32 v20, 0x48, v3
	v_lshl_add_u64 v[10:11], v[10:11], 2, s[14:15]
	v_add_u32_e32 v22, 0x90, v2
	v_add_u32_e32 v24, 0x90, v3
	;; [unrolled: 1-line block ×12, first 2 shown]
	v_lshl_add_u64 v[8:9], v[8:9], 2, s[14:15]
	v_ashrrev_i32_e32 v21, 31, v20
	v_ashrrev_i32_e32 v19, 31, v18
	global_load_dword v1, v[10:11], off
	global_load_dword v7, v[8:9], off
	v_ashrrev_i32_e32 v25, 31, v24
	v_ashrrev_i32_e32 v23, 31, v22
	;; [unrolled: 1-line block ×12, first 2 shown]
	v_lshl_add_u64 v[8:9], v[18:19], 2, s[14:15]
	v_lshl_add_u64 v[10:11], v[20:21], 2, s[14:15]
	;; [unrolled: 1-line block ×13, first 2 shown]
	global_load_dword v15, v[10:11], off
	v_lshl_add_u64 v[10:11], v[44:45], 2, s[14:15]
	global_load_dword v16, v[8:9], off
	global_load_dword v19, v[48:49], off
	global_load_dword v21, v[46:47], off
	global_load_dword v23, v[52:53], off
	global_load_dword v25, v[50:51], off
	global_load_dword v27, v[56:57], off
	global_load_dword v29, v[54:55], off
	global_load_dword v31, v[60:61], off
	global_load_dword v33, v[58:59], off
	global_load_dword v35, v[64:65], off
	global_load_dword v37, v[62:63], off
	global_load_dword v39, v[10:11], off
	global_load_dword v41, v[66:67], off
	v_subrev_u32_e32 v9, s31, v2
	v_add_u32_e32 v6, -8, v6
	v_subrev_u32_e32 v8, s31, v3
	v_lshlrev_b32_e32 v9, 2, v9
	v_subrev_u32_e32 v11, s31, v18
	v_cmp_eq_u32_e32 vcc, 0, v6
	v_add_u32_e32 v3, 0x240, v3
	v_add_u32_e32 v2, 0x240, v2
	v_lshlrev_b32_e32 v8, 2, v8
	v_subrev_u32_e32 v10, s31, v20
	v_subrev_u32_e32 v18, s31, v24
	;; [unrolled: 1-line block ×13, first 2 shown]
	v_lshlrev_b32_e32 v11, 2, v11
	s_or_b64 s[24:25], vcc, s[24:25]
	v_lshlrev_b32_e32 v10, 2, v10
	v_lshlrev_b32_e32 v20, 2, v20
	;; [unrolled: 1-line block ×13, first 2 shown]
	s_waitcnt vmcnt(15)
	v_subrev_u32_e32 v1, s17, v1
	s_waitcnt vmcnt(14)
	v_subrev_u32_e32 v7, s17, v7
	ds_write_b32 v9, v1 offset:1600
	ds_write_b32 v8, v7 offset:1600
	s_waitcnt vmcnt(12)
	v_subrev_u32_e32 v7, s17, v16
	s_waitcnt vmcnt(11)
	v_subrev_u32_e32 v8, s17, v19
	;; [unrolled: 2-line block ×8, first 2 shown]
	v_subrev_u32_e32 v1, s17, v15
	v_subrev_u32_e32 v15, s17, v23
	;; [unrolled: 1-line block ×3, first 2 shown]
	s_waitcnt vmcnt(2)
	v_subrev_u32_e32 v29, s17, v37
	s_waitcnt vmcnt(1)
	v_subrev_u32_e32 v31, s17, v39
	;; [unrolled: 2-line block ×3, first 2 shown]
	ds_write_b32 v11, v7 offset:1600
	ds_write_b32 v10, v1 offset:1600
	;; [unrolled: 1-line block ×14, first 2 shown]
	s_andn2_b64 exec, exec, s[24:25]
	s_cbranch_execnz .LBB26_5
; %bb.6:
	s_or_b64 exec, exec, s[24:25]
.LBB26_7:
	s_or_b64 exec, exec, s[22:23]
	v_and_b32_e32 v1, 7, v5
	v_cmp_ne_u32_e32 vcc, 0, v1
	s_and_saveexec_b64 s[22:23], vcc
	s_cbranch_execz .LBB26_10
; %bb.8:
	v_sub_u32_e32 v1, 0, v1
	s_mov_b64 s[24:25], 0
.LBB26_9:                               ; =>This Inner Loop Header: Depth=1
	v_ashrrev_i32_e32 v7, 31, v3
	v_mov_b32_e32 v6, v3
	v_ashrrev_i32_e32 v9, 31, v2
	v_mov_b32_e32 v8, v2
	v_lshl_add_u64 v[6:7], v[6:7], 2, s[14:15]
	v_lshl_add_u64 v[8:9], v[8:9], 2, s[14:15]
	global_load_dword v5, v[6:7], off
	global_load_dword v10, v[8:9], off
	v_subrev_u32_e32 v7, s31, v2
	v_add_co_u32_e32 v1, vcc, 1, v1
	v_subrev_u32_e32 v6, s31, v3
	v_add_u32_e32 v3, 0x48, v3
	v_add_u32_e32 v2, 0x48, v2
	v_lshlrev_b32_e32 v7, 2, v7
	s_or_b64 s[24:25], vcc, s[24:25]
	v_lshlrev_b32_e32 v6, 2, v6
	s_waitcnt vmcnt(1)
	v_subrev_u32_e32 v5, s17, v5
	s_waitcnt vmcnt(0)
	v_subrev_u32_e32 v8, s17, v10
	ds_write_b32 v7, v8 offset:1600
	ds_write_b32 v6, v5 offset:1600
	s_andn2_b64 exec, exec, s[24:25]
	s_cbranch_execnz .LBB26_9
.LBB26_10:
	s_or_b64 exec, exec, s[22:23]
	v_add_u32_e32 v2, 1, v4
	v_and_b32_e32 v3, 0x1ffffffe, v2
	v_mad_u64_u32 v[0:1], s[22:23], v3, 36, v[0:1]
	v_cmp_ne_u32_e32 vcc, v2, v3
	s_orn2_b64 s[22:23], vcc, exec
.LBB26_11:
	s_or_b64 exec, exec, s[20:21]
	s_and_b64 exec, exec, s[22:23]
	s_cbranch_execz .LBB26_14
; %bb.12:
	v_add_u32_e32 v1, s17, v0
	v_subrev_u32_e32 v1, s26, v1
	v_mov_b32_e32 v2, 0x640
	v_lshl_add_u32 v4, v1, 2, v2
	v_ashrrev_i32_e32 v1, 31, v0
	v_lshl_add_u64 v[2:3], v[0:1], 2, s[14:15]
	s_mov_b64 s[20:21], 0
	s_mov_b64 s[22:23], 0x90
.LBB26_13:                              ; =>This Inner Loop Header: Depth=1
	global_load_dword v1, v[2:3], off
	v_add_u32_e32 v0, 36, v0
	v_cmp_lt_i32_e32 vcc, s30, v0
	v_lshl_add_u64 v[2:3], v[2:3], 0, s[22:23]
	s_or_b64 s[20:21], vcc, s[20:21]
	s_waitcnt vmcnt(0)
	v_subrev_u32_e32 v1, s17, v1
	ds_write_b32 v4, v1
	v_add_u32_e32 v4, 0x90, v4
	s_andn2_b64 exec, exec, s[20:21]
	s_cbranch_execnz .LBB26_13
.LBB26_14:
	s_or_b64 exec, exec, s[2:3]
	s_load_dword s33, s[0:1], 0x0
	v_mov_b32_e32 v0, 0x3f0
	v_mad_u32_u24 v16, v13, 56, v0
	v_mov_b32_e32 v0, 0
	v_lshl_add_u32 v15, v12, 3, v16
	v_mov_b32_e32 v1, v0
	s_cmp_ge_i32 s31, s30
	v_mad_u32_u24 v3, v12, 6, v13
	ds_write_b64 v15, v[0:1]
	s_waitcnt lgkmcnt(0)
	s_cbranch_scc1 .LBB26_65
; %bb.15:
	s_cmp_lg_u32 s33, 0
	s_cselect_b64 s[2:3], -1, 0
	s_cmp_eq_u32 s33, 0
	v_mov_b32_e32 v4, 0x2a0
	v_mov_b32_e32 v6, 0x150
	v_mad_u32_u24 v2, v12, 6, v13
	v_mad_u32_u24 v18, v13, 56, v4
	v_lshlrev_b32_e32 v5, 3, v12
	v_mad_u32_u24 v21, v13, 56, v6
	v_mad_u32_u24 v23, v12, 56, v4
	v_or_b32_e32 v4, v12, v13
	s_cselect_b64 vcc, -1, 0
	v_mul_u32_u24_e32 v1, 6, v12
	v_add_u32_e32 v19, v18, v5
	v_mad_u32_u24 v20, v13, 56, v5
	v_add_u32_e32 v22, v21, v5
	v_cmp_ne_u32_e64 s[0:1], 0, v4
	v_cndmask_b32_e32 v2, v2, v14, vcc
	v_mov_b32_e32 v24, 0x3ff00000
	s_mov_b32 s20, s31
	s_branch .LBB26_18
.LBB26_16:                              ;   in Loop: Header=BB26_18 Depth=1
	s_or_b64 exec, exec, s[24:25]
	v_mov_b64_e32 v[8:9], 1.0
.LBB26_17:                              ;   in Loop: Header=BB26_18 Depth=1
	s_or_b64 exec, exec, s[22:23]
	ds_read2_b64 v[26:29], v18 offset1:1
	ds_read_b64 v[10:11], v21 offset:40
	ds_read2_b64 v[30:33], v0 offset0:35 offset1:36
	ds_read2_b64 v[34:37], v0 offset0:37 offset1:38
	;; [unrolled: 1-line block ×3, first 2 shown]
	ds_read_b64 v[42:43], v18 offset:32
	ds_read_b64 v[44:45], v0 offset:312
	s_waitcnt lgkmcnt(4)
	v_fmac_f64_e32 v[10:11], v[30:31], v[26:27]
	v_fmac_f64_e32 v[10:11], v[32:33], v[28:29]
	s_waitcnt lgkmcnt(2)
	v_fmac_f64_e32 v[10:11], v[34:35], v[38:39]
	v_fmac_f64_e32 v[10:11], v[36:37], v[40:41]
	s_waitcnt lgkmcnt(0)
	v_fmac_f64_e32 v[10:11], v[44:45], v[42:43]
	v_add_f64 v[6:7], v[6:7], -v[10:11]
	v_div_scale_f64 v[10:11], s[22:23], v[8:9], v[8:9], v[6:7]
	v_rcp_f64_e32 v[26:27], v[10:11]
	s_add_i32 s20, s20, 1
	s_cmp_ge_i32 s20, s30
	s_cselect_b64 s[22:23], -1, 0
	v_fma_f64 v[28:29], -v[10:11], v[26:27], 1.0
	v_fmac_f64_e32 v[26:27], v[26:27], v[28:29]
	v_fma_f64 v[28:29], -v[10:11], v[26:27], 1.0
	v_fmac_f64_e32 v[26:27], v[26:27], v[28:29]
	v_div_scale_f64 v[28:29], vcc, v[6:7], v[8:9], v[6:7]
	v_mul_f64 v[30:31], v[28:29], v[26:27]
	v_fma_f64 v[10:11], -v[10:11], v[30:31], v[28:29]
	s_nop 1
	v_div_fmas_f64 v[10:11], v[10:11], v[26:27], v[30:31]
	v_div_fixup_f64 v[6:7], v[10:11], v[8:9], v[6:7]
	ds_write_b64 v18, v[6:7] offset:40
	s_waitcnt lgkmcnt(0)
	ds_read_b64 v[8:9], v23 offset:40
	ds_read_b64 v[10:11], v15
	s_waitcnt lgkmcnt(0)
	v_fmac_f64_e32 v[10:11], v[6:7], v[8:9]
	ds_write_b64 v15, v[10:11]
	s_waitcnt lgkmcnt(0)
	ds_read_b64 v[6:7], v19
	s_waitcnt lgkmcnt(0)
	global_store_dwordx2 v[4:5], v[6:7], off
	buffer_wbl2 sc1
	s_waitcnt vmcnt(0)
	buffer_inv sc1
	s_and_b64 vcc, exec, s[22:23]
	s_cbranch_vccnz .LBB26_65
.LBB26_18:                              ; =>This Loop Header: Depth=1
                                        ;     Child Loop BB26_21 Depth 2
                                        ;     Child Loop BB26_32 Depth 2
	;; [unrolled: 1-line block ×3, first 2 shown]
	s_ashr_i32 s21, s20, 31
	s_lshl_b64 s[22:23], s[20:21], 2
	s_add_u32 s22, s14, s22
	s_addc_u32 s23, s15, s23
	s_load_dword s21, s[22:23], 0x0
	s_waitcnt lgkmcnt(0)
	s_sub_i32 s24, s21, s17
	s_ashr_i32 s25, s24, 31
	s_lshl_b64 s[22:23], s[24:25], 2
	s_add_u32 s26, s4, s22
	s_addc_u32 s27, s5, s23
	s_load_dword s25, s[26:27], 0x0
	s_waitcnt lgkmcnt(0)
	s_cmp_eq_u32 s25, -1
	s_cbranch_scc1 .LBB26_64
; %bb.19:                               ;   in Loop: Header=BB26_18 Depth=1
	v_mad_u64_u32 v[4:5], s[26:27], s20, 36, v[2:3]
	v_ashrrev_i32_e32 v5, 31, v4
	v_lshl_add_u64 v[4:5], v[4:5], 3, s[18:19]
	global_load_dwordx2 v[6:7], v[4:5], off
	s_add_u32 s26, s12, s22
	s_addc_u32 s27, s13, s23
	s_load_dword s26, s[26:27], 0x0
	ds_read_b32 v8, v0 offset:1600
	s_mov_b32 s27, 0
	s_waitcnt lgkmcnt(0)
	s_sub_i32 s26, s26, s17
	s_cmp_le_i32 s26, s25
	v_cmp_ge_i32_e32 vcc, s24, v8
	s_cselect_b64 s[28:29], -1, 0
	s_and_b64 s[28:29], s[28:29], vcc
	s_andn2_b64 vcc, exec, s[28:29]
	s_waitcnt vmcnt(0)
	ds_write_b64 v19, v[6:7]
	s_cbranch_vccnz .LBB26_31
; %bb.20:                               ;   in Loop: Header=BB26_18 Depth=1
	s_mov_b32 s34, 0
	s_mov_b32 s35, 0
.LBB26_21:                              ;   Parent Loop BB26_18 Depth=1
                                        ; =>  This Inner Loop Header: Depth=2
	s_ashr_i32 s27, s26, 31
	s_lshl_b64 s[28:29], s[26:27], 2
	s_add_u32 s28, s14, s28
	s_addc_u32 s29, s15, s29
	s_load_dword s27, s[28:29], 0x0
	s_lshl_b32 s28, s35, 2
	v_mov_b32_e32 v6, s28
	ds_read_b32 v6, v6 offset:1600
	s_mov_b64 s[28:29], -1
	s_waitcnt lgkmcnt(0)
	s_sub_i32 s39, s27, s17
                                        ; implicit-def: $sgpr27
                                        ; implicit-def: $sgpr38
                                        ; implicit-def: $sgpr37
	v_cmp_ge_i32_e32 vcc, s39, v6
	v_readfirstlane_b32 s36, v6
	s_cbranch_vccz .LBB26_27
; %bb.22:                               ;   in Loop: Header=BB26_21 Depth=2
	s_cmp_le_i32 s39, s36
                                        ; implicit-def: $sgpr27
                                        ; implicit-def: $sgpr38
                                        ; implicit-def: $sgpr37
	s_cbranch_scc0 .LBB26_24
; %bb.23:                               ;   in Loop: Header=BB26_21 Depth=2
	s_add_i32 s27, s35, s31
	s_mul_i32 s27, s27, 36
	s_lshl_b32 s28, s34, 2
	v_mov_b32_e32 v6, s28
	v_mov_b32_e32 v7, s27
	s_mul_i32 s27, s26, 36
	v_mov_b32_e32 v8, s27
	v_add_u32_e32 v6, 0x400, v6
	ds_write2_b32 v6, v8, v7 offset0:80 offset1:112
	s_add_i32 s37, s35, 1
	s_add_i32 s38, s26, 1
	;; [unrolled: 1-line block ×3, first 2 shown]
	s_mov_b64 s[28:29], 0
.LBB26_24:                              ;   in Loop: Header=BB26_21 Depth=2
	s_andn2_b64 vcc, exec, s[28:29]
	s_cbranch_vccnz .LBB26_26
; %bb.25:                               ;   in Loop: Header=BB26_21 Depth=2
	s_add_i32 s37, s35, 1
	s_mov_b32 s27, s34
	s_mov_b32 s38, s26
.LBB26_26:                              ;   in Loop: Header=BB26_21 Depth=2
	s_mov_b64 s[28:29], 0
.LBB26_27:                              ;   in Loop: Header=BB26_21 Depth=2
	s_andn2_b64 vcc, exec, s[28:29]
	s_cbranch_vccnz .LBB26_29
; %bb.28:                               ;   in Loop: Header=BB26_21 Depth=2
	s_add_i32 s38, s26, 1
	s_mov_b32 s37, s35
	s_mov_b32 s27, s34
.LBB26_29:                              ;   in Loop: Header=BB26_21 Depth=2
	s_cmp_le_i32 s38, s25
	s_cselect_b64 s[28:29], -1, 0
	s_cmp_le_i32 s36, s24
	s_cselect_b64 s[34:35], -1, 0
	s_and_b64 s[28:29], s[28:29], s[34:35]
	s_and_b64 vcc, exec, s[28:29]
	s_cbranch_vccz .LBB26_31
; %bb.30:                               ;   in Loop: Header=BB26_21 Depth=2
	s_mov_b32 s34, s27
	s_mov_b32 s26, s38
	;; [unrolled: 1-line block ×3, first 2 shown]
	s_branch .LBB26_21
.LBB26_31:                              ;   in Loop: Header=BB26_18 Depth=1
	s_add_u32 s22, s6, s22
	s_addc_u32 s23, s7, s23
	s_waitcnt lgkmcnt(0)
.LBB26_32:                              ;   Parent Loop BB26_18 Depth=1
                                        ; =>  This Inner Loop Header: Depth=2
	global_load_dword v6, v0, s[22:23] sc1
	s_waitcnt vmcnt(0)
	v_cmp_eq_u32_e32 vcc, 0, v6
	s_cbranch_vccnz .LBB26_32
; %bb.33:                               ;   in Loop: Header=BB26_18 Depth=1
	v_mad_u64_u32 v[6:7], s[22:23], s25, 36, v[2:3]
	v_ashrrev_i32_e32 v7, 31, v6
	v_lshl_add_u64 v[6:7], v[6:7], 3, s[18:19]
	buffer_inv sc1
	global_load_dwordx2 v[6:7], v[6:7], off
	s_cmp_lt_i32 s27, 2
	v_mov_b64_e32 v[10:11], 0
	s_waitcnt vmcnt(0)
	ds_write_b64 v20, v[6:7]
	s_waitcnt lgkmcnt(0)
	s_cbranch_scc1 .LBB26_41
; %bb.34:                               ;   in Loop: Header=BB26_18 Depth=1
	s_add_i32 s24, s27, -1
	v_mov_b64_e32 v[6:7], 0
	s_movk_i32 s25, 0x540
.LBB26_35:                              ;   Parent Loop BB26_18 Depth=1
                                        ; =>  This Inner Loop Header: Depth=2
	s_waitcnt lgkmcnt(0)
	v_mov_b32_e32 v8, s25
	ds_read2_b32 v[8:9], v8 offset1:32
	s_mov_b64 s[22:23], -1
	s_and_b64 vcc, exec, s[2:3]
                                        ; implicit-def: $vgpr10_vgpr11
	s_cbranch_vccz .LBB26_38
; %bb.36:                               ;   in Loop: Header=BB26_35 Depth=2
	s_waitcnt lgkmcnt(0)
	v_add_u32_e32 v10, v8, v12
	v_add_u32_e32 v28, v9, v13
	v_ashrrev_i32_e32 v11, 31, v10
	v_add_u32_e32 v32, 6, v10
	v_add_u32_e32 v34, 6, v28
	v_lshl_add_u64 v[26:27], v[10:11], 3, s[18:19]
	v_ashrrev_i32_e32 v29, 31, v28
	v_ashrrev_i32_e32 v33, 31, v32
	;; [unrolled: 1-line block ×3, first 2 shown]
	v_lshl_add_u64 v[30:31], v[28:29], 3, s[18:19]
	v_lshl_add_u64 v[32:33], v[32:33], 3, s[18:19]
	;; [unrolled: 1-line block ×3, first 2 shown]
	global_load_dwordx2 v[36:37], v[26:27], off
	global_load_dwordx2 v[38:39], v[30:31], off
	;; [unrolled: 1-line block ×4, first 2 shown]
	v_add_u32_e32 v26, 12, v10
	v_ashrrev_i32_e32 v27, 31, v26
	v_add_u32_e32 v30, 12, v28
	v_add_u32_e32 v32, 18, v10
	;; [unrolled: 1-line block ×3, first 2 shown]
	v_lshl_add_u64 v[26:27], v[26:27], 3, s[18:19]
	v_ashrrev_i32_e32 v31, 31, v30
	v_ashrrev_i32_e32 v33, 31, v32
	;; [unrolled: 1-line block ×3, first 2 shown]
	v_lshl_add_u64 v[30:31], v[30:31], 3, s[18:19]
	v_lshl_add_u64 v[32:33], v[32:33], 3, s[18:19]
	;; [unrolled: 1-line block ×3, first 2 shown]
	global_load_dwordx2 v[44:45], v[26:27], off
	global_load_dwordx2 v[46:47], v[30:31], off
	;; [unrolled: 1-line block ×4, first 2 shown]
	v_add_u32_e32 v26, 24, v10
	v_ashrrev_i32_e32 v27, 31, v26
	v_add_u32_e32 v30, 24, v28
	v_add_u32_e32 v10, 30, v10
	;; [unrolled: 1-line block ×3, first 2 shown]
	v_lshl_add_u64 v[26:27], v[26:27], 3, s[18:19]
	v_ashrrev_i32_e32 v31, 31, v30
	v_ashrrev_i32_e32 v11, 31, v10
	;; [unrolled: 1-line block ×3, first 2 shown]
	v_lshl_add_u64 v[30:31], v[30:31], 3, s[18:19]
	v_lshl_add_u64 v[10:11], v[10:11], 3, s[18:19]
	;; [unrolled: 1-line block ×3, first 2 shown]
	global_load_dwordx2 v[32:33], v[26:27], off
	global_load_dwordx2 v[34:35], v[30:31], off
	;; [unrolled: 1-line block ×4, first 2 shown]
	s_waitcnt vmcnt(10)
	v_fma_f64 v[10:11], v[36:37], v[38:39], v[6:7]
	s_waitcnt vmcnt(8)
	v_fmac_f64_e32 v[10:11], v[40:41], v[42:43]
	s_waitcnt vmcnt(6)
	v_fmac_f64_e32 v[10:11], v[44:45], v[46:47]
	;; [unrolled: 2-line block ×5, first 2 shown]
	s_cbranch_execz .LBB26_39
.LBB26_37:                              ;   in Loop: Header=BB26_35 Depth=2
	s_add_i32 s24, s24, -1
	s_add_i32 s25, s25, 4
	s_cmp_eq_u32 s24, 0
	s_cbranch_scc0 .LBB26_40
	s_branch .LBB26_41
.LBB26_38:                              ;   in Loop: Header=BB26_35 Depth=2
	s_andn2_b64 vcc, exec, s[22:23]
	s_cbranch_vccnz .LBB26_37
.LBB26_39:                              ;   in Loop: Header=BB26_35 Depth=2
	s_waitcnt lgkmcnt(0)
	v_add_u32_e32 v10, v8, v1
	v_add_u32_e32 v8, v9, v17
	v_ashrrev_i32_e32 v9, 31, v8
	v_ashrrev_i32_e32 v11, 31, v10
	v_lshl_add_u64 v[48:49], v[8:9], 3, s[18:19]
	v_lshl_add_u64 v[46:47], v[10:11], 3, s[18:19]
	global_load_dwordx4 v[8:11], v[48:49], off
	global_load_dwordx4 v[26:29], v[46:47], off
	global_load_dwordx4 v[30:33], v[46:47], off offset:16
	global_load_dwordx4 v[34:37], v[48:49], off offset:16
	;; [unrolled: 1-line block ×4, first 2 shown]
	s_waitcnt vmcnt(4)
	v_fmac_f64_e32 v[6:7], v[26:27], v[8:9]
	v_fmac_f64_e32 v[6:7], v[28:29], v[10:11]
	s_waitcnt vmcnt(2)
	v_fmac_f64_e32 v[6:7], v[30:31], v[34:35]
	v_fmac_f64_e32 v[6:7], v[32:33], v[36:37]
	;; [unrolled: 3-line block ×3, first 2 shown]
	v_mov_b64_e32 v[10:11], v[6:7]
	s_add_i32 s24, s24, -1
	s_add_i32 s25, s25, 4
	s_cmp_eq_u32 s24, 0
	s_cbranch_scc1 .LBB26_41
.LBB26_40:                              ;   in Loop: Header=BB26_35 Depth=2
	v_mov_b64_e32 v[6:7], v[10:11]
	s_branch .LBB26_35
.LBB26_41:                              ;   in Loop: Header=BB26_18 Depth=1
	ds_write_b64 v22, v[10:11]
	s_waitcnt lgkmcnt(0)
	ds_read_b64 v[8:9], v0
	ds_read_b64 v[6:7], v18
	s_waitcnt lgkmcnt(1)
	v_cmp_neq_f64_e32 vcc, 0, v[8:9]
	s_nop 1
	v_cndmask_b32_e32 v9, v24, v9, vcc
	s_nor_b64 s[24:25], vcc, s[0:1]
	v_cndmask_b32_e32 v8, 0, v8, vcc
	s_and_saveexec_b64 s[22:23], s[24:25]
	s_cbranch_execz .LBB26_45
; %bb.42:                               ;   in Loop: Header=BB26_18 Depth=1
	v_mbcnt_lo_u32_b32 v8, exec_lo, 0
	v_mbcnt_hi_u32_b32 v8, exec_hi, v8
	v_cmp_eq_u32_e32 vcc, 0, v8
	s_and_saveexec_b64 s[24:25], vcc
	s_cbranch_execz .LBB26_44
; %bb.43:                               ;   in Loop: Header=BB26_18 Depth=1
	v_mov_b32_e32 v8, s21
	global_atomic_smin v0, v8, s[10:11]
.LBB26_44:                              ;   in Loop: Header=BB26_18 Depth=1
	s_or_b64 exec, exec, s[24:25]
	v_mov_b64_e32 v[8:9], 1.0
.LBB26_45:                              ;   in Loop: Header=BB26_18 Depth=1
	s_or_b64 exec, exec, s[22:23]
	ds_read_b64 v[10:11], v21
	s_waitcnt lgkmcnt(0)
	v_add_f64 v[6:7], v[6:7], -v[10:11]
	v_div_scale_f64 v[10:11], s[22:23], v[8:9], v[8:9], v[6:7]
	v_rcp_f64_e32 v[26:27], v[10:11]
	v_div_scale_f64 v[28:29], vcc, v[6:7], v[8:9], v[6:7]
	v_fma_f64 v[30:31], -v[10:11], v[26:27], 1.0
	v_fmac_f64_e32 v[26:27], v[26:27], v[30:31]
	v_fma_f64 v[30:31], -v[10:11], v[26:27], 1.0
	v_fmac_f64_e32 v[26:27], v[26:27], v[30:31]
	v_mul_f64 v[30:31], v[28:29], v[26:27]
	v_fma_f64 v[10:11], -v[10:11], v[30:31], v[28:29]
	v_div_fmas_f64 v[10:11], v[10:11], v[26:27], v[30:31]
	v_div_fixup_f64 v[6:7], v[10:11], v[8:9], v[6:7]
	ds_write_b64 v18, v[6:7]
	s_waitcnt lgkmcnt(0)
	ds_read_b64 v[8:9], v23
	ds_read_b64 v[10:11], v15
	s_waitcnt lgkmcnt(0)
	v_fmac_f64_e32 v[10:11], v[6:7], v[8:9]
	ds_write_b64 v15, v[10:11]
	s_waitcnt lgkmcnt(0)
	ds_read_b64 v[8:9], v0 offset:64
	ds_read_b64 v[6:7], v18 offset:8
	s_waitcnt lgkmcnt(1)
	v_cmp_neq_f64_e32 vcc, 0, v[8:9]
	s_nop 1
	v_cndmask_b32_e32 v9, v24, v9, vcc
	s_nor_b64 s[24:25], vcc, s[0:1]
	v_cndmask_b32_e32 v8, 0, v8, vcc
	s_and_saveexec_b64 s[22:23], s[24:25]
	s_cbranch_execz .LBB26_49
; %bb.46:                               ;   in Loop: Header=BB26_18 Depth=1
	v_mbcnt_lo_u32_b32 v8, exec_lo, 0
	v_mbcnt_hi_u32_b32 v8, exec_hi, v8
	v_cmp_eq_u32_e32 vcc, 0, v8
	s_and_saveexec_b64 s[24:25], vcc
	s_cbranch_execz .LBB26_48
; %bb.47:                               ;   in Loop: Header=BB26_18 Depth=1
	v_mov_b32_e32 v8, s21
	global_atomic_smin v0, v8, s[10:11]
.LBB26_48:                              ;   in Loop: Header=BB26_18 Depth=1
	s_or_b64 exec, exec, s[24:25]
	v_mov_b64_e32 v[8:9], 1.0
.LBB26_49:                              ;   in Loop: Header=BB26_18 Depth=1
	s_or_b64 exec, exec, s[22:23]
	ds_read_b64 v[10:11], v0 offset:56
	ds_read_b64 v[26:27], v18
	ds_read_b64 v[28:29], v21 offset:8
	s_waitcnt lgkmcnt(0)
	v_fmac_f64_e32 v[28:29], v[10:11], v[26:27]
	v_add_f64 v[6:7], v[6:7], -v[28:29]
	v_div_scale_f64 v[10:11], s[22:23], v[8:9], v[8:9], v[6:7]
	v_rcp_f64_e32 v[26:27], v[10:11]
	v_div_scale_f64 v[28:29], vcc, v[6:7], v[8:9], v[6:7]
	v_fma_f64 v[30:31], -v[10:11], v[26:27], 1.0
	v_fmac_f64_e32 v[26:27], v[26:27], v[30:31]
	v_fma_f64 v[30:31], -v[10:11], v[26:27], 1.0
	v_fmac_f64_e32 v[26:27], v[26:27], v[30:31]
	v_mul_f64 v[30:31], v[28:29], v[26:27]
	v_fma_f64 v[10:11], -v[10:11], v[30:31], v[28:29]
	v_div_fmas_f64 v[10:11], v[10:11], v[26:27], v[30:31]
	v_div_fixup_f64 v[6:7], v[10:11], v[8:9], v[6:7]
	ds_write_b64 v18, v[6:7] offset:8
	s_waitcnt lgkmcnt(0)
	ds_read_b64 v[8:9], v23 offset:8
	ds_read_b64 v[10:11], v15
	s_waitcnt lgkmcnt(0)
	v_fmac_f64_e32 v[10:11], v[6:7], v[8:9]
	ds_write_b64 v15, v[10:11]
	s_waitcnt lgkmcnt(0)
	ds_read_b64 v[8:9], v0 offset:128
	ds_read_b64 v[6:7], v18 offset:16
	s_waitcnt lgkmcnt(1)
	v_cmp_neq_f64_e32 vcc, 0, v[8:9]
	s_nop 1
	v_cndmask_b32_e32 v9, v24, v9, vcc
	s_nor_b64 s[24:25], vcc, s[0:1]
	v_cndmask_b32_e32 v8, 0, v8, vcc
	s_and_saveexec_b64 s[22:23], s[24:25]
	s_cbranch_execz .LBB26_53
; %bb.50:                               ;   in Loop: Header=BB26_18 Depth=1
	v_mbcnt_lo_u32_b32 v8, exec_lo, 0
	v_mbcnt_hi_u32_b32 v8, exec_hi, v8
	v_cmp_eq_u32_e32 vcc, 0, v8
	s_and_saveexec_b64 s[24:25], vcc
	s_cbranch_execz .LBB26_52
; %bb.51:                               ;   in Loop: Header=BB26_18 Depth=1
	v_mov_b32_e32 v8, s21
	global_atomic_smin v0, v8, s[10:11]
.LBB26_52:                              ;   in Loop: Header=BB26_18 Depth=1
	s_or_b64 exec, exec, s[24:25]
	v_mov_b64_e32 v[8:9], 1.0
.LBB26_53:                              ;   in Loop: Header=BB26_18 Depth=1
	s_or_b64 exec, exec, s[22:23]
	ds_read_b128 v[26:29], v0 offset:112
	ds_read2_b64 v[30:33], v18 offset1:1
	ds_read_b64 v[10:11], v21 offset:16
	s_waitcnt lgkmcnt(0)
	v_fmac_f64_e32 v[10:11], v[26:27], v[30:31]
	v_fmac_f64_e32 v[10:11], v[28:29], v[32:33]
	v_add_f64 v[6:7], v[6:7], -v[10:11]
	v_div_scale_f64 v[10:11], s[22:23], v[8:9], v[8:9], v[6:7]
	v_rcp_f64_e32 v[26:27], v[10:11]
	v_div_scale_f64 v[28:29], vcc, v[6:7], v[8:9], v[6:7]
	v_fma_f64 v[30:31], -v[10:11], v[26:27], 1.0
	v_fmac_f64_e32 v[26:27], v[26:27], v[30:31]
	v_fma_f64 v[30:31], -v[10:11], v[26:27], 1.0
	v_fmac_f64_e32 v[26:27], v[26:27], v[30:31]
	v_mul_f64 v[30:31], v[28:29], v[26:27]
	v_fma_f64 v[10:11], -v[10:11], v[30:31], v[28:29]
	v_div_fmas_f64 v[10:11], v[10:11], v[26:27], v[30:31]
	v_div_fixup_f64 v[6:7], v[10:11], v[8:9], v[6:7]
	ds_write_b64 v18, v[6:7] offset:16
	s_waitcnt lgkmcnt(0)
	ds_read_b64 v[8:9], v23 offset:16
	ds_read_b64 v[10:11], v15
	s_waitcnt lgkmcnt(0)
	v_fmac_f64_e32 v[10:11], v[6:7], v[8:9]
	ds_write_b64 v15, v[10:11]
	s_waitcnt lgkmcnt(0)
	ds_read_b64 v[8:9], v0 offset:192
	ds_read_b64 v[6:7], v18 offset:24
	s_waitcnt lgkmcnt(1)
	v_cmp_neq_f64_e32 vcc, 0, v[8:9]
	s_nop 1
	v_cndmask_b32_e32 v9, v24, v9, vcc
	s_nor_b64 s[24:25], vcc, s[0:1]
	v_cndmask_b32_e32 v8, 0, v8, vcc
	s_and_saveexec_b64 s[22:23], s[24:25]
	s_cbranch_execz .LBB26_57
; %bb.54:                               ;   in Loop: Header=BB26_18 Depth=1
	v_mbcnt_lo_u32_b32 v8, exec_lo, 0
	v_mbcnt_hi_u32_b32 v8, exec_hi, v8
	v_cmp_eq_u32_e32 vcc, 0, v8
	s_and_saveexec_b64 s[24:25], vcc
	s_cbranch_execz .LBB26_56
; %bb.55:                               ;   in Loop: Header=BB26_18 Depth=1
	v_mov_b32_e32 v8, s21
	global_atomic_smin v0, v8, s[10:11]
.LBB26_56:                              ;   in Loop: Header=BB26_18 Depth=1
	s_or_b64 exec, exec, s[24:25]
	v_mov_b64_e32 v[8:9], 1.0
.LBB26_57:                              ;   in Loop: Header=BB26_18 Depth=1
	s_or_b64 exec, exec, s[22:23]
	ds_read2_b64 v[26:29], v0 offset0:21 offset1:22
	ds_read_b64 v[10:11], v21 offset:24
	ds_read2_b64 v[30:33], v18 offset1:1
	ds_read_b64 v[34:35], v18 offset:16
	ds_read_b64 v[36:37], v0 offset:184
	s_waitcnt lgkmcnt(2)
	v_fmac_f64_e32 v[10:11], v[26:27], v[30:31]
	v_fmac_f64_e32 v[10:11], v[28:29], v[32:33]
	s_waitcnt lgkmcnt(0)
	v_fmac_f64_e32 v[10:11], v[36:37], v[34:35]
	v_add_f64 v[6:7], v[6:7], -v[10:11]
	v_div_scale_f64 v[10:11], s[22:23], v[8:9], v[8:9], v[6:7]
	v_rcp_f64_e32 v[26:27], v[10:11]
	v_div_scale_f64 v[28:29], vcc, v[6:7], v[8:9], v[6:7]
	v_fma_f64 v[30:31], -v[10:11], v[26:27], 1.0
	v_fmac_f64_e32 v[26:27], v[26:27], v[30:31]
	v_fma_f64 v[30:31], -v[10:11], v[26:27], 1.0
	v_fmac_f64_e32 v[26:27], v[26:27], v[30:31]
	v_mul_f64 v[30:31], v[28:29], v[26:27]
	v_fma_f64 v[10:11], -v[10:11], v[30:31], v[28:29]
	v_div_fmas_f64 v[10:11], v[10:11], v[26:27], v[30:31]
	v_div_fixup_f64 v[6:7], v[10:11], v[8:9], v[6:7]
	ds_write_b64 v18, v[6:7] offset:24
	s_waitcnt lgkmcnt(0)
	ds_read_b64 v[8:9], v23 offset:24
	ds_read_b64 v[10:11], v15
	s_waitcnt lgkmcnt(0)
	v_fmac_f64_e32 v[10:11], v[6:7], v[8:9]
	ds_write_b64 v15, v[10:11]
	s_waitcnt lgkmcnt(0)
	ds_read_b64 v[8:9], v0 offset:256
	ds_read_b64 v[6:7], v18 offset:32
	s_waitcnt lgkmcnt(1)
	v_cmp_neq_f64_e32 vcc, 0, v[8:9]
	s_nop 1
	v_cndmask_b32_e32 v9, v24, v9, vcc
	s_nor_b64 s[24:25], vcc, s[0:1]
	v_cndmask_b32_e32 v8, 0, v8, vcc
	s_and_saveexec_b64 s[22:23], s[24:25]
	s_cbranch_execz .LBB26_61
; %bb.58:                               ;   in Loop: Header=BB26_18 Depth=1
	v_mbcnt_lo_u32_b32 v8, exec_lo, 0
	v_mbcnt_hi_u32_b32 v8, exec_hi, v8
	v_cmp_eq_u32_e32 vcc, 0, v8
	s_and_saveexec_b64 s[24:25], vcc
	s_cbranch_execz .LBB26_60
; %bb.59:                               ;   in Loop: Header=BB26_18 Depth=1
	v_mov_b32_e32 v8, s21
	global_atomic_smin v0, v8, s[10:11]
.LBB26_60:                              ;   in Loop: Header=BB26_18 Depth=1
	s_or_b64 exec, exec, s[24:25]
	v_mov_b64_e32 v[8:9], 1.0
.LBB26_61:                              ;   in Loop: Header=BB26_18 Depth=1
	s_or_b64 exec, exec, s[22:23]
	ds_read_b128 v[26:29], v0 offset:224
	ds_read_b64 v[10:11], v21 offset:32
	ds_read2_b64 v[30:33], v18 offset1:1
	ds_read2_b64 v[34:37], v18 offset0:2 offset1:3
	ds_read_b128 v[38:41], v0 offset:240
	s_waitcnt lgkmcnt(2)
	v_fmac_f64_e32 v[10:11], v[26:27], v[30:31]
	v_fmac_f64_e32 v[10:11], v[28:29], v[32:33]
	s_waitcnt lgkmcnt(0)
	v_fmac_f64_e32 v[10:11], v[38:39], v[34:35]
	v_fmac_f64_e32 v[10:11], v[40:41], v[36:37]
	v_add_f64 v[6:7], v[6:7], -v[10:11]
	v_div_scale_f64 v[10:11], s[22:23], v[8:9], v[8:9], v[6:7]
	v_rcp_f64_e32 v[26:27], v[10:11]
	v_div_scale_f64 v[28:29], vcc, v[6:7], v[8:9], v[6:7]
	v_fma_f64 v[30:31], -v[10:11], v[26:27], 1.0
	v_fmac_f64_e32 v[26:27], v[26:27], v[30:31]
	v_fma_f64 v[30:31], -v[10:11], v[26:27], 1.0
	v_fmac_f64_e32 v[26:27], v[26:27], v[30:31]
	v_mul_f64 v[30:31], v[28:29], v[26:27]
	v_fma_f64 v[10:11], -v[10:11], v[30:31], v[28:29]
	v_div_fmas_f64 v[10:11], v[10:11], v[26:27], v[30:31]
	v_div_fixup_f64 v[6:7], v[10:11], v[8:9], v[6:7]
	ds_write_b64 v18, v[6:7] offset:32
	s_waitcnt lgkmcnt(0)
	ds_read_b64 v[8:9], v23 offset:32
	ds_read_b64 v[10:11], v15
	s_waitcnt lgkmcnt(0)
	v_fmac_f64_e32 v[10:11], v[6:7], v[8:9]
	ds_write_b64 v15, v[10:11]
	s_waitcnt lgkmcnt(0)
	ds_read_b64 v[8:9], v0 offset:320
	ds_read_b64 v[6:7], v18 offset:40
	s_waitcnt lgkmcnt(1)
	v_cmp_neq_f64_e32 vcc, 0, v[8:9]
	s_nop 1
	v_cndmask_b32_e32 v9, v24, v9, vcc
	s_nor_b64 s[24:25], vcc, s[0:1]
	v_cndmask_b32_e32 v8, 0, v8, vcc
	s_and_saveexec_b64 s[22:23], s[24:25]
	s_cbranch_execz .LBB26_17
; %bb.62:                               ;   in Loop: Header=BB26_18 Depth=1
	v_mbcnt_lo_u32_b32 v8, exec_lo, 0
	v_mbcnt_hi_u32_b32 v8, exec_hi, v8
	v_cmp_eq_u32_e32 vcc, 0, v8
	s_and_saveexec_b64 s[24:25], vcc
	s_cbranch_execz .LBB26_16
; %bb.63:                               ;   in Loop: Header=BB26_18 Depth=1
	v_mov_b32_e32 v8, s21
	global_atomic_smin v0, v8, s[10:11]
	s_branch .LBB26_16
.LBB26_64:                              ;   in Loop: Header=BB26_18 Depth=1
                                        ; implicit-def: $sgpr20
	s_cbranch_execz .LBB26_18
.LBB26_65:
	s_cmp_lg_u32 s33, 0
	s_cselect_b64 s[4:5], -1, 0
	s_cmp_eq_u32 s33, 0
	v_mov_b32_e32 v0, v14
	s_cbranch_scc1 .LBB26_67
; %bb.66:
	v_mad_u32_u24 v0, v12, 6, v13
.LBB26_67:
	s_mul_i32 s30, s30, 36
	v_add_u32_e32 v0, s30, v0
	v_ashrrev_i32_e32 v1, 31, v0
	v_lshl_add_u64 v[0:1], v[0:1], 3, s[18:19]
	global_load_dwordx2 v[0:1], v[0:1], off
	v_mov_b32_e32 v2, 0x2a0
	v_mad_u32_u24 v4, v13, 56, v2
	v_cmp_ne_u32_e32 vcc, 0, v13
	v_lshl_add_u32 v2, v12, 3, v4
	v_cmp_eq_u32_e64 s[0:1], 0, v13
	s_waitcnt vmcnt(0)
	ds_write_b64 v2, v[0:1]
	s_waitcnt lgkmcnt(0)
	s_and_saveexec_b64 s[2:3], s[0:1]
	s_cbranch_execz .LBB26_69
; %bb.68:
	v_mov_b32_e32 v5, 0
	ds_read2_b64 v[6:9], v5 offset0:84 offset1:126
	s_mov_b32 s12, 0
	s_brev_b32 s13, 8
	v_mov_b32_e32 v17, 0x260
	s_waitcnt lgkmcnt(0)
	v_add_f64 v[0:1], v[6:7], -v[8:9]
	v_xor_b32_e32 v6, 0x80000000, v1
	v_cmp_gt_f64_e64 s[0:1], 0, v[0:1]
	s_nop 1
	v_cndmask_b32_e64 v1, v1, v6, s[0:1]
	v_cmp_gt_f64_e64 s[0:1], s[12:13], v[0:1]
	s_and_b64 s[0:1], s[0:1], exec
	s_cselect_b32 s0, 0x100, 0
	v_ldexp_f64 v[0:1], v[0:1], s0
	v_rsq_f64_e32 v[6:7], v[0:1]
	s_cselect_b32 s0, 0xffffff80, 0
	v_mul_f64 v[8:9], v[0:1], v[6:7]
	v_mul_f64 v[6:7], v[6:7], 0.5
	v_fma_f64 v[10:11], -v[6:7], v[8:9], 0.5
	v_fmac_f64_e32 v[8:9], v[8:9], v[10:11]
	v_fmac_f64_e32 v[6:7], v[6:7], v[10:11]
	v_fma_f64 v[10:11], -v[8:9], v[8:9], v[0:1]
	v_fmac_f64_e32 v[8:9], v[10:11], v[6:7]
	v_fma_f64 v[10:11], -v[8:9], v[8:9], v[0:1]
	v_fmac_f64_e32 v[8:9], v[10:11], v[6:7]
	v_ldexp_f64 v[6:7], v[8:9], s0
	v_cmp_class_f64_e64 s[0:1], v[0:1], v17
	s_nop 1
	v_cndmask_b32_e64 v1, v7, v1, s[0:1]
	v_cndmask_b32_e64 v0, v6, v0, s[0:1]
	ds_write_b64 v5, v[0:1] offset:672
.LBB26_69:
	s_or_b64 exec, exec, s[2:3]
	v_mov_b32_e32 v0, 0
	s_waitcnt lgkmcnt(0)
	ds_read_b64 v[0:1], v0 offset:672
	v_or_b32_e32 v5, v12, v13
	v_cmp_ne_u32_e64 s[0:1], 0, v5
	v_mov_b32_e32 v6, 0x3ff00000
	s_add_i32 s20, s16, s17
	s_waitcnt lgkmcnt(0)
	v_cmp_neq_f64_e64 s[2:3], 0, v[0:1]
	s_nor_b64 s[14:15], s[2:3], s[0:1]
	s_nop 0
	v_cndmask_b32_e64 v1, v6, v1, s[2:3]
	v_cndmask_b32_e64 v0, 0, v0, s[2:3]
	s_and_saveexec_b64 s[12:13], s[14:15]
	s_cbranch_execz .LBB26_73
; %bb.70:
	v_mbcnt_lo_u32_b32 v0, exec_lo, 0
	v_mbcnt_hi_u32_b32 v0, exec_hi, v0
	v_cmp_eq_u32_e64 s[2:3], 0, v0
	s_and_saveexec_b64 s[14:15], s[2:3]
	s_cbranch_execz .LBB26_72
; %bb.71:
	v_mov_b32_e32 v0, 0
	v_mov_b32_e32 v1, s20
	global_atomic_smin v0, v1, s[10:11]
.LBB26_72:
	s_or_b64 exec, exec, s[14:15]
	v_mov_b64_e32 v[0:1], 1.0
.LBB26_73:
	s_or_b64 exec, exec, s[12:13]
	v_mov_b32_e32 v6, 0x2a0
	v_mad_u32_u24 v6, v12, 56, v6
	s_and_saveexec_b64 s[2:3], vcc
	s_cbranch_execz .LBB26_75
; %bb.74:
	ds_read_b64 v[8:9], v4
	ds_read_b64 v[10:11], v16
	s_waitcnt lgkmcnt(0)
	v_add_f64 v[8:9], v[8:9], -v[10:11]
	v_div_scale_f64 v[10:11], s[12:13], v[0:1], v[0:1], v[8:9]
	v_rcp_f64_e32 v[18:19], v[10:11]
	v_div_scale_f64 v[20:21], vcc, v[8:9], v[0:1], v[8:9]
	v_fma_f64 v[22:23], -v[10:11], v[18:19], 1.0
	v_fmac_f64_e32 v[18:19], v[18:19], v[22:23]
	v_fma_f64 v[22:23], -v[10:11], v[18:19], 1.0
	v_fmac_f64_e32 v[18:19], v[18:19], v[22:23]
	v_mul_f64 v[22:23], v[20:21], v[18:19]
	v_fma_f64 v[10:11], -v[10:11], v[22:23], v[20:21]
	v_div_fmas_f64 v[10:11], v[10:11], v[18:19], v[22:23]
	v_div_fixup_f64 v[0:1], v[10:11], v[0:1], v[8:9]
	ds_write_b64 v4, v[0:1]
	s_waitcnt lgkmcnt(0)
	ds_read_b64 v[8:9], v6
	ds_read_b64 v[10:11], v15
	s_waitcnt lgkmcnt(0)
	v_fmac_f64_e32 v[10:11], v[0:1], v[8:9]
	ds_write_b64 v15, v[10:11]
.LBB26_75:
	s_or_b64 exec, exec, s[2:3]
	v_cmp_eq_u32_e32 vcc, 1, v13
	s_waitcnt lgkmcnt(0)
	s_and_saveexec_b64 s[2:3], vcc
	s_cbranch_execz .LBB26_77
; %bb.76:
	v_mov_b32_e32 v7, 0
	ds_read2_b64 v[8:11], v7 offset0:92 offset1:134
	s_mov_b32 s12, 0
	s_brev_b32 s13, 8
	v_mov_b32_e32 v17, 0x260
	s_waitcnt lgkmcnt(0)
	v_add_f64 v[0:1], v[8:9], -v[10:11]
	v_xor_b32_e32 v8, 0x80000000, v1
	v_cmp_gt_f64_e32 vcc, 0, v[0:1]
	s_nop 1
	v_cndmask_b32_e32 v1, v1, v8, vcc
	v_cmp_gt_f64_e32 vcc, s[12:13], v[0:1]
	s_and_b64 s[12:13], vcc, exec
	s_cselect_b32 s12, 0x100, 0
	v_ldexp_f64 v[0:1], v[0:1], s12
	v_rsq_f64_e32 v[8:9], v[0:1]
	s_cselect_b32 s12, 0xffffff80, 0
	v_cmp_class_f64_e32 vcc, v[0:1], v17
	v_mul_f64 v[10:11], v[0:1], v[8:9]
	v_mul_f64 v[8:9], v[8:9], 0.5
	v_fma_f64 v[18:19], -v[8:9], v[10:11], 0.5
	v_fmac_f64_e32 v[10:11], v[10:11], v[18:19]
	v_fmac_f64_e32 v[8:9], v[8:9], v[18:19]
	v_fma_f64 v[18:19], -v[10:11], v[10:11], v[0:1]
	v_fmac_f64_e32 v[10:11], v[18:19], v[8:9]
	v_fma_f64 v[18:19], -v[10:11], v[10:11], v[0:1]
	v_fmac_f64_e32 v[10:11], v[18:19], v[8:9]
	v_ldexp_f64 v[8:9], v[10:11], s12
	v_cndmask_b32_e32 v1, v9, v1, vcc
	v_cndmask_b32_e32 v0, v8, v0, vcc
	ds_write_b64 v7, v[0:1] offset:736
.LBB26_77:
	s_or_b64 exec, exec, s[2:3]
	v_mov_b32_e32 v0, 0
	s_waitcnt lgkmcnt(0)
	ds_read_b64 v[0:1], v0 offset:736
	v_mov_b32_e32 v7, 0x3ff00000
	s_waitcnt lgkmcnt(0)
	v_cmp_neq_f64_e32 vcc, 0, v[0:1]
	s_nop 1
	v_cndmask_b32_e32 v1, v7, v1, vcc
	s_nor_b64 s[12:13], vcc, s[0:1]
	v_cndmask_b32_e32 v0, 0, v0, vcc
	s_and_saveexec_b64 s[2:3], s[12:13]
	s_cbranch_execz .LBB26_81
; %bb.78:
	v_mbcnt_lo_u32_b32 v0, exec_lo, 0
	v_mbcnt_hi_u32_b32 v0, exec_hi, v0
	v_cmp_eq_u32_e32 vcc, 0, v0
	s_and_saveexec_b64 s[12:13], vcc
	s_cbranch_execz .LBB26_80
; %bb.79:
	v_mov_b32_e32 v0, 0
	v_mov_b32_e32 v1, s20
	global_atomic_smin v0, v1, s[10:11]
.LBB26_80:
	s_or_b64 exec, exec, s[12:13]
	v_mov_b64_e32 v[0:1], 1.0
.LBB26_81:
	s_or_b64 exec, exec, s[2:3]
	v_cmp_lt_u32_e32 vcc, 1, v13
	s_and_saveexec_b64 s[2:3], vcc
	s_cbranch_execz .LBB26_83
; %bb.82:
	ds_read_b64 v[8:9], v4 offset:8
	ds_read_b64 v[10:11], v16 offset:8
	s_waitcnt lgkmcnt(0)
	v_add_f64 v[8:9], v[8:9], -v[10:11]
	v_div_scale_f64 v[10:11], s[12:13], v[0:1], v[0:1], v[8:9]
	v_rcp_f64_e32 v[18:19], v[10:11]
	v_div_scale_f64 v[20:21], vcc, v[8:9], v[0:1], v[8:9]
	v_fma_f64 v[22:23], -v[10:11], v[18:19], 1.0
	v_fmac_f64_e32 v[18:19], v[18:19], v[22:23]
	v_fma_f64 v[22:23], -v[10:11], v[18:19], 1.0
	v_fmac_f64_e32 v[18:19], v[18:19], v[22:23]
	v_mul_f64 v[22:23], v[20:21], v[18:19]
	v_fma_f64 v[10:11], -v[10:11], v[22:23], v[20:21]
	v_div_fmas_f64 v[10:11], v[10:11], v[18:19], v[22:23]
	v_div_fixup_f64 v[0:1], v[10:11], v[0:1], v[8:9]
	ds_write_b64 v4, v[0:1] offset:8
	s_waitcnt lgkmcnt(0)
	ds_read_b64 v[8:9], v6 offset:8
	ds_read_b64 v[10:11], v15
	s_waitcnt lgkmcnt(0)
	v_fmac_f64_e32 v[10:11], v[0:1], v[8:9]
	ds_write_b64 v15, v[10:11]
.LBB26_83:
	s_or_b64 exec, exec, s[2:3]
	v_cmp_eq_u32_e32 vcc, 2, v13
	s_waitcnt lgkmcnt(0)
	s_and_saveexec_b64 s[2:3], vcc
	s_cbranch_execz .LBB26_85
; %bb.84:
	v_mov_b32_e32 v7, 0
	ds_read2_b64 v[8:11], v7 offset0:100 offset1:142
	s_mov_b32 s12, 0
	s_brev_b32 s13, 8
	v_mov_b32_e32 v17, 0x260
	s_waitcnt lgkmcnt(0)
	v_add_f64 v[0:1], v[8:9], -v[10:11]
	v_xor_b32_e32 v8, 0x80000000, v1
	v_cmp_gt_f64_e32 vcc, 0, v[0:1]
	s_nop 1
	v_cndmask_b32_e32 v1, v1, v8, vcc
	v_cmp_gt_f64_e32 vcc, s[12:13], v[0:1]
	s_and_b64 s[12:13], vcc, exec
	s_cselect_b32 s12, 0x100, 0
	v_ldexp_f64 v[0:1], v[0:1], s12
	v_rsq_f64_e32 v[8:9], v[0:1]
	s_cselect_b32 s12, 0xffffff80, 0
	v_cmp_class_f64_e32 vcc, v[0:1], v17
	v_mul_f64 v[10:11], v[0:1], v[8:9]
	v_mul_f64 v[8:9], v[8:9], 0.5
	v_fma_f64 v[18:19], -v[8:9], v[10:11], 0.5
	v_fmac_f64_e32 v[10:11], v[10:11], v[18:19]
	v_fmac_f64_e32 v[8:9], v[8:9], v[18:19]
	v_fma_f64 v[18:19], -v[10:11], v[10:11], v[0:1]
	v_fmac_f64_e32 v[10:11], v[18:19], v[8:9]
	v_fma_f64 v[18:19], -v[10:11], v[10:11], v[0:1]
	v_fmac_f64_e32 v[10:11], v[18:19], v[8:9]
	v_ldexp_f64 v[8:9], v[10:11], s12
	v_cndmask_b32_e32 v1, v9, v1, vcc
	v_cndmask_b32_e32 v0, v8, v0, vcc
	ds_write_b64 v7, v[0:1] offset:800
.LBB26_85:
	s_or_b64 exec, exec, s[2:3]
	v_mov_b32_e32 v0, 0
	s_waitcnt lgkmcnt(0)
	ds_read_b64 v[0:1], v0 offset:800
	v_mov_b32_e32 v7, 0x3ff00000
	s_waitcnt lgkmcnt(0)
	v_cmp_neq_f64_e32 vcc, 0, v[0:1]
	s_nop 1
	v_cndmask_b32_e32 v1, v7, v1, vcc
	s_nor_b64 s[12:13], vcc, s[0:1]
	v_cndmask_b32_e32 v0, 0, v0, vcc
	s_and_saveexec_b64 s[2:3], s[12:13]
	s_cbranch_execz .LBB26_89
; %bb.86:
	v_mbcnt_lo_u32_b32 v0, exec_lo, 0
	v_mbcnt_hi_u32_b32 v0, exec_hi, v0
	v_cmp_eq_u32_e32 vcc, 0, v0
	s_and_saveexec_b64 s[12:13], vcc
	s_cbranch_execz .LBB26_88
; %bb.87:
	v_mov_b32_e32 v0, 0
	v_mov_b32_e32 v1, s20
	global_atomic_smin v0, v1, s[10:11]
.LBB26_88:
	s_or_b64 exec, exec, s[12:13]
	v_mov_b64_e32 v[0:1], 1.0
.LBB26_89:
	s_or_b64 exec, exec, s[2:3]
	v_cmp_lt_u32_e32 vcc, 2, v13
	s_and_saveexec_b64 s[2:3], vcc
	s_cbranch_execz .LBB26_91
; %bb.90:
	ds_read_b64 v[8:9], v4 offset:16
	ds_read_b64 v[10:11], v16 offset:16
	s_waitcnt lgkmcnt(0)
	v_add_f64 v[8:9], v[8:9], -v[10:11]
	v_div_scale_f64 v[10:11], s[12:13], v[0:1], v[0:1], v[8:9]
	v_rcp_f64_e32 v[18:19], v[10:11]
	v_div_scale_f64 v[20:21], vcc, v[8:9], v[0:1], v[8:9]
	v_fma_f64 v[22:23], -v[10:11], v[18:19], 1.0
	v_fmac_f64_e32 v[18:19], v[18:19], v[22:23]
	v_fma_f64 v[22:23], -v[10:11], v[18:19], 1.0
	v_fmac_f64_e32 v[18:19], v[18:19], v[22:23]
	v_mul_f64 v[22:23], v[20:21], v[18:19]
	v_fma_f64 v[10:11], -v[10:11], v[22:23], v[20:21]
	v_div_fmas_f64 v[10:11], v[10:11], v[18:19], v[22:23]
	v_div_fixup_f64 v[0:1], v[10:11], v[0:1], v[8:9]
	ds_write_b64 v4, v[0:1] offset:16
	s_waitcnt lgkmcnt(0)
	ds_read_b64 v[8:9], v6 offset:16
	ds_read_b64 v[10:11], v15
	s_waitcnt lgkmcnt(0)
	v_fmac_f64_e32 v[10:11], v[0:1], v[8:9]
	ds_write_b64 v15, v[10:11]
.LBB26_91:
	s_or_b64 exec, exec, s[2:3]
	v_cmp_eq_u32_e32 vcc, 3, v13
	s_waitcnt lgkmcnt(0)
	s_and_saveexec_b64 s[2:3], vcc
	s_cbranch_execz .LBB26_93
; %bb.92:
	v_mov_b32_e32 v7, 0
	ds_read2_b64 v[8:11], v7 offset0:108 offset1:150
	s_mov_b32 s12, 0
	s_brev_b32 s13, 8
	v_mov_b32_e32 v17, 0x260
	s_waitcnt lgkmcnt(0)
	v_add_f64 v[0:1], v[8:9], -v[10:11]
	v_xor_b32_e32 v8, 0x80000000, v1
	v_cmp_gt_f64_e32 vcc, 0, v[0:1]
	s_nop 1
	v_cndmask_b32_e32 v1, v1, v8, vcc
	v_cmp_gt_f64_e32 vcc, s[12:13], v[0:1]
	s_and_b64 s[12:13], vcc, exec
	s_cselect_b32 s12, 0x100, 0
	v_ldexp_f64 v[0:1], v[0:1], s12
	v_rsq_f64_e32 v[8:9], v[0:1]
	s_cselect_b32 s12, 0xffffff80, 0
	v_cmp_class_f64_e32 vcc, v[0:1], v17
	v_mul_f64 v[10:11], v[0:1], v[8:9]
	v_mul_f64 v[8:9], v[8:9], 0.5
	v_fma_f64 v[18:19], -v[8:9], v[10:11], 0.5
	v_fmac_f64_e32 v[10:11], v[10:11], v[18:19]
	v_fmac_f64_e32 v[8:9], v[8:9], v[18:19]
	v_fma_f64 v[18:19], -v[10:11], v[10:11], v[0:1]
	v_fmac_f64_e32 v[10:11], v[18:19], v[8:9]
	v_fma_f64 v[18:19], -v[10:11], v[10:11], v[0:1]
	v_fmac_f64_e32 v[10:11], v[18:19], v[8:9]
	v_ldexp_f64 v[8:9], v[10:11], s12
	v_cndmask_b32_e32 v1, v9, v1, vcc
	v_cndmask_b32_e32 v0, v8, v0, vcc
	ds_write_b64 v7, v[0:1] offset:864
.LBB26_93:
	s_or_b64 exec, exec, s[2:3]
	v_mov_b32_e32 v0, 0
	s_waitcnt lgkmcnt(0)
	ds_read_b64 v[0:1], v0 offset:864
	v_mov_b32_e32 v7, 0x3ff00000
	s_waitcnt lgkmcnt(0)
	v_cmp_neq_f64_e32 vcc, 0, v[0:1]
	s_nop 1
	v_cndmask_b32_e32 v1, v7, v1, vcc
	s_nor_b64 s[12:13], vcc, s[0:1]
	v_cndmask_b32_e32 v0, 0, v0, vcc
	s_and_saveexec_b64 s[2:3], s[12:13]
	s_cbranch_execz .LBB26_97
; %bb.94:
	v_mbcnt_lo_u32_b32 v0, exec_lo, 0
	v_mbcnt_hi_u32_b32 v0, exec_hi, v0
	v_cmp_eq_u32_e32 vcc, 0, v0
	s_and_saveexec_b64 s[12:13], vcc
	s_cbranch_execz .LBB26_96
; %bb.95:
	v_mov_b32_e32 v0, 0
	v_mov_b32_e32 v1, s20
	global_atomic_smin v0, v1, s[10:11]
.LBB26_96:
	s_or_b64 exec, exec, s[12:13]
	v_mov_b64_e32 v[0:1], 1.0
.LBB26_97:
	s_or_b64 exec, exec, s[2:3]
	v_cmp_lt_u32_e32 vcc, 3, v13
	s_and_saveexec_b64 s[2:3], vcc
	s_cbranch_execz .LBB26_99
; %bb.98:
	ds_read_b64 v[8:9], v4 offset:24
	ds_read_b64 v[10:11], v16 offset:24
	s_waitcnt lgkmcnt(0)
	v_add_f64 v[8:9], v[8:9], -v[10:11]
	v_div_scale_f64 v[10:11], s[12:13], v[0:1], v[0:1], v[8:9]
	v_rcp_f64_e32 v[18:19], v[10:11]
	v_div_scale_f64 v[20:21], vcc, v[8:9], v[0:1], v[8:9]
	v_fma_f64 v[22:23], -v[10:11], v[18:19], 1.0
	v_fmac_f64_e32 v[18:19], v[18:19], v[22:23]
	v_fma_f64 v[22:23], -v[10:11], v[18:19], 1.0
	v_fmac_f64_e32 v[18:19], v[18:19], v[22:23]
	v_mul_f64 v[22:23], v[20:21], v[18:19]
	v_fma_f64 v[10:11], -v[10:11], v[22:23], v[20:21]
	v_div_fmas_f64 v[10:11], v[10:11], v[18:19], v[22:23]
	v_div_fixup_f64 v[0:1], v[10:11], v[0:1], v[8:9]
	ds_write_b64 v4, v[0:1] offset:24
	s_waitcnt lgkmcnt(0)
	ds_read_b64 v[8:9], v6 offset:24
	ds_read_b64 v[10:11], v15
	s_waitcnt lgkmcnt(0)
	v_fmac_f64_e32 v[10:11], v[0:1], v[8:9]
	ds_write_b64 v15, v[10:11]
.LBB26_99:
	s_or_b64 exec, exec, s[2:3]
	v_cmp_eq_u32_e32 vcc, 4, v13
	s_waitcnt lgkmcnt(0)
	s_and_saveexec_b64 s[2:3], vcc
	s_cbranch_execz .LBB26_101
; %bb.100:
	v_mov_b32_e32 v7, 0
	ds_read2_b64 v[8:11], v7 offset0:116 offset1:158
	s_mov_b32 s12, 0
	s_brev_b32 s13, 8
	v_mov_b32_e32 v17, 0x260
	s_waitcnt lgkmcnt(0)
	v_add_f64 v[0:1], v[8:9], -v[10:11]
	v_xor_b32_e32 v8, 0x80000000, v1
	v_cmp_gt_f64_e32 vcc, 0, v[0:1]
	s_nop 1
	v_cndmask_b32_e32 v1, v1, v8, vcc
	v_cmp_gt_f64_e32 vcc, s[12:13], v[0:1]
	s_and_b64 s[12:13], vcc, exec
	s_cselect_b32 s12, 0x100, 0
	v_ldexp_f64 v[0:1], v[0:1], s12
	v_rsq_f64_e32 v[8:9], v[0:1]
	s_cselect_b32 s12, 0xffffff80, 0
	v_cmp_class_f64_e32 vcc, v[0:1], v17
	v_mul_f64 v[10:11], v[0:1], v[8:9]
	v_mul_f64 v[8:9], v[8:9], 0.5
	v_fma_f64 v[18:19], -v[8:9], v[10:11], 0.5
	v_fmac_f64_e32 v[10:11], v[10:11], v[18:19]
	v_fmac_f64_e32 v[8:9], v[8:9], v[18:19]
	v_fma_f64 v[18:19], -v[10:11], v[10:11], v[0:1]
	v_fmac_f64_e32 v[10:11], v[18:19], v[8:9]
	v_fma_f64 v[18:19], -v[10:11], v[10:11], v[0:1]
	v_fmac_f64_e32 v[10:11], v[18:19], v[8:9]
	v_ldexp_f64 v[8:9], v[10:11], s12
	v_cndmask_b32_e32 v1, v9, v1, vcc
	v_cndmask_b32_e32 v0, v8, v0, vcc
	ds_write_b64 v7, v[0:1] offset:928
.LBB26_101:
	s_or_b64 exec, exec, s[2:3]
	v_mov_b32_e32 v0, 0
	s_waitcnt lgkmcnt(0)
	ds_read_b64 v[0:1], v0 offset:928
	v_mov_b32_e32 v7, 0x3ff00000
	s_waitcnt lgkmcnt(0)
	v_cmp_neq_f64_e32 vcc, 0, v[0:1]
	s_nop 1
	v_cndmask_b32_e32 v1, v7, v1, vcc
	s_nor_b64 s[12:13], vcc, s[0:1]
	v_cndmask_b32_e32 v0, 0, v0, vcc
	s_and_saveexec_b64 s[2:3], s[12:13]
	s_cbranch_execz .LBB26_105
; %bb.102:
	v_mbcnt_lo_u32_b32 v0, exec_lo, 0
	v_mbcnt_hi_u32_b32 v0, exec_hi, v0
	v_cmp_eq_u32_e32 vcc, 0, v0
	s_and_saveexec_b64 s[12:13], vcc
	s_cbranch_execz .LBB26_104
; %bb.103:
	v_mov_b32_e32 v0, 0
	v_mov_b32_e32 v1, s20
	global_atomic_smin v0, v1, s[10:11]
.LBB26_104:
	s_or_b64 exec, exec, s[12:13]
	v_mov_b64_e32 v[0:1], 1.0
.LBB26_105:
	s_or_b64 exec, exec, s[2:3]
	v_cmp_lt_u32_e32 vcc, 4, v13
	s_and_saveexec_b64 s[2:3], vcc
	s_cbranch_execz .LBB26_107
; %bb.106:
	ds_read_b64 v[8:9], v4 offset:32
	ds_read_b64 v[10:11], v16 offset:32
	s_waitcnt lgkmcnt(0)
	v_add_f64 v[8:9], v[8:9], -v[10:11]
	v_div_scale_f64 v[10:11], s[12:13], v[0:1], v[0:1], v[8:9]
	v_rcp_f64_e32 v[18:19], v[10:11]
	v_div_scale_f64 v[20:21], vcc, v[8:9], v[0:1], v[8:9]
	v_fma_f64 v[22:23], -v[10:11], v[18:19], 1.0
	v_fmac_f64_e32 v[18:19], v[18:19], v[22:23]
	v_fma_f64 v[22:23], -v[10:11], v[18:19], 1.0
	v_fmac_f64_e32 v[18:19], v[18:19], v[22:23]
	v_mul_f64 v[22:23], v[20:21], v[18:19]
	v_fma_f64 v[10:11], -v[10:11], v[22:23], v[20:21]
	v_div_fmas_f64 v[10:11], v[10:11], v[18:19], v[22:23]
	v_div_fixup_f64 v[0:1], v[10:11], v[0:1], v[8:9]
	ds_write_b64 v4, v[0:1] offset:32
	s_waitcnt lgkmcnt(0)
	ds_read_b64 v[8:9], v6 offset:32
	ds_read_b64 v[10:11], v15
	s_waitcnt lgkmcnt(0)
	v_fmac_f64_e32 v[10:11], v[0:1], v[8:9]
	ds_write_b64 v15, v[10:11]
.LBB26_107:
	s_or_b64 exec, exec, s[2:3]
	v_cmp_eq_u32_e32 vcc, 5, v13
	s_waitcnt lgkmcnt(0)
	s_and_saveexec_b64 s[2:3], vcc
	s_cbranch_execz .LBB26_109
; %bb.108:
	v_mov_b32_e32 v7, 0
	ds_read2_b64 v[8:11], v7 offset0:124 offset1:166
	s_mov_b32 s12, 0
	s_brev_b32 s13, 8
	v_mov_b32_e32 v17, 0x260
	s_waitcnt lgkmcnt(0)
	v_add_f64 v[0:1], v[8:9], -v[10:11]
	v_xor_b32_e32 v8, 0x80000000, v1
	v_cmp_gt_f64_e32 vcc, 0, v[0:1]
	s_nop 1
	v_cndmask_b32_e32 v1, v1, v8, vcc
	v_cmp_gt_f64_e32 vcc, s[12:13], v[0:1]
	s_and_b64 s[12:13], vcc, exec
	s_cselect_b32 s12, 0x100, 0
	v_ldexp_f64 v[0:1], v[0:1], s12
	v_rsq_f64_e32 v[8:9], v[0:1]
	s_cselect_b32 s12, 0xffffff80, 0
	v_cmp_class_f64_e32 vcc, v[0:1], v17
	v_mul_f64 v[10:11], v[0:1], v[8:9]
	v_mul_f64 v[8:9], v[8:9], 0.5
	v_fma_f64 v[18:19], -v[8:9], v[10:11], 0.5
	v_fmac_f64_e32 v[10:11], v[10:11], v[18:19]
	v_fmac_f64_e32 v[8:9], v[8:9], v[18:19]
	v_fma_f64 v[18:19], -v[10:11], v[10:11], v[0:1]
	v_fmac_f64_e32 v[10:11], v[18:19], v[8:9]
	v_fma_f64 v[18:19], -v[10:11], v[10:11], v[0:1]
	v_fmac_f64_e32 v[10:11], v[18:19], v[8:9]
	v_ldexp_f64 v[8:9], v[10:11], s12
	v_cndmask_b32_e32 v1, v9, v1, vcc
	v_cndmask_b32_e32 v0, v8, v0, vcc
	ds_write_b64 v7, v[0:1] offset:992
.LBB26_109:
	s_or_b64 exec, exec, s[2:3]
	v_mov_b32_e32 v0, 0
	s_waitcnt lgkmcnt(0)
	ds_read_b64 v[0:1], v0 offset:992
	v_mov_b32_e32 v7, 0x3ff00000
	s_waitcnt lgkmcnt(0)
	v_cmp_neq_f64_e32 vcc, 0, v[0:1]
	s_nop 1
	v_cndmask_b32_e32 v1, v7, v1, vcc
	s_nor_b64 s[2:3], vcc, s[0:1]
	v_cndmask_b32_e32 v0, 0, v0, vcc
	s_and_saveexec_b64 s[0:1], s[2:3]
	s_cbranch_execz .LBB26_113
; %bb.110:
	v_mbcnt_lo_u32_b32 v0, exec_lo, 0
	v_mbcnt_hi_u32_b32 v0, exec_hi, v0
	v_cmp_eq_u32_e32 vcc, 0, v0
	s_and_saveexec_b64 s[2:3], vcc
	s_cbranch_execz .LBB26_112
; %bb.111:
	v_mov_b32_e32 v0, 0
	v_mov_b32_e32 v1, s20
	global_atomic_smin v0, v1, s[10:11]
.LBB26_112:
	s_or_b64 exec, exec, s[2:3]
	v_mov_b64_e32 v[0:1], 1.0
.LBB26_113:
	s_or_b64 exec, exec, s[0:1]
	v_cmp_lt_u32_e32 vcc, 5, v13
	s_and_saveexec_b64 s[0:1], vcc
	s_cbranch_execz .LBB26_115
; %bb.114:
	ds_read_b64 v[8:9], v4 offset:40
	ds_read_b64 v[10:11], v16 offset:40
	s_waitcnt lgkmcnt(0)
	v_add_f64 v[8:9], v[8:9], -v[10:11]
	v_div_scale_f64 v[10:11], s[2:3], v[0:1], v[0:1], v[8:9]
	v_rcp_f64_e32 v[16:17], v[10:11]
	v_div_scale_f64 v[18:19], vcc, v[8:9], v[0:1], v[8:9]
	v_fma_f64 v[20:21], -v[10:11], v[16:17], 1.0
	v_fmac_f64_e32 v[16:17], v[16:17], v[20:21]
	v_fma_f64 v[20:21], -v[10:11], v[16:17], 1.0
	v_fmac_f64_e32 v[16:17], v[16:17], v[20:21]
	v_mul_f64 v[20:21], v[18:19], v[16:17]
	v_fma_f64 v[10:11], -v[10:11], v[20:21], v[18:19]
	v_div_fmas_f64 v[10:11], v[10:11], v[16:17], v[20:21]
	v_div_fixup_f64 v[0:1], v[10:11], v[0:1], v[8:9]
	ds_write_b64 v4, v[0:1] offset:40
	s_waitcnt lgkmcnt(0)
	ds_read_b64 v[6:7], v6 offset:40
	ds_read_b64 v[8:9], v15
	s_waitcnt lgkmcnt(0)
	v_fmac_f64_e32 v[8:9], v[0:1], v[6:7]
	ds_write_b64 v15, v[8:9]
.LBB26_115:
	s_or_b64 exec, exec, s[0:1]
	s_waitcnt lgkmcnt(0)
	ds_read_b64 v[0:1], v2
	s_andn2_b64 vcc, exec, s[4:5]
	s_cbranch_vccnz .LBB26_117
; %bb.116:
	v_mov_b32_e32 v14, v3
.LBB26_117:
	v_add_u32_e32 v2, s30, v14
	v_ashrrev_i32_e32 v3, 31, v2
	v_lshl_add_u64 v[2:3], v[2:3], 3, s[18:19]
	v_cmp_eq_u32_e32 vcc, 0, v5
	s_waitcnt lgkmcnt(0)
	global_store_dwordx2 v[2:3], v[0:1], off
	s_and_saveexec_b64 s[0:1], vcc
	s_cbranch_execz .LBB26_119
; %bb.118:
	s_add_u32 s2, s6, s8
	s_addc_u32 s3, s7, s9
	v_mov_b32_e32 v0, 0
	v_mov_b32_e32 v1, 1
	buffer_wbl2 sc1
	s_waitcnt vmcnt(0)
	global_store_dword v0, v1, s[2:3] sc1
.LBB26_119:
	s_or_b64 exec, exec, s[0:1]
.LBB26_120:
	s_endpgm
.LBB26_121:
	s_cbranch_execz .LBB26_120
; %bb.122:
	v_or_b32_e32 v0, v12, v13
	v_cmp_eq_u32_e32 vcc, 0, v0
	s_and_saveexec_b64 s[0:1], vcc
	s_cbranch_execz .LBB26_120
; %bb.123:
	v_mbcnt_lo_u32_b32 v0, exec_lo, 0
	v_mbcnt_hi_u32_b32 v0, exec_hi, v0
	v_cmp_eq_u32_e32 vcc, 0, v0
	s_and_saveexec_b64 s[0:1], vcc
	s_cbranch_execz .LBB26_125
; %bb.124:
	s_add_i32 s2, s16, s17
	v_mov_b32_e32 v0, 0
	v_mov_b32_e32 v1, s2
	global_atomic_smin v0, v1, s[10:11]
.LBB26_125:
	s_or_b64 exec, exec, s[0:1]
	s_add_u32 s0, s6, s8
	s_addc_u32 s1, s7, s9
	v_mov_b32_e32 v0, 0
	v_mov_b32_e32 v1, 1
	buffer_wbl2 sc1
	s_waitcnt vmcnt(0)
	global_store_dword v0, v1, s[0:1] sc1
	s_endpgm
	.section	.rodata,"a",@progbits
	.p2align	6, 0x0
	.amdhsa_kernel _ZN9rocsparseL26bsric0_2_8_unrolled_kernelILi36ELi32ELi6EdEEv20rocsparse_direction_iiPKiS3_PT2_S3_PiS3_S6_21rocsparse_index_base_
		.amdhsa_group_segment_fixed_size 1728
		.amdhsa_private_segment_fixed_size 0
		.amdhsa_kernarg_size 76
		.amdhsa_user_sgpr_count 2
		.amdhsa_user_sgpr_dispatch_ptr 0
		.amdhsa_user_sgpr_queue_ptr 0
		.amdhsa_user_sgpr_kernarg_segment_ptr 1
		.amdhsa_user_sgpr_dispatch_id 0
		.amdhsa_user_sgpr_kernarg_preload_length 0
		.amdhsa_user_sgpr_kernarg_preload_offset 0
		.amdhsa_user_sgpr_private_segment_size 0
		.amdhsa_uses_dynamic_stack 0
		.amdhsa_enable_private_segment 0
		.amdhsa_system_sgpr_workgroup_id_x 1
		.amdhsa_system_sgpr_workgroup_id_y 0
		.amdhsa_system_sgpr_workgroup_id_z 0
		.amdhsa_system_sgpr_workgroup_info 0
		.amdhsa_system_vgpr_workitem_id 1
		.amdhsa_next_free_vgpr 68
		.amdhsa_next_free_sgpr 40
		.amdhsa_accum_offset 68
		.amdhsa_reserve_vcc 1
		.amdhsa_float_round_mode_32 0
		.amdhsa_float_round_mode_16_64 0
		.amdhsa_float_denorm_mode_32 3
		.amdhsa_float_denorm_mode_16_64 3
		.amdhsa_dx10_clamp 1
		.amdhsa_ieee_mode 1
		.amdhsa_fp16_overflow 0
		.amdhsa_tg_split 0
		.amdhsa_exception_fp_ieee_invalid_op 0
		.amdhsa_exception_fp_denorm_src 0
		.amdhsa_exception_fp_ieee_div_zero 0
		.amdhsa_exception_fp_ieee_overflow 0
		.amdhsa_exception_fp_ieee_underflow 0
		.amdhsa_exception_fp_ieee_inexact 0
		.amdhsa_exception_int_div_zero 0
	.end_amdhsa_kernel
	.section	.text._ZN9rocsparseL26bsric0_2_8_unrolled_kernelILi36ELi32ELi6EdEEv20rocsparse_direction_iiPKiS3_PT2_S3_PiS3_S6_21rocsparse_index_base_,"axG",@progbits,_ZN9rocsparseL26bsric0_2_8_unrolled_kernelILi36ELi32ELi6EdEEv20rocsparse_direction_iiPKiS3_PT2_S3_PiS3_S6_21rocsparse_index_base_,comdat
.Lfunc_end26:
	.size	_ZN9rocsparseL26bsric0_2_8_unrolled_kernelILi36ELi32ELi6EdEEv20rocsparse_direction_iiPKiS3_PT2_S3_PiS3_S6_21rocsparse_index_base_, .Lfunc_end26-_ZN9rocsparseL26bsric0_2_8_unrolled_kernelILi36ELi32ELi6EdEEv20rocsparse_direction_iiPKiS3_PT2_S3_PiS3_S6_21rocsparse_index_base_
                                        ; -- End function
	.set _ZN9rocsparseL26bsric0_2_8_unrolled_kernelILi36ELi32ELi6EdEEv20rocsparse_direction_iiPKiS3_PT2_S3_PiS3_S6_21rocsparse_index_base_.num_vgpr, 68
	.set _ZN9rocsparseL26bsric0_2_8_unrolled_kernelILi36ELi32ELi6EdEEv20rocsparse_direction_iiPKiS3_PT2_S3_PiS3_S6_21rocsparse_index_base_.num_agpr, 0
	.set _ZN9rocsparseL26bsric0_2_8_unrolled_kernelILi36ELi32ELi6EdEEv20rocsparse_direction_iiPKiS3_PT2_S3_PiS3_S6_21rocsparse_index_base_.numbered_sgpr, 40
	.set _ZN9rocsparseL26bsric0_2_8_unrolled_kernelILi36ELi32ELi6EdEEv20rocsparse_direction_iiPKiS3_PT2_S3_PiS3_S6_21rocsparse_index_base_.num_named_barrier, 0
	.set _ZN9rocsparseL26bsric0_2_8_unrolled_kernelILi36ELi32ELi6EdEEv20rocsparse_direction_iiPKiS3_PT2_S3_PiS3_S6_21rocsparse_index_base_.private_seg_size, 0
	.set _ZN9rocsparseL26bsric0_2_8_unrolled_kernelILi36ELi32ELi6EdEEv20rocsparse_direction_iiPKiS3_PT2_S3_PiS3_S6_21rocsparse_index_base_.uses_vcc, 1
	.set _ZN9rocsparseL26bsric0_2_8_unrolled_kernelILi36ELi32ELi6EdEEv20rocsparse_direction_iiPKiS3_PT2_S3_PiS3_S6_21rocsparse_index_base_.uses_flat_scratch, 0
	.set _ZN9rocsparseL26bsric0_2_8_unrolled_kernelILi36ELi32ELi6EdEEv20rocsparse_direction_iiPKiS3_PT2_S3_PiS3_S6_21rocsparse_index_base_.has_dyn_sized_stack, 0
	.set _ZN9rocsparseL26bsric0_2_8_unrolled_kernelILi36ELi32ELi6EdEEv20rocsparse_direction_iiPKiS3_PT2_S3_PiS3_S6_21rocsparse_index_base_.has_recursion, 0
	.set _ZN9rocsparseL26bsric0_2_8_unrolled_kernelILi36ELi32ELi6EdEEv20rocsparse_direction_iiPKiS3_PT2_S3_PiS3_S6_21rocsparse_index_base_.has_indirect_call, 0
	.section	.AMDGPU.csdata,"",@progbits
; Kernel info:
; codeLenInByte = 7736
; TotalNumSgprs: 46
; NumVgprs: 68
; NumAgprs: 0
; TotalNumVgprs: 68
; ScratchSize: 0
; MemoryBound: 1
; FloatMode: 240
; IeeeMode: 1
; LDSByteSize: 1728 bytes/workgroup (compile time only)
; SGPRBlocks: 5
; VGPRBlocks: 8
; NumSGPRsForWavesPerEU: 46
; NumVGPRsForWavesPerEU: 68
; AccumOffset: 68
; Occupancy: 7
; WaveLimiterHint : 1
; COMPUTE_PGM_RSRC2:SCRATCH_EN: 0
; COMPUTE_PGM_RSRC2:USER_SGPR: 2
; COMPUTE_PGM_RSRC2:TRAP_HANDLER: 0
; COMPUTE_PGM_RSRC2:TGID_X_EN: 1
; COMPUTE_PGM_RSRC2:TGID_Y_EN: 0
; COMPUTE_PGM_RSRC2:TGID_Z_EN: 0
; COMPUTE_PGM_RSRC2:TIDIG_COMP_CNT: 1
; COMPUTE_PGM_RSRC3_GFX90A:ACCUM_OFFSET: 16
; COMPUTE_PGM_RSRC3_GFX90A:TG_SPLIT: 0
	.section	.text._ZN9rocsparseL26bsric0_2_8_unrolled_kernelILi49ELi32ELi7EdEEv20rocsparse_direction_iiPKiS3_PT2_S3_PiS3_S6_21rocsparse_index_base_,"axG",@progbits,_ZN9rocsparseL26bsric0_2_8_unrolled_kernelILi49ELi32ELi7EdEEv20rocsparse_direction_iiPKiS3_PT2_S3_PiS3_S6_21rocsparse_index_base_,comdat
	.globl	_ZN9rocsparseL26bsric0_2_8_unrolled_kernelILi49ELi32ELi7EdEEv20rocsparse_direction_iiPKiS3_PT2_S3_PiS3_S6_21rocsparse_index_base_ ; -- Begin function _ZN9rocsparseL26bsric0_2_8_unrolled_kernelILi49ELi32ELi7EdEEv20rocsparse_direction_iiPKiS3_PT2_S3_PiS3_S6_21rocsparse_index_base_
	.p2align	8
	.type	_ZN9rocsparseL26bsric0_2_8_unrolled_kernelILi49ELi32ELi7EdEEv20rocsparse_direction_iiPKiS3_PT2_S3_PiS3_S6_21rocsparse_index_base_,@function
_ZN9rocsparseL26bsric0_2_8_unrolled_kernelILi49ELi32ELi7EdEEv20rocsparse_direction_iiPKiS3_PT2_S3_PiS3_S6_21rocsparse_index_base_: ; @_ZN9rocsparseL26bsric0_2_8_unrolled_kernelILi49ELi32ELi7EdEEv20rocsparse_direction_iiPKiS3_PT2_S3_PiS3_S6_21rocsparse_index_base_
; %bb.0:
	s_load_dwordx8 s[4:11], s[0:1], 0x28
	s_mov_b32 s3, 0
	s_lshl_b64 s[2:3], s[2:3], 2
	v_and_b32_e32 v12, 0x3ff, v0
	v_bfe_u32 v13, v0, 10, 10
	s_waitcnt lgkmcnt(0)
	s_add_u32 s2, s8, s2
	s_addc_u32 s3, s9, s3
	s_load_dword s16, s[2:3], 0x0
	s_waitcnt lgkmcnt(0)
	s_ashr_i32 s17, s16, 31
	s_lshl_b64 s[8:9], s[16:17], 2
	s_add_u32 s2, s4, s8
	s_addc_u32 s3, s5, s9
	s_load_dword s30, s[2:3], 0x0
	s_load_dword s17, s[0:1], 0x48
	s_waitcnt lgkmcnt(0)
	s_cmp_lg_u32 s30, -1
	s_cbranch_scc0 .LBB27_133
; %bb.1:
	s_load_dwordx4 s[12:15], s[0:1], 0x10
	s_load_dwordx2 s[18:19], s[0:1], 0x20
	v_mad_u32_u24 v14, v13, 7, v12
	v_mul_u32_u24_e32 v17, 7, v13
	s_waitcnt lgkmcnt(0)
	s_add_u32 s2, s12, s8
	s_addc_u32 s3, s13, s9
	s_load_dword s26, s[2:3], 0x0
	s_waitcnt lgkmcnt(0)
	s_sub_i32 s31, s26, s17
	v_add_u32_e32 v0, s31, v14
	v_cmp_ge_i32_e32 vcc, s30, v0
	s_and_saveexec_b64 s[20:21], vcc
	s_cbranch_execz .LBB27_14
; %bb.2:
	v_add_u32_e32 v1, s26, v12
	v_add_u32_e32 v2, v1, v17
	v_subrev_u32_e32 v2, s17, v2
	v_add_u32_e32 v2, 49, v2
	s_add_i32 s2, s30, 1
	v_max_i32_e32 v2, s2, v2
	v_add_u32_e32 v2, s17, v2
	v_sub_u32_e32 v1, v2, v1
	v_subrev_u32_e32 v1, 49, v1
	v_cmp_ne_u32_e32 vcc, v1, v17
	s_mov_b64 s[22:23], -1
	s_nop 0
	v_addc_co_u32_e64 v2, s[2:3], 0, v17, vcc
	v_sub_u32_e32 v1, v1, v2
	s_mov_b32 s2, 0x5397829d
	v_mul_hi_u32 v1, v1, s2
	v_lshrrev_b32_e32 v1, 4, v1
	v_addc_co_u32_e32 v4, vcc, 0, v1, vcc
	v_cmp_ne_u32_e32 vcc, 0, v4
	s_and_saveexec_b64 s[2:3], vcc
	s_cbranch_execz .LBB27_11
; %bb.3:
	v_add_u32_e32 v2, -1, v4
	v_add_u32_e32 v1, 49, v0
	v_lshrrev_b32_e32 v2, 1, v2
	v_add_u32_e32 v5, 1, v2
	v_cmp_lt_u32_e32 vcc, 14, v4
	v_mov_b64_e32 v[2:3], v[0:1]
	s_and_saveexec_b64 s[22:23], vcc
	s_cbranch_execz .LBB27_7
; %bb.4:
	v_and_b32_e32 v6, -8, v5
	s_mov_b64 s[24:25], 0
	v_mov_b64_e32 v[2:3], v[0:1]
.LBB27_5:                               ; =>This Inner Loop Header: Depth=1
	v_ashrrev_i32_e32 v11, 31, v2
	v_mov_b32_e32 v10, v2
	v_ashrrev_i32_e32 v9, 31, v3
	v_mov_b32_e32 v8, v3
	v_add_u32_e32 v18, 0x62, v2
	v_add_u32_e32 v20, 0x62, v3
	v_lshl_add_u64 v[10:11], v[10:11], 2, s[14:15]
	v_add_u32_e32 v22, 0xc4, v2
	v_add_u32_e32 v24, 0xc4, v3
	;; [unrolled: 1-line block ×12, first 2 shown]
	v_lshl_add_u64 v[8:9], v[8:9], 2, s[14:15]
	v_ashrrev_i32_e32 v21, 31, v20
	v_ashrrev_i32_e32 v19, 31, v18
	global_load_dword v1, v[10:11], off
	global_load_dword v7, v[8:9], off
	v_ashrrev_i32_e32 v25, 31, v24
	v_ashrrev_i32_e32 v23, 31, v22
	;; [unrolled: 1-line block ×12, first 2 shown]
	v_lshl_add_u64 v[8:9], v[18:19], 2, s[14:15]
	v_lshl_add_u64 v[10:11], v[20:21], 2, s[14:15]
	;; [unrolled: 1-line block ×13, first 2 shown]
	global_load_dword v15, v[10:11], off
	v_lshl_add_u64 v[10:11], v[44:45], 2, s[14:15]
	global_load_dword v16, v[8:9], off
	global_load_dword v19, v[48:49], off
	;; [unrolled: 1-line block ×13, first 2 shown]
	v_subrev_u32_e32 v9, s31, v2
	v_add_u32_e32 v6, -8, v6
	v_subrev_u32_e32 v8, s31, v3
	v_lshlrev_b32_e32 v9, 2, v9
	v_subrev_u32_e32 v11, s31, v18
	v_cmp_eq_u32_e32 vcc, 0, v6
	v_add_u32_e32 v3, 0x310, v3
	v_add_u32_e32 v2, 0x310, v2
	v_lshlrev_b32_e32 v8, 2, v8
	v_subrev_u32_e32 v10, s31, v20
	v_subrev_u32_e32 v18, s31, v24
	;; [unrolled: 1-line block ×13, first 2 shown]
	v_lshlrev_b32_e32 v11, 2, v11
	s_or_b64 s[24:25], vcc, s[24:25]
	v_lshlrev_b32_e32 v10, 2, v10
	v_lshlrev_b32_e32 v20, 2, v20
	;; [unrolled: 1-line block ×13, first 2 shown]
	s_waitcnt vmcnt(15)
	v_subrev_u32_e32 v1, s17, v1
	s_waitcnt vmcnt(14)
	v_subrev_u32_e32 v7, s17, v7
	ds_write_b32 v9, v1 offset:2048
	ds_write_b32 v8, v7 offset:2048
	s_waitcnt vmcnt(12)
	v_subrev_u32_e32 v7, s17, v16
	s_waitcnt vmcnt(11)
	v_subrev_u32_e32 v8, s17, v19
	;; [unrolled: 2-line block ×8, first 2 shown]
	v_subrev_u32_e32 v1, s17, v15
	v_subrev_u32_e32 v15, s17, v23
	;; [unrolled: 1-line block ×3, first 2 shown]
	s_waitcnt vmcnt(2)
	v_subrev_u32_e32 v29, s17, v37
	s_waitcnt vmcnt(1)
	v_subrev_u32_e32 v31, s17, v39
	;; [unrolled: 2-line block ×3, first 2 shown]
	ds_write_b32 v11, v7 offset:2048
	ds_write_b32 v10, v1 offset:2048
	ds_write_b32 v20, v9 offset:2048
	ds_write_b32 v18, v8 offset:2048
	ds_write_b32 v24, v16 offset:2048
	ds_write_b32 v22, v15 offset:2048
	ds_write_b32 v28, v21 offset:2048
	ds_write_b32 v26, v19 offset:2048
	ds_write_b32 v32, v25 offset:2048
	ds_write_b32 v30, v23 offset:2048
	ds_write_b32 v36, v29 offset:2048
	ds_write_b32 v34, v27 offset:2048
	ds_write_b32 v40, v33 offset:2048
	ds_write_b32 v38, v31 offset:2048
	s_andn2_b64 exec, exec, s[24:25]
	s_cbranch_execnz .LBB27_5
; %bb.6:
	s_or_b64 exec, exec, s[24:25]
.LBB27_7:
	s_or_b64 exec, exec, s[22:23]
	v_and_b32_e32 v1, 7, v5
	v_cmp_ne_u32_e32 vcc, 0, v1
	s_and_saveexec_b64 s[22:23], vcc
	s_cbranch_execz .LBB27_10
; %bb.8:
	v_sub_u32_e32 v1, 0, v1
	s_mov_b64 s[24:25], 0
.LBB27_9:                               ; =>This Inner Loop Header: Depth=1
	v_ashrrev_i32_e32 v7, 31, v3
	v_mov_b32_e32 v6, v3
	v_ashrrev_i32_e32 v9, 31, v2
	v_mov_b32_e32 v8, v2
	v_lshl_add_u64 v[6:7], v[6:7], 2, s[14:15]
	v_lshl_add_u64 v[8:9], v[8:9], 2, s[14:15]
	global_load_dword v5, v[6:7], off
	global_load_dword v10, v[8:9], off
	v_subrev_u32_e32 v7, s31, v2
	v_add_co_u32_e32 v1, vcc, 1, v1
	v_subrev_u32_e32 v6, s31, v3
	v_add_u32_e32 v3, 0x62, v3
	v_add_u32_e32 v2, 0x62, v2
	v_lshlrev_b32_e32 v7, 2, v7
	s_or_b64 s[24:25], vcc, s[24:25]
	v_lshlrev_b32_e32 v6, 2, v6
	s_waitcnt vmcnt(1)
	v_subrev_u32_e32 v5, s17, v5
	s_waitcnt vmcnt(0)
	v_subrev_u32_e32 v8, s17, v10
	ds_write_b32 v7, v8 offset:2048
	ds_write_b32 v6, v5 offset:2048
	s_andn2_b64 exec, exec, s[24:25]
	s_cbranch_execnz .LBB27_9
.LBB27_10:
	s_or_b64 exec, exec, s[22:23]
	v_add_u32_e32 v2, 1, v4
	v_and_b32_e32 v3, 0x1ffffffe, v2
	v_mad_u64_u32 v[0:1], s[22:23], v3, 49, v[0:1]
	v_cmp_ne_u32_e32 vcc, v2, v3
	s_orn2_b64 s[22:23], vcc, exec
.LBB27_11:
	s_or_b64 exec, exec, s[2:3]
	s_and_b64 exec, exec, s[22:23]
	s_cbranch_execz .LBB27_14
; %bb.12:
	v_add_u32_e32 v1, s17, v0
	v_subrev_u32_e32 v1, s26, v1
	v_mov_b32_e32 v2, 0x800
	v_lshl_add_u32 v4, v1, 2, v2
	v_ashrrev_i32_e32 v1, 31, v0
	v_lshl_add_u64 v[2:3], v[0:1], 2, s[14:15]
	s_mov_b64 s[2:3], 0
	s_mov_b64 s[22:23], 0xc4
.LBB27_13:                              ; =>This Inner Loop Header: Depth=1
	global_load_dword v1, v[2:3], off
	v_add_u32_e32 v0, 49, v0
	v_cmp_lt_i32_e32 vcc, s30, v0
	v_lshl_add_u64 v[2:3], v[2:3], 0, s[22:23]
	s_or_b64 s[2:3], vcc, s[2:3]
	s_waitcnt vmcnt(0)
	v_subrev_u32_e32 v1, s17, v1
	ds_write_b32 v4, v1
	v_add_u32_e32 v4, 0xc4, v4
	s_andn2_b64 exec, exec, s[2:3]
	s_cbranch_execnz .LBB27_13
.LBB27_14:
	s_or_b64 exec, exec, s[20:21]
	s_load_dword s33, s[0:1], 0x0
	v_mov_b32_e32 v0, 0x540
	v_lshl_add_u32 v16, v13, 6, v0
	v_mov_b32_e32 v0, 0
	v_lshl_add_u32 v15, v12, 3, v16
	v_mov_b32_e32 v1, v0
	s_cmp_ge_i32 s31, s30
	v_mad_u32_u24 v3, v12, 7, v13
	ds_write_b64 v15, v[0:1]
	s_waitcnt lgkmcnt(0)
	s_cbranch_scc1 .LBB27_69
; %bb.15:
	s_cmp_lg_u32 s33, 0
	v_lshlrev_b32_e32 v4, 6, v13
	v_lshlrev_b32_e32 v5, 3, v12
	s_cselect_b64 s[2:3], -1, 0
	s_cmp_eq_u32 s33, 0
	v_add_u32_e32 v18, 0x380, v4
	v_add_u32_e32 v20, v4, v5
	v_add_u32_e32 v21, 0x1c0, v4
	v_mov_b32_e32 v4, 0x380
	v_mad_u32_u24 v2, v12, 7, v13
	v_lshl_add_u32 v23, v12, 6, v4
	v_or_b32_e32 v4, v12, v13
	s_cselect_b64 vcc, -1, 0
	v_mul_u32_u24_e32 v1, 7, v12
	v_add_u32_e32 v19, v18, v5
	v_add_u32_e32 v22, v21, v5
	v_cmp_ne_u32_e64 s[0:1], 0, v4
	v_cndmask_b32_e32 v2, v2, v14, vcc
	v_mov_b32_e32 v24, 0x3ff00000
	s_mov_b32 s20, s31
	s_branch .LBB27_18
.LBB27_16:                              ;   in Loop: Header=BB27_18 Depth=1
	s_or_b64 exec, exec, s[24:25]
	v_mov_b64_e32 v[8:9], 1.0
.LBB27_17:                              ;   in Loop: Header=BB27_18 Depth=1
	s_or_b64 exec, exec, s[22:23]
	ds_read_b128 v[26:29], v18
	ds_read_b64 v[10:11], v21 offset:48
	ds_read_b128 v[30:33], v0 offset:384
	ds_read_b128 v[34:37], v0 offset:400
	;; [unrolled: 1-line block ×5, first 2 shown]
	s_waitcnt lgkmcnt(4)
	v_fmac_f64_e32 v[10:11], v[30:31], v[26:27]
	v_fmac_f64_e32 v[10:11], v[32:33], v[28:29]
	s_waitcnt lgkmcnt(2)
	v_fmac_f64_e32 v[10:11], v[34:35], v[38:39]
	v_fmac_f64_e32 v[10:11], v[36:37], v[40:41]
	;; [unrolled: 3-line block ×3, first 2 shown]
	v_add_f64 v[6:7], v[6:7], -v[10:11]
	v_div_scale_f64 v[10:11], s[22:23], v[8:9], v[8:9], v[6:7]
	v_rcp_f64_e32 v[26:27], v[10:11]
	s_add_i32 s20, s20, 1
	s_cmp_ge_i32 s20, s30
	s_cselect_b64 s[22:23], -1, 0
	v_fma_f64 v[28:29], -v[10:11], v[26:27], 1.0
	v_fmac_f64_e32 v[26:27], v[26:27], v[28:29]
	v_fma_f64 v[28:29], -v[10:11], v[26:27], 1.0
	v_fmac_f64_e32 v[26:27], v[26:27], v[28:29]
	v_div_scale_f64 v[28:29], vcc, v[6:7], v[8:9], v[6:7]
	v_mul_f64 v[30:31], v[28:29], v[26:27]
	v_fma_f64 v[10:11], -v[10:11], v[30:31], v[28:29]
	s_nop 1
	v_div_fmas_f64 v[10:11], v[10:11], v[26:27], v[30:31]
	v_div_fixup_f64 v[6:7], v[10:11], v[8:9], v[6:7]
	ds_write_b64 v18, v[6:7] offset:48
	s_waitcnt lgkmcnt(0)
	ds_read_b64 v[8:9], v23 offset:48
	ds_read_b64 v[10:11], v15
	s_waitcnt lgkmcnt(0)
	v_fmac_f64_e32 v[10:11], v[6:7], v[8:9]
	ds_write_b64 v15, v[10:11]
	s_waitcnt lgkmcnt(0)
	ds_read_b64 v[6:7], v19
	s_waitcnt lgkmcnt(0)
	global_store_dwordx2 v[4:5], v[6:7], off
	buffer_wbl2 sc1
	s_waitcnt vmcnt(0)
	buffer_inv sc1
	s_and_b64 vcc, exec, s[22:23]
	s_cbranch_vccnz .LBB27_69
.LBB27_18:                              ; =>This Loop Header: Depth=1
                                        ;     Child Loop BB27_21 Depth 2
                                        ;     Child Loop BB27_32 Depth 2
	;; [unrolled: 1-line block ×3, first 2 shown]
	s_ashr_i32 s21, s20, 31
	s_lshl_b64 s[22:23], s[20:21], 2
	s_add_u32 s22, s14, s22
	s_addc_u32 s23, s15, s23
	s_load_dword s21, s[22:23], 0x0
	s_waitcnt lgkmcnt(0)
	s_sub_i32 s24, s21, s17
	s_ashr_i32 s25, s24, 31
	s_lshl_b64 s[22:23], s[24:25], 2
	s_add_u32 s26, s4, s22
	s_addc_u32 s27, s5, s23
	s_load_dword s25, s[26:27], 0x0
	s_waitcnt lgkmcnt(0)
	s_cmp_eq_u32 s25, -1
	s_cbranch_scc1 .LBB27_68
; %bb.19:                               ;   in Loop: Header=BB27_18 Depth=1
	v_mad_u64_u32 v[4:5], s[26:27], s20, 49, v[2:3]
	v_ashrrev_i32_e32 v5, 31, v4
	v_lshl_add_u64 v[4:5], v[4:5], 3, s[18:19]
	global_load_dwordx2 v[6:7], v[4:5], off
	s_add_u32 s26, s12, s22
	s_addc_u32 s27, s13, s23
	s_load_dword s26, s[26:27], 0x0
	ds_read_b32 v8, v0 offset:2048
	s_mov_b32 s27, 0
	s_waitcnt lgkmcnt(0)
	s_sub_i32 s26, s26, s17
	s_cmp_le_i32 s26, s25
	v_cmp_ge_i32_e32 vcc, s24, v8
	s_cselect_b64 s[28:29], -1, 0
	s_and_b64 s[28:29], s[28:29], vcc
	s_andn2_b64 vcc, exec, s[28:29]
	s_waitcnt vmcnt(0)
	ds_write_b64 v19, v[6:7]
	s_cbranch_vccnz .LBB27_31
; %bb.20:                               ;   in Loop: Header=BB27_18 Depth=1
	s_mov_b32 s34, 0
	s_mov_b32 s35, 0
.LBB27_21:                              ;   Parent Loop BB27_18 Depth=1
                                        ; =>  This Inner Loop Header: Depth=2
	s_ashr_i32 s27, s26, 31
	s_lshl_b64 s[28:29], s[26:27], 2
	s_add_u32 s28, s14, s28
	s_addc_u32 s29, s15, s29
	s_load_dword s27, s[28:29], 0x0
	s_lshl_b32 s28, s35, 2
	v_mov_b32_e32 v6, s28
	ds_read_b32 v6, v6 offset:2048
	s_mov_b64 s[28:29], -1
	s_waitcnt lgkmcnt(0)
	s_sub_i32 s39, s27, s17
                                        ; implicit-def: $sgpr27
                                        ; implicit-def: $sgpr38
                                        ; implicit-def: $sgpr37
	v_cmp_ge_i32_e32 vcc, s39, v6
	v_readfirstlane_b32 s36, v6
	s_cbranch_vccz .LBB27_27
; %bb.22:                               ;   in Loop: Header=BB27_21 Depth=2
	s_cmp_le_i32 s39, s36
                                        ; implicit-def: $sgpr27
                                        ; implicit-def: $sgpr38
                                        ; implicit-def: $sgpr37
	s_cbranch_scc0 .LBB27_24
; %bb.23:                               ;   in Loop: Header=BB27_21 Depth=2
	s_add_i32 s27, s35, s31
	s_mul_i32 s27, s27, 49
	s_lshl_b32 s28, s34, 2
	v_mov_b32_e32 v6, s28
	v_mov_b32_e32 v7, s27
	s_mul_i32 s27, s26, 49
	v_mov_b32_e32 v8, s27
	v_add_u32_e32 v6, 0x400, v6
	ds_write2_b32 v6, v8, v7 offset0:192 offset1:224
	s_add_i32 s37, s35, 1
	s_add_i32 s38, s26, 1
	;; [unrolled: 1-line block ×3, first 2 shown]
	s_mov_b64 s[28:29], 0
.LBB27_24:                              ;   in Loop: Header=BB27_21 Depth=2
	s_andn2_b64 vcc, exec, s[28:29]
	s_cbranch_vccnz .LBB27_26
; %bb.25:                               ;   in Loop: Header=BB27_21 Depth=2
	s_add_i32 s37, s35, 1
	s_mov_b32 s27, s34
	s_mov_b32 s38, s26
.LBB27_26:                              ;   in Loop: Header=BB27_21 Depth=2
	s_mov_b64 s[28:29], 0
.LBB27_27:                              ;   in Loop: Header=BB27_21 Depth=2
	s_andn2_b64 vcc, exec, s[28:29]
	s_cbranch_vccnz .LBB27_29
; %bb.28:                               ;   in Loop: Header=BB27_21 Depth=2
	s_add_i32 s38, s26, 1
	s_mov_b32 s37, s35
	s_mov_b32 s27, s34
.LBB27_29:                              ;   in Loop: Header=BB27_21 Depth=2
	s_cmp_le_i32 s38, s25
	s_cselect_b64 s[28:29], -1, 0
	s_cmp_le_i32 s36, s24
	s_cselect_b64 s[34:35], -1, 0
	s_and_b64 s[28:29], s[28:29], s[34:35]
	s_and_b64 vcc, exec, s[28:29]
	s_cbranch_vccz .LBB27_31
; %bb.30:                               ;   in Loop: Header=BB27_21 Depth=2
	s_mov_b32 s34, s27
	s_mov_b32 s26, s38
	;; [unrolled: 1-line block ×3, first 2 shown]
	s_branch .LBB27_21
.LBB27_31:                              ;   in Loop: Header=BB27_18 Depth=1
	s_add_u32 s22, s6, s22
	s_addc_u32 s23, s7, s23
	s_waitcnt lgkmcnt(0)
.LBB27_32:                              ;   Parent Loop BB27_18 Depth=1
                                        ; =>  This Inner Loop Header: Depth=2
	global_load_dword v6, v0, s[22:23] sc1
	s_waitcnt vmcnt(0)
	v_cmp_eq_u32_e32 vcc, 0, v6
	s_cbranch_vccnz .LBB27_32
; %bb.33:                               ;   in Loop: Header=BB27_18 Depth=1
	v_mad_u64_u32 v[6:7], s[22:23], s25, 49, v[2:3]
	v_ashrrev_i32_e32 v7, 31, v6
	v_lshl_add_u64 v[6:7], v[6:7], 3, s[18:19]
	buffer_inv sc1
	global_load_dwordx2 v[6:7], v[6:7], off
	s_cmp_lt_i32 s27, 2
	v_mov_b64_e32 v[10:11], 0
	s_waitcnt vmcnt(0)
	ds_write_b64 v20, v[6:7]
	s_waitcnt lgkmcnt(0)
	s_cbranch_scc1 .LBB27_41
; %bb.34:                               ;   in Loop: Header=BB27_18 Depth=1
	s_add_i32 s24, s27, -1
	v_mov_b64_e32 v[6:7], 0
	s_movk_i32 s25, 0x700
.LBB27_35:                              ;   Parent Loop BB27_18 Depth=1
                                        ; =>  This Inner Loop Header: Depth=2
	s_waitcnt lgkmcnt(0)
	v_mov_b32_e32 v8, s25
	ds_read2_b32 v[8:9], v8 offset1:32
	s_mov_b64 s[22:23], -1
	s_and_b64 vcc, exec, s[2:3]
                                        ; implicit-def: $vgpr10_vgpr11
	s_cbranch_vccz .LBB27_38
; %bb.36:                               ;   in Loop: Header=BB27_35 Depth=2
	s_waitcnt lgkmcnt(0)
	v_add_u32_e32 v10, v8, v12
	v_add_u32_e32 v28, v9, v13
	v_ashrrev_i32_e32 v11, 31, v10
	v_add_u32_e32 v32, 7, v10
	v_add_u32_e32 v34, 7, v28
	v_lshl_add_u64 v[26:27], v[10:11], 3, s[18:19]
	v_ashrrev_i32_e32 v29, 31, v28
	v_ashrrev_i32_e32 v33, 31, v32
	;; [unrolled: 1-line block ×3, first 2 shown]
	v_lshl_add_u64 v[30:31], v[28:29], 3, s[18:19]
	v_lshl_add_u64 v[32:33], v[32:33], 3, s[18:19]
	;; [unrolled: 1-line block ×3, first 2 shown]
	global_load_dwordx2 v[36:37], v[26:27], off
	global_load_dwordx2 v[38:39], v[30:31], off
	;; [unrolled: 1-line block ×4, first 2 shown]
	v_add_u32_e32 v26, 14, v10
	v_ashrrev_i32_e32 v27, 31, v26
	v_add_u32_e32 v30, 14, v28
	v_add_u32_e32 v32, 21, v10
	;; [unrolled: 1-line block ×3, first 2 shown]
	v_lshl_add_u64 v[26:27], v[26:27], 3, s[18:19]
	v_ashrrev_i32_e32 v31, 31, v30
	v_ashrrev_i32_e32 v33, 31, v32
	;; [unrolled: 1-line block ×3, first 2 shown]
	v_lshl_add_u64 v[30:31], v[30:31], 3, s[18:19]
	v_lshl_add_u64 v[32:33], v[32:33], 3, s[18:19]
	;; [unrolled: 1-line block ×3, first 2 shown]
	global_load_dwordx2 v[44:45], v[26:27], off
	global_load_dwordx2 v[46:47], v[30:31], off
	;; [unrolled: 1-line block ×4, first 2 shown]
	v_add_u32_e32 v26, 28, v10
	v_ashrrev_i32_e32 v27, 31, v26
	v_add_u32_e32 v30, 28, v28
	v_add_u32_e32 v32, 35, v10
	;; [unrolled: 1-line block ×3, first 2 shown]
	v_lshl_add_u64 v[26:27], v[26:27], 3, s[18:19]
	v_ashrrev_i32_e32 v31, 31, v30
	v_ashrrev_i32_e32 v33, 31, v32
	;; [unrolled: 1-line block ×3, first 2 shown]
	v_add_u32_e32 v10, 42, v10
	v_lshl_add_u64 v[30:31], v[30:31], 3, s[18:19]
	v_lshl_add_u64 v[32:33], v[32:33], 3, s[18:19]
	;; [unrolled: 1-line block ×3, first 2 shown]
	global_load_dwordx2 v[52:53], v[26:27], off
	global_load_dwordx2 v[54:55], v[30:31], off
	;; [unrolled: 1-line block ×4, first 2 shown]
	v_ashrrev_i32_e32 v11, 31, v10
	v_add_u32_e32 v26, 42, v28
	v_lshl_add_u64 v[10:11], v[10:11], 3, s[18:19]
	v_ashrrev_i32_e32 v27, 31, v26
	v_lshl_add_u64 v[26:27], v[26:27], 3, s[18:19]
	global_load_dwordx2 v[28:29], v[10:11], off
	global_load_dwordx2 v[30:31], v[26:27], off
	s_waitcnt vmcnt(12)
	v_fma_f64 v[10:11], v[36:37], v[38:39], v[6:7]
	s_waitcnt vmcnt(10)
	v_fmac_f64_e32 v[10:11], v[40:41], v[42:43]
	s_waitcnt vmcnt(8)
	v_fmac_f64_e32 v[10:11], v[44:45], v[46:47]
	;; [unrolled: 2-line block ×6, first 2 shown]
	s_cbranch_execz .LBB27_39
.LBB27_37:                              ;   in Loop: Header=BB27_35 Depth=2
	s_add_i32 s24, s24, -1
	s_add_i32 s25, s25, 4
	s_cmp_eq_u32 s24, 0
	s_cbranch_scc0 .LBB27_40
	s_branch .LBB27_41
.LBB27_38:                              ;   in Loop: Header=BB27_35 Depth=2
	s_andn2_b64 vcc, exec, s[22:23]
	s_cbranch_vccnz .LBB27_37
.LBB27_39:                              ;   in Loop: Header=BB27_35 Depth=2
	s_waitcnt lgkmcnt(0)
	v_add_u32_e32 v10, v8, v1
	v_add_u32_e32 v8, v9, v17
	v_ashrrev_i32_e32 v9, 31, v8
	v_ashrrev_i32_e32 v11, 31, v10
	v_lshl_add_u64 v[48:49], v[8:9], 3, s[18:19]
	v_lshl_add_u64 v[46:47], v[10:11], 3, s[18:19]
	global_load_dwordx4 v[8:11], v[48:49], off
	global_load_dwordx4 v[26:29], v[46:47], off
	global_load_dwordx4 v[30:33], v[46:47], off offset:16
	global_load_dwordx4 v[34:37], v[48:49], off offset:16
	;; [unrolled: 1-line block ×4, first 2 shown]
	global_load_dwordx2 v[50:51], v[46:47], off offset:48
	global_load_dwordx2 v[52:53], v[48:49], off offset:48
	s_waitcnt vmcnt(6)
	v_fmac_f64_e32 v[6:7], v[26:27], v[8:9]
	v_fmac_f64_e32 v[6:7], v[28:29], v[10:11]
	s_waitcnt vmcnt(4)
	v_fmac_f64_e32 v[6:7], v[30:31], v[34:35]
	v_fmac_f64_e32 v[6:7], v[32:33], v[36:37]
	s_waitcnt vmcnt(2)
	v_fmac_f64_e32 v[6:7], v[42:43], v[38:39]
	v_fmac_f64_e32 v[6:7], v[44:45], v[40:41]
	s_waitcnt vmcnt(0)
	v_fmac_f64_e32 v[6:7], v[50:51], v[52:53]
	v_mov_b64_e32 v[10:11], v[6:7]
	s_add_i32 s24, s24, -1
	s_add_i32 s25, s25, 4
	s_cmp_eq_u32 s24, 0
	s_cbranch_scc1 .LBB27_41
.LBB27_40:                              ;   in Loop: Header=BB27_35 Depth=2
	v_mov_b64_e32 v[6:7], v[10:11]
	s_branch .LBB27_35
.LBB27_41:                              ;   in Loop: Header=BB27_18 Depth=1
	ds_write_b64 v22, v[10:11]
	s_waitcnt lgkmcnt(0)
	ds_read_b64 v[8:9], v0
	ds_read_b64 v[6:7], v18
	s_waitcnt lgkmcnt(1)
	v_cmp_neq_f64_e32 vcc, 0, v[8:9]
	s_nop 1
	v_cndmask_b32_e32 v9, v24, v9, vcc
	s_nor_b64 s[24:25], vcc, s[0:1]
	v_cndmask_b32_e32 v8, 0, v8, vcc
	s_and_saveexec_b64 s[22:23], s[24:25]
	s_cbranch_execz .LBB27_45
; %bb.42:                               ;   in Loop: Header=BB27_18 Depth=1
	v_mbcnt_lo_u32_b32 v8, exec_lo, 0
	v_mbcnt_hi_u32_b32 v8, exec_hi, v8
	v_cmp_eq_u32_e32 vcc, 0, v8
	s_and_saveexec_b64 s[24:25], vcc
	s_cbranch_execz .LBB27_44
; %bb.43:                               ;   in Loop: Header=BB27_18 Depth=1
	v_mov_b32_e32 v8, s21
	global_atomic_smin v0, v8, s[10:11]
.LBB27_44:                              ;   in Loop: Header=BB27_18 Depth=1
	s_or_b64 exec, exec, s[24:25]
	v_mov_b64_e32 v[8:9], 1.0
.LBB27_45:                              ;   in Loop: Header=BB27_18 Depth=1
	s_or_b64 exec, exec, s[22:23]
	ds_read_b64 v[10:11], v21
	s_waitcnt lgkmcnt(0)
	v_add_f64 v[6:7], v[6:7], -v[10:11]
	v_div_scale_f64 v[10:11], s[22:23], v[8:9], v[8:9], v[6:7]
	v_rcp_f64_e32 v[26:27], v[10:11]
	v_div_scale_f64 v[28:29], vcc, v[6:7], v[8:9], v[6:7]
	v_fma_f64 v[30:31], -v[10:11], v[26:27], 1.0
	v_fmac_f64_e32 v[26:27], v[26:27], v[30:31]
	v_fma_f64 v[30:31], -v[10:11], v[26:27], 1.0
	v_fmac_f64_e32 v[26:27], v[26:27], v[30:31]
	v_mul_f64 v[30:31], v[28:29], v[26:27]
	v_fma_f64 v[10:11], -v[10:11], v[30:31], v[28:29]
	v_div_fmas_f64 v[10:11], v[10:11], v[26:27], v[30:31]
	v_div_fixup_f64 v[6:7], v[10:11], v[8:9], v[6:7]
	ds_write_b64 v18, v[6:7]
	s_waitcnt lgkmcnt(0)
	ds_read_b64 v[8:9], v23
	ds_read_b64 v[10:11], v15
	s_waitcnt lgkmcnt(0)
	v_fmac_f64_e32 v[10:11], v[6:7], v[8:9]
	ds_write_b64 v15, v[10:11]
	s_waitcnt lgkmcnt(0)
	ds_read_b64 v[8:9], v0 offset:72
	ds_read_b64 v[6:7], v18 offset:8
	s_waitcnt lgkmcnt(1)
	v_cmp_neq_f64_e32 vcc, 0, v[8:9]
	s_nop 1
	v_cndmask_b32_e32 v9, v24, v9, vcc
	s_nor_b64 s[24:25], vcc, s[0:1]
	v_cndmask_b32_e32 v8, 0, v8, vcc
	s_and_saveexec_b64 s[22:23], s[24:25]
	s_cbranch_execz .LBB27_49
; %bb.46:                               ;   in Loop: Header=BB27_18 Depth=1
	v_mbcnt_lo_u32_b32 v8, exec_lo, 0
	v_mbcnt_hi_u32_b32 v8, exec_hi, v8
	v_cmp_eq_u32_e32 vcc, 0, v8
	s_and_saveexec_b64 s[24:25], vcc
	s_cbranch_execz .LBB27_48
; %bb.47:                               ;   in Loop: Header=BB27_18 Depth=1
	v_mov_b32_e32 v8, s21
	global_atomic_smin v0, v8, s[10:11]
.LBB27_48:                              ;   in Loop: Header=BB27_18 Depth=1
	s_or_b64 exec, exec, s[24:25]
	v_mov_b64_e32 v[8:9], 1.0
.LBB27_49:                              ;   in Loop: Header=BB27_18 Depth=1
	s_or_b64 exec, exec, s[22:23]
	ds_read_b64 v[10:11], v0 offset:64
	ds_read_b64 v[26:27], v18
	ds_read_b64 v[28:29], v21 offset:8
	s_waitcnt lgkmcnt(0)
	v_fmac_f64_e32 v[28:29], v[10:11], v[26:27]
	v_add_f64 v[6:7], v[6:7], -v[28:29]
	v_div_scale_f64 v[10:11], s[22:23], v[8:9], v[8:9], v[6:7]
	v_rcp_f64_e32 v[26:27], v[10:11]
	v_div_scale_f64 v[28:29], vcc, v[6:7], v[8:9], v[6:7]
	v_fma_f64 v[30:31], -v[10:11], v[26:27], 1.0
	v_fmac_f64_e32 v[26:27], v[26:27], v[30:31]
	v_fma_f64 v[30:31], -v[10:11], v[26:27], 1.0
	v_fmac_f64_e32 v[26:27], v[26:27], v[30:31]
	v_mul_f64 v[30:31], v[28:29], v[26:27]
	v_fma_f64 v[10:11], -v[10:11], v[30:31], v[28:29]
	v_div_fmas_f64 v[10:11], v[10:11], v[26:27], v[30:31]
	v_div_fixup_f64 v[6:7], v[10:11], v[8:9], v[6:7]
	ds_write_b64 v18, v[6:7] offset:8
	s_waitcnt lgkmcnt(0)
	ds_read_b64 v[8:9], v23 offset:8
	ds_read_b64 v[10:11], v15
	s_waitcnt lgkmcnt(0)
	v_fmac_f64_e32 v[10:11], v[6:7], v[8:9]
	ds_write_b64 v15, v[10:11]
	s_waitcnt lgkmcnt(0)
	ds_read_b64 v[8:9], v0 offset:144
	ds_read_b64 v[6:7], v18 offset:16
	s_waitcnt lgkmcnt(1)
	v_cmp_neq_f64_e32 vcc, 0, v[8:9]
	s_nop 1
	v_cndmask_b32_e32 v9, v24, v9, vcc
	s_nor_b64 s[24:25], vcc, s[0:1]
	v_cndmask_b32_e32 v8, 0, v8, vcc
	s_and_saveexec_b64 s[22:23], s[24:25]
	s_cbranch_execz .LBB27_53
; %bb.50:                               ;   in Loop: Header=BB27_18 Depth=1
	v_mbcnt_lo_u32_b32 v8, exec_lo, 0
	v_mbcnt_hi_u32_b32 v8, exec_hi, v8
	v_cmp_eq_u32_e32 vcc, 0, v8
	s_and_saveexec_b64 s[24:25], vcc
	s_cbranch_execz .LBB27_52
; %bb.51:                               ;   in Loop: Header=BB27_18 Depth=1
	v_mov_b32_e32 v8, s21
	global_atomic_smin v0, v8, s[10:11]
.LBB27_52:                              ;   in Loop: Header=BB27_18 Depth=1
	s_or_b64 exec, exec, s[24:25]
	v_mov_b64_e32 v[8:9], 1.0
.LBB27_53:                              ;   in Loop: Header=BB27_18 Depth=1
	s_or_b64 exec, exec, s[22:23]
	ds_read_b128 v[26:29], v0 offset:128
	ds_read_b128 v[30:33], v18
	ds_read_b64 v[10:11], v21 offset:16
	s_waitcnt lgkmcnt(0)
	v_fmac_f64_e32 v[10:11], v[26:27], v[30:31]
	v_fmac_f64_e32 v[10:11], v[28:29], v[32:33]
	v_add_f64 v[6:7], v[6:7], -v[10:11]
	v_div_scale_f64 v[10:11], s[22:23], v[8:9], v[8:9], v[6:7]
	v_rcp_f64_e32 v[26:27], v[10:11]
	v_div_scale_f64 v[28:29], vcc, v[6:7], v[8:9], v[6:7]
	v_fma_f64 v[30:31], -v[10:11], v[26:27], 1.0
	v_fmac_f64_e32 v[26:27], v[26:27], v[30:31]
	v_fma_f64 v[30:31], -v[10:11], v[26:27], 1.0
	v_fmac_f64_e32 v[26:27], v[26:27], v[30:31]
	v_mul_f64 v[30:31], v[28:29], v[26:27]
	v_fma_f64 v[10:11], -v[10:11], v[30:31], v[28:29]
	v_div_fmas_f64 v[10:11], v[10:11], v[26:27], v[30:31]
	v_div_fixup_f64 v[6:7], v[10:11], v[8:9], v[6:7]
	ds_write_b64 v18, v[6:7] offset:16
	s_waitcnt lgkmcnt(0)
	ds_read_b64 v[8:9], v23 offset:16
	ds_read_b64 v[10:11], v15
	s_waitcnt lgkmcnt(0)
	v_fmac_f64_e32 v[10:11], v[6:7], v[8:9]
	ds_write_b64 v15, v[10:11]
	s_waitcnt lgkmcnt(0)
	ds_read_b64 v[8:9], v0 offset:216
	ds_read_b64 v[6:7], v18 offset:24
	s_waitcnt lgkmcnt(1)
	v_cmp_neq_f64_e32 vcc, 0, v[8:9]
	s_nop 1
	v_cndmask_b32_e32 v9, v24, v9, vcc
	s_nor_b64 s[24:25], vcc, s[0:1]
	v_cndmask_b32_e32 v8, 0, v8, vcc
	s_and_saveexec_b64 s[22:23], s[24:25]
	s_cbranch_execz .LBB27_57
; %bb.54:                               ;   in Loop: Header=BB27_18 Depth=1
	v_mbcnt_lo_u32_b32 v8, exec_lo, 0
	v_mbcnt_hi_u32_b32 v8, exec_hi, v8
	v_cmp_eq_u32_e32 vcc, 0, v8
	s_and_saveexec_b64 s[24:25], vcc
	s_cbranch_execz .LBB27_56
; %bb.55:                               ;   in Loop: Header=BB27_18 Depth=1
	v_mov_b32_e32 v8, s21
	global_atomic_smin v0, v8, s[10:11]
.LBB27_56:                              ;   in Loop: Header=BB27_18 Depth=1
	s_or_b64 exec, exec, s[24:25]
	v_mov_b64_e32 v[8:9], 1.0
.LBB27_57:                              ;   in Loop: Header=BB27_18 Depth=1
	s_or_b64 exec, exec, s[22:23]
	ds_read_b128 v[26:29], v18
	ds_read_b128 v[30:33], v0 offset:192
	ds_read_b64 v[10:11], v21 offset:24
	ds_read_b64 v[34:35], v0 offset:208
	;; [unrolled: 1-line block ×3, first 2 shown]
	s_waitcnt lgkmcnt(2)
	v_fmac_f64_e32 v[10:11], v[30:31], v[26:27]
	v_fmac_f64_e32 v[10:11], v[32:33], v[28:29]
	s_waitcnt lgkmcnt(0)
	v_fmac_f64_e32 v[10:11], v[34:35], v[36:37]
	v_add_f64 v[6:7], v[6:7], -v[10:11]
	v_div_scale_f64 v[10:11], s[22:23], v[8:9], v[8:9], v[6:7]
	v_rcp_f64_e32 v[26:27], v[10:11]
	v_div_scale_f64 v[28:29], vcc, v[6:7], v[8:9], v[6:7]
	v_fma_f64 v[30:31], -v[10:11], v[26:27], 1.0
	v_fmac_f64_e32 v[26:27], v[26:27], v[30:31]
	v_fma_f64 v[30:31], -v[10:11], v[26:27], 1.0
	v_fmac_f64_e32 v[26:27], v[26:27], v[30:31]
	v_mul_f64 v[30:31], v[28:29], v[26:27]
	v_fma_f64 v[10:11], -v[10:11], v[30:31], v[28:29]
	v_div_fmas_f64 v[10:11], v[10:11], v[26:27], v[30:31]
	v_div_fixup_f64 v[6:7], v[10:11], v[8:9], v[6:7]
	ds_write_b64 v18, v[6:7] offset:24
	s_waitcnt lgkmcnt(0)
	ds_read_b64 v[8:9], v23 offset:24
	ds_read_b64 v[10:11], v15
	s_waitcnt lgkmcnt(0)
	v_fmac_f64_e32 v[10:11], v[6:7], v[8:9]
	ds_write_b64 v15, v[10:11]
	s_waitcnt lgkmcnt(0)
	ds_read_b64 v[8:9], v0 offset:288
	ds_read_b64 v[6:7], v18 offset:32
	s_waitcnt lgkmcnt(1)
	v_cmp_neq_f64_e32 vcc, 0, v[8:9]
	s_nop 1
	v_cndmask_b32_e32 v9, v24, v9, vcc
	s_nor_b64 s[24:25], vcc, s[0:1]
	v_cndmask_b32_e32 v8, 0, v8, vcc
	s_and_saveexec_b64 s[22:23], s[24:25]
	s_cbranch_execz .LBB27_61
; %bb.58:                               ;   in Loop: Header=BB27_18 Depth=1
	v_mbcnt_lo_u32_b32 v8, exec_lo, 0
	v_mbcnt_hi_u32_b32 v8, exec_hi, v8
	v_cmp_eq_u32_e32 vcc, 0, v8
	s_and_saveexec_b64 s[24:25], vcc
	s_cbranch_execz .LBB27_60
; %bb.59:                               ;   in Loop: Header=BB27_18 Depth=1
	v_mov_b32_e32 v8, s21
	global_atomic_smin v0, v8, s[10:11]
.LBB27_60:                              ;   in Loop: Header=BB27_18 Depth=1
	s_or_b64 exec, exec, s[24:25]
	v_mov_b64_e32 v[8:9], 1.0
.LBB27_61:                              ;   in Loop: Header=BB27_18 Depth=1
	s_or_b64 exec, exec, s[22:23]
	ds_read_b128 v[26:29], v18
	ds_read_b128 v[30:33], v0 offset:256
	ds_read_b64 v[10:11], v21 offset:32
	ds_read_b128 v[34:37], v0 offset:272
	ds_read_b128 v[38:41], v18 offset:16
	s_waitcnt lgkmcnt(2)
	v_fmac_f64_e32 v[10:11], v[30:31], v[26:27]
	v_fmac_f64_e32 v[10:11], v[32:33], v[28:29]
	s_waitcnt lgkmcnt(0)
	v_fmac_f64_e32 v[10:11], v[34:35], v[38:39]
	v_fmac_f64_e32 v[10:11], v[36:37], v[40:41]
	v_add_f64 v[6:7], v[6:7], -v[10:11]
	v_div_scale_f64 v[10:11], s[22:23], v[8:9], v[8:9], v[6:7]
	v_rcp_f64_e32 v[26:27], v[10:11]
	v_div_scale_f64 v[28:29], vcc, v[6:7], v[8:9], v[6:7]
	v_fma_f64 v[30:31], -v[10:11], v[26:27], 1.0
	v_fmac_f64_e32 v[26:27], v[26:27], v[30:31]
	v_fma_f64 v[30:31], -v[10:11], v[26:27], 1.0
	v_fmac_f64_e32 v[26:27], v[26:27], v[30:31]
	v_mul_f64 v[30:31], v[28:29], v[26:27]
	v_fma_f64 v[10:11], -v[10:11], v[30:31], v[28:29]
	v_div_fmas_f64 v[10:11], v[10:11], v[26:27], v[30:31]
	v_div_fixup_f64 v[6:7], v[10:11], v[8:9], v[6:7]
	ds_write_b64 v18, v[6:7] offset:32
	s_waitcnt lgkmcnt(0)
	ds_read_b64 v[8:9], v23 offset:32
	ds_read_b64 v[10:11], v15
	s_waitcnt lgkmcnt(0)
	v_fmac_f64_e32 v[10:11], v[6:7], v[8:9]
	ds_write_b64 v15, v[10:11]
	s_waitcnt lgkmcnt(0)
	ds_read_b64 v[8:9], v0 offset:360
	ds_read_b64 v[6:7], v18 offset:40
	s_waitcnt lgkmcnt(1)
	v_cmp_neq_f64_e32 vcc, 0, v[8:9]
	s_nop 1
	v_cndmask_b32_e32 v9, v24, v9, vcc
	s_nor_b64 s[24:25], vcc, s[0:1]
	v_cndmask_b32_e32 v8, 0, v8, vcc
	s_and_saveexec_b64 s[22:23], s[24:25]
	s_cbranch_execz .LBB27_65
; %bb.62:                               ;   in Loop: Header=BB27_18 Depth=1
	v_mbcnt_lo_u32_b32 v8, exec_lo, 0
	v_mbcnt_hi_u32_b32 v8, exec_hi, v8
	v_cmp_eq_u32_e32 vcc, 0, v8
	s_and_saveexec_b64 s[24:25], vcc
	s_cbranch_execz .LBB27_64
; %bb.63:                               ;   in Loop: Header=BB27_18 Depth=1
	v_mov_b32_e32 v8, s21
	global_atomic_smin v0, v8, s[10:11]
.LBB27_64:                              ;   in Loop: Header=BB27_18 Depth=1
	s_or_b64 exec, exec, s[24:25]
	v_mov_b64_e32 v[8:9], 1.0
.LBB27_65:                              ;   in Loop: Header=BB27_18 Depth=1
	s_or_b64 exec, exec, s[22:23]
	ds_read_b128 v[26:29], v18
	ds_read_b64 v[10:11], v21 offset:40
	ds_read_b128 v[30:33], v0 offset:320
	ds_read_b128 v[34:37], v0 offset:336
	;; [unrolled: 1-line block ×3, first 2 shown]
	ds_read_b64 v[42:43], v18 offset:32
	ds_read_b64 v[44:45], v0 offset:352
	s_waitcnt lgkmcnt(4)
	v_fmac_f64_e32 v[10:11], v[30:31], v[26:27]
	v_fmac_f64_e32 v[10:11], v[32:33], v[28:29]
	s_waitcnt lgkmcnt(2)
	v_fmac_f64_e32 v[10:11], v[34:35], v[38:39]
	v_fmac_f64_e32 v[10:11], v[36:37], v[40:41]
	s_waitcnt lgkmcnt(0)
	v_fmac_f64_e32 v[10:11], v[44:45], v[42:43]
	v_add_f64 v[6:7], v[6:7], -v[10:11]
	v_div_scale_f64 v[10:11], s[22:23], v[8:9], v[8:9], v[6:7]
	v_rcp_f64_e32 v[26:27], v[10:11]
	s_nop 0
	v_fma_f64 v[28:29], -v[10:11], v[26:27], 1.0
	v_fmac_f64_e32 v[26:27], v[26:27], v[28:29]
	v_fma_f64 v[28:29], -v[10:11], v[26:27], 1.0
	v_fmac_f64_e32 v[26:27], v[26:27], v[28:29]
	v_div_scale_f64 v[28:29], vcc, v[6:7], v[8:9], v[6:7]
	v_mul_f64 v[30:31], v[28:29], v[26:27]
	v_fma_f64 v[10:11], -v[10:11], v[30:31], v[28:29]
	s_nop 1
	v_div_fmas_f64 v[10:11], v[10:11], v[26:27], v[30:31]
	v_div_fixup_f64 v[6:7], v[10:11], v[8:9], v[6:7]
	ds_write_b64 v18, v[6:7] offset:40
	s_waitcnt lgkmcnt(0)
	ds_read_b64 v[8:9], v23 offset:40
	ds_read_b64 v[10:11], v15
	s_waitcnt lgkmcnt(0)
	v_fmac_f64_e32 v[10:11], v[6:7], v[8:9]
	ds_write_b64 v15, v[10:11]
	s_waitcnt lgkmcnt(0)
	ds_read_b64 v[8:9], v0 offset:432
	ds_read_b64 v[6:7], v18 offset:48
	s_waitcnt lgkmcnt(1)
	v_cmp_neq_f64_e32 vcc, 0, v[8:9]
	s_nop 1
	v_cndmask_b32_e32 v9, v24, v9, vcc
	s_nor_b64 s[24:25], vcc, s[0:1]
	v_cndmask_b32_e32 v8, 0, v8, vcc
	s_and_saveexec_b64 s[22:23], s[24:25]
	s_cbranch_execz .LBB27_17
; %bb.66:                               ;   in Loop: Header=BB27_18 Depth=1
	v_mbcnt_lo_u32_b32 v8, exec_lo, 0
	v_mbcnt_hi_u32_b32 v8, exec_hi, v8
	v_cmp_eq_u32_e32 vcc, 0, v8
	s_and_saveexec_b64 s[24:25], vcc
	s_cbranch_execz .LBB27_16
; %bb.67:                               ;   in Loop: Header=BB27_18 Depth=1
	v_mov_b32_e32 v8, s21
	global_atomic_smin v0, v8, s[10:11]
	s_branch .LBB27_16
.LBB27_68:                              ;   in Loop: Header=BB27_18 Depth=1
                                        ; implicit-def: $sgpr20
	s_cbranch_execz .LBB27_18
.LBB27_69:
	s_cmp_lg_u32 s33, 0
	s_cselect_b64 s[4:5], -1, 0
	s_cmp_eq_u32 s33, 0
	v_mov_b32_e32 v0, v14
	s_cbranch_scc1 .LBB27_71
; %bb.70:
	v_mad_u32_u24 v0, v12, 7, v13
.LBB27_71:
	s_mul_i32 s30, s30, 49
	v_add_u32_e32 v0, s30, v0
	v_ashrrev_i32_e32 v1, 31, v0
	v_lshl_add_u64 v[0:1], v[0:1], 3, s[18:19]
	global_load_dwordx2 v[0:1], v[0:1], off
	v_mov_b32_e32 v2, 0x380
	v_lshl_add_u32 v4, v13, 6, v2
	v_cmp_ne_u32_e32 vcc, 0, v13
	v_lshl_add_u32 v2, v12, 3, v4
	v_cmp_eq_u32_e64 s[0:1], 0, v13
	s_waitcnt vmcnt(0)
	ds_write_b64 v2, v[0:1]
	s_waitcnt lgkmcnt(0)
	s_and_saveexec_b64 s[2:3], s[0:1]
	s_cbranch_execz .LBB27_73
; %bb.72:
	v_mov_b32_e32 v5, 0
	ds_read2_b64 v[6:9], v5 offset0:112 offset1:168
	s_mov_b32 s12, 0
	s_brev_b32 s13, 8
	v_mov_b32_e32 v17, 0x260
	s_waitcnt lgkmcnt(0)
	v_add_f64 v[0:1], v[6:7], -v[8:9]
	v_xor_b32_e32 v6, 0x80000000, v1
	v_cmp_gt_f64_e64 s[0:1], 0, v[0:1]
	s_nop 1
	v_cndmask_b32_e64 v1, v1, v6, s[0:1]
	v_cmp_gt_f64_e64 s[0:1], s[12:13], v[0:1]
	s_and_b64 s[0:1], s[0:1], exec
	s_cselect_b32 s0, 0x100, 0
	v_ldexp_f64 v[0:1], v[0:1], s0
	v_rsq_f64_e32 v[6:7], v[0:1]
	s_cselect_b32 s0, 0xffffff80, 0
	v_mul_f64 v[8:9], v[0:1], v[6:7]
	v_mul_f64 v[6:7], v[6:7], 0.5
	v_fma_f64 v[10:11], -v[6:7], v[8:9], 0.5
	v_fmac_f64_e32 v[8:9], v[8:9], v[10:11]
	v_fmac_f64_e32 v[6:7], v[6:7], v[10:11]
	v_fma_f64 v[10:11], -v[8:9], v[8:9], v[0:1]
	v_fmac_f64_e32 v[8:9], v[10:11], v[6:7]
	v_fma_f64 v[10:11], -v[8:9], v[8:9], v[0:1]
	v_fmac_f64_e32 v[8:9], v[10:11], v[6:7]
	v_ldexp_f64 v[6:7], v[8:9], s0
	v_cmp_class_f64_e64 s[0:1], v[0:1], v17
	s_nop 1
	v_cndmask_b32_e64 v1, v7, v1, s[0:1]
	v_cndmask_b32_e64 v0, v6, v0, s[0:1]
	ds_write_b64 v5, v[0:1] offset:896
.LBB27_73:
	s_or_b64 exec, exec, s[2:3]
	v_mov_b32_e32 v0, 0
	s_waitcnt lgkmcnt(0)
	ds_read_b64 v[0:1], v0 offset:896
	v_or_b32_e32 v5, v12, v13
	v_cmp_ne_u32_e64 s[0:1], 0, v5
	v_mov_b32_e32 v6, 0x3ff00000
	s_add_i32 s20, s16, s17
	s_waitcnt lgkmcnt(0)
	v_cmp_neq_f64_e64 s[2:3], 0, v[0:1]
	s_nor_b64 s[14:15], s[2:3], s[0:1]
	s_nop 0
	v_cndmask_b32_e64 v1, v6, v1, s[2:3]
	v_cndmask_b32_e64 v0, 0, v0, s[2:3]
	s_and_saveexec_b64 s[12:13], s[14:15]
	s_cbranch_execz .LBB27_77
; %bb.74:
	v_mbcnt_lo_u32_b32 v0, exec_lo, 0
	v_mbcnt_hi_u32_b32 v0, exec_hi, v0
	v_cmp_eq_u32_e64 s[2:3], 0, v0
	s_and_saveexec_b64 s[14:15], s[2:3]
	s_cbranch_execz .LBB27_76
; %bb.75:
	v_mov_b32_e32 v0, 0
	v_mov_b32_e32 v1, s20
	global_atomic_smin v0, v1, s[10:11]
.LBB27_76:
	s_or_b64 exec, exec, s[14:15]
	v_mov_b64_e32 v[0:1], 1.0
.LBB27_77:
	s_or_b64 exec, exec, s[12:13]
	v_mov_b32_e32 v6, 0x380
	v_lshl_add_u32 v6, v12, 6, v6
	s_and_saveexec_b64 s[2:3], vcc
	s_cbranch_execz .LBB27_79
; %bb.78:
	ds_read_b64 v[8:9], v4
	ds_read_b64 v[10:11], v16
	s_waitcnt lgkmcnt(0)
	v_add_f64 v[8:9], v[8:9], -v[10:11]
	v_div_scale_f64 v[10:11], s[12:13], v[0:1], v[0:1], v[8:9]
	v_rcp_f64_e32 v[18:19], v[10:11]
	v_div_scale_f64 v[20:21], vcc, v[8:9], v[0:1], v[8:9]
	v_fma_f64 v[22:23], -v[10:11], v[18:19], 1.0
	v_fmac_f64_e32 v[18:19], v[18:19], v[22:23]
	v_fma_f64 v[22:23], -v[10:11], v[18:19], 1.0
	v_fmac_f64_e32 v[18:19], v[18:19], v[22:23]
	v_mul_f64 v[22:23], v[20:21], v[18:19]
	v_fma_f64 v[10:11], -v[10:11], v[22:23], v[20:21]
	v_div_fmas_f64 v[10:11], v[10:11], v[18:19], v[22:23]
	v_div_fixup_f64 v[0:1], v[10:11], v[0:1], v[8:9]
	ds_write_b64 v4, v[0:1]
	s_waitcnt lgkmcnt(0)
	ds_read_b64 v[8:9], v6
	ds_read_b64 v[10:11], v15
	s_waitcnt lgkmcnt(0)
	v_fmac_f64_e32 v[10:11], v[0:1], v[8:9]
	ds_write_b64 v15, v[10:11]
.LBB27_79:
	s_or_b64 exec, exec, s[2:3]
	v_cmp_eq_u32_e32 vcc, 1, v13
	s_waitcnt lgkmcnt(0)
	s_and_saveexec_b64 s[2:3], vcc
	s_cbranch_execz .LBB27_81
; %bb.80:
	v_mov_b32_e32 v7, 0
	ds_read2_b64 v[8:11], v7 offset0:121 offset1:177
	s_mov_b32 s12, 0
	s_brev_b32 s13, 8
	v_mov_b32_e32 v17, 0x260
	s_waitcnt lgkmcnt(0)
	v_add_f64 v[0:1], v[8:9], -v[10:11]
	v_xor_b32_e32 v8, 0x80000000, v1
	v_cmp_gt_f64_e32 vcc, 0, v[0:1]
	s_nop 1
	v_cndmask_b32_e32 v1, v1, v8, vcc
	v_cmp_gt_f64_e32 vcc, s[12:13], v[0:1]
	s_and_b64 s[12:13], vcc, exec
	s_cselect_b32 s12, 0x100, 0
	v_ldexp_f64 v[0:1], v[0:1], s12
	v_rsq_f64_e32 v[8:9], v[0:1]
	s_cselect_b32 s12, 0xffffff80, 0
	v_cmp_class_f64_e32 vcc, v[0:1], v17
	v_mul_f64 v[10:11], v[0:1], v[8:9]
	v_mul_f64 v[8:9], v[8:9], 0.5
	v_fma_f64 v[18:19], -v[8:9], v[10:11], 0.5
	v_fmac_f64_e32 v[10:11], v[10:11], v[18:19]
	v_fmac_f64_e32 v[8:9], v[8:9], v[18:19]
	v_fma_f64 v[18:19], -v[10:11], v[10:11], v[0:1]
	v_fmac_f64_e32 v[10:11], v[18:19], v[8:9]
	v_fma_f64 v[18:19], -v[10:11], v[10:11], v[0:1]
	v_fmac_f64_e32 v[10:11], v[18:19], v[8:9]
	v_ldexp_f64 v[8:9], v[10:11], s12
	v_cndmask_b32_e32 v1, v9, v1, vcc
	v_cndmask_b32_e32 v0, v8, v0, vcc
	ds_write_b64 v7, v[0:1] offset:968
.LBB27_81:
	s_or_b64 exec, exec, s[2:3]
	v_mov_b32_e32 v0, 0
	s_waitcnt lgkmcnt(0)
	ds_read_b64 v[0:1], v0 offset:968
	v_mov_b32_e32 v7, 0x3ff00000
	s_waitcnt lgkmcnt(0)
	v_cmp_neq_f64_e32 vcc, 0, v[0:1]
	s_nop 1
	v_cndmask_b32_e32 v1, v7, v1, vcc
	s_nor_b64 s[12:13], vcc, s[0:1]
	v_cndmask_b32_e32 v0, 0, v0, vcc
	s_and_saveexec_b64 s[2:3], s[12:13]
	s_cbranch_execz .LBB27_85
; %bb.82:
	v_mbcnt_lo_u32_b32 v0, exec_lo, 0
	v_mbcnt_hi_u32_b32 v0, exec_hi, v0
	v_cmp_eq_u32_e32 vcc, 0, v0
	s_and_saveexec_b64 s[12:13], vcc
	s_cbranch_execz .LBB27_84
; %bb.83:
	v_mov_b32_e32 v0, 0
	v_mov_b32_e32 v1, s20
	global_atomic_smin v0, v1, s[10:11]
.LBB27_84:
	s_or_b64 exec, exec, s[12:13]
	v_mov_b64_e32 v[0:1], 1.0
.LBB27_85:
	s_or_b64 exec, exec, s[2:3]
	v_cmp_lt_u32_e32 vcc, 1, v13
	s_and_saveexec_b64 s[2:3], vcc
	s_cbranch_execz .LBB27_87
; %bb.86:
	ds_read_b64 v[8:9], v4 offset:8
	ds_read_b64 v[10:11], v16 offset:8
	s_waitcnt lgkmcnt(0)
	v_add_f64 v[8:9], v[8:9], -v[10:11]
	v_div_scale_f64 v[10:11], s[12:13], v[0:1], v[0:1], v[8:9]
	v_rcp_f64_e32 v[18:19], v[10:11]
	v_div_scale_f64 v[20:21], vcc, v[8:9], v[0:1], v[8:9]
	v_fma_f64 v[22:23], -v[10:11], v[18:19], 1.0
	v_fmac_f64_e32 v[18:19], v[18:19], v[22:23]
	v_fma_f64 v[22:23], -v[10:11], v[18:19], 1.0
	v_fmac_f64_e32 v[18:19], v[18:19], v[22:23]
	v_mul_f64 v[22:23], v[20:21], v[18:19]
	v_fma_f64 v[10:11], -v[10:11], v[22:23], v[20:21]
	v_div_fmas_f64 v[10:11], v[10:11], v[18:19], v[22:23]
	v_div_fixup_f64 v[0:1], v[10:11], v[0:1], v[8:9]
	ds_write_b64 v4, v[0:1] offset:8
	s_waitcnt lgkmcnt(0)
	ds_read_b64 v[8:9], v6 offset:8
	ds_read_b64 v[10:11], v15
	s_waitcnt lgkmcnt(0)
	v_fmac_f64_e32 v[10:11], v[0:1], v[8:9]
	ds_write_b64 v15, v[10:11]
.LBB27_87:
	s_or_b64 exec, exec, s[2:3]
	v_cmp_eq_u32_e32 vcc, 2, v13
	s_waitcnt lgkmcnt(0)
	s_and_saveexec_b64 s[2:3], vcc
	s_cbranch_execz .LBB27_89
; %bb.88:
	v_mov_b32_e32 v7, 0
	ds_read2_b64 v[8:11], v7 offset0:130 offset1:186
	s_mov_b32 s12, 0
	s_brev_b32 s13, 8
	v_mov_b32_e32 v17, 0x260
	s_waitcnt lgkmcnt(0)
	v_add_f64 v[0:1], v[8:9], -v[10:11]
	v_xor_b32_e32 v8, 0x80000000, v1
	v_cmp_gt_f64_e32 vcc, 0, v[0:1]
	s_nop 1
	v_cndmask_b32_e32 v1, v1, v8, vcc
	v_cmp_gt_f64_e32 vcc, s[12:13], v[0:1]
	s_and_b64 s[12:13], vcc, exec
	s_cselect_b32 s12, 0x100, 0
	v_ldexp_f64 v[0:1], v[0:1], s12
	v_rsq_f64_e32 v[8:9], v[0:1]
	s_cselect_b32 s12, 0xffffff80, 0
	v_cmp_class_f64_e32 vcc, v[0:1], v17
	v_mul_f64 v[10:11], v[0:1], v[8:9]
	v_mul_f64 v[8:9], v[8:9], 0.5
	v_fma_f64 v[18:19], -v[8:9], v[10:11], 0.5
	v_fmac_f64_e32 v[10:11], v[10:11], v[18:19]
	v_fmac_f64_e32 v[8:9], v[8:9], v[18:19]
	v_fma_f64 v[18:19], -v[10:11], v[10:11], v[0:1]
	v_fmac_f64_e32 v[10:11], v[18:19], v[8:9]
	v_fma_f64 v[18:19], -v[10:11], v[10:11], v[0:1]
	v_fmac_f64_e32 v[10:11], v[18:19], v[8:9]
	v_ldexp_f64 v[8:9], v[10:11], s12
	v_cndmask_b32_e32 v1, v9, v1, vcc
	v_cndmask_b32_e32 v0, v8, v0, vcc
	ds_write_b64 v7, v[0:1] offset:1040
.LBB27_89:
	s_or_b64 exec, exec, s[2:3]
	v_mov_b32_e32 v0, 0
	s_waitcnt lgkmcnt(0)
	ds_read_b64 v[0:1], v0 offset:1040
	v_mov_b32_e32 v7, 0x3ff00000
	s_waitcnt lgkmcnt(0)
	v_cmp_neq_f64_e32 vcc, 0, v[0:1]
	s_nop 1
	v_cndmask_b32_e32 v1, v7, v1, vcc
	s_nor_b64 s[12:13], vcc, s[0:1]
	v_cndmask_b32_e32 v0, 0, v0, vcc
	s_and_saveexec_b64 s[2:3], s[12:13]
	s_cbranch_execz .LBB27_93
; %bb.90:
	v_mbcnt_lo_u32_b32 v0, exec_lo, 0
	v_mbcnt_hi_u32_b32 v0, exec_hi, v0
	v_cmp_eq_u32_e32 vcc, 0, v0
	s_and_saveexec_b64 s[12:13], vcc
	s_cbranch_execz .LBB27_92
; %bb.91:
	v_mov_b32_e32 v0, 0
	v_mov_b32_e32 v1, s20
	global_atomic_smin v0, v1, s[10:11]
.LBB27_92:
	s_or_b64 exec, exec, s[12:13]
	v_mov_b64_e32 v[0:1], 1.0
.LBB27_93:
	s_or_b64 exec, exec, s[2:3]
	v_cmp_lt_u32_e32 vcc, 2, v13
	s_and_saveexec_b64 s[2:3], vcc
	s_cbranch_execz .LBB27_95
; %bb.94:
	ds_read_b64 v[8:9], v4 offset:16
	ds_read_b64 v[10:11], v16 offset:16
	s_waitcnt lgkmcnt(0)
	v_add_f64 v[8:9], v[8:9], -v[10:11]
	v_div_scale_f64 v[10:11], s[12:13], v[0:1], v[0:1], v[8:9]
	v_rcp_f64_e32 v[18:19], v[10:11]
	v_div_scale_f64 v[20:21], vcc, v[8:9], v[0:1], v[8:9]
	v_fma_f64 v[22:23], -v[10:11], v[18:19], 1.0
	v_fmac_f64_e32 v[18:19], v[18:19], v[22:23]
	v_fma_f64 v[22:23], -v[10:11], v[18:19], 1.0
	v_fmac_f64_e32 v[18:19], v[18:19], v[22:23]
	v_mul_f64 v[22:23], v[20:21], v[18:19]
	v_fma_f64 v[10:11], -v[10:11], v[22:23], v[20:21]
	v_div_fmas_f64 v[10:11], v[10:11], v[18:19], v[22:23]
	v_div_fixup_f64 v[0:1], v[10:11], v[0:1], v[8:9]
	ds_write_b64 v4, v[0:1] offset:16
	s_waitcnt lgkmcnt(0)
	ds_read_b64 v[8:9], v6 offset:16
	ds_read_b64 v[10:11], v15
	s_waitcnt lgkmcnt(0)
	v_fmac_f64_e32 v[10:11], v[0:1], v[8:9]
	ds_write_b64 v15, v[10:11]
.LBB27_95:
	s_or_b64 exec, exec, s[2:3]
	v_cmp_eq_u32_e32 vcc, 3, v13
	s_waitcnt lgkmcnt(0)
	s_and_saveexec_b64 s[2:3], vcc
	s_cbranch_execz .LBB27_97
; %bb.96:
	v_mov_b32_e32 v7, 0
	ds_read2_b64 v[8:11], v7 offset0:139 offset1:195
	s_mov_b32 s12, 0
	s_brev_b32 s13, 8
	v_mov_b32_e32 v17, 0x260
	s_waitcnt lgkmcnt(0)
	v_add_f64 v[0:1], v[8:9], -v[10:11]
	v_xor_b32_e32 v8, 0x80000000, v1
	v_cmp_gt_f64_e32 vcc, 0, v[0:1]
	s_nop 1
	v_cndmask_b32_e32 v1, v1, v8, vcc
	v_cmp_gt_f64_e32 vcc, s[12:13], v[0:1]
	s_and_b64 s[12:13], vcc, exec
	s_cselect_b32 s12, 0x100, 0
	v_ldexp_f64 v[0:1], v[0:1], s12
	v_rsq_f64_e32 v[8:9], v[0:1]
	s_cselect_b32 s12, 0xffffff80, 0
	v_cmp_class_f64_e32 vcc, v[0:1], v17
	v_mul_f64 v[10:11], v[0:1], v[8:9]
	v_mul_f64 v[8:9], v[8:9], 0.5
	v_fma_f64 v[18:19], -v[8:9], v[10:11], 0.5
	v_fmac_f64_e32 v[10:11], v[10:11], v[18:19]
	v_fmac_f64_e32 v[8:9], v[8:9], v[18:19]
	v_fma_f64 v[18:19], -v[10:11], v[10:11], v[0:1]
	v_fmac_f64_e32 v[10:11], v[18:19], v[8:9]
	v_fma_f64 v[18:19], -v[10:11], v[10:11], v[0:1]
	v_fmac_f64_e32 v[10:11], v[18:19], v[8:9]
	v_ldexp_f64 v[8:9], v[10:11], s12
	v_cndmask_b32_e32 v1, v9, v1, vcc
	v_cndmask_b32_e32 v0, v8, v0, vcc
	ds_write_b64 v7, v[0:1] offset:1112
.LBB27_97:
	s_or_b64 exec, exec, s[2:3]
	v_mov_b32_e32 v0, 0
	s_waitcnt lgkmcnt(0)
	ds_read_b64 v[0:1], v0 offset:1112
	v_mov_b32_e32 v7, 0x3ff00000
	s_waitcnt lgkmcnt(0)
	v_cmp_neq_f64_e32 vcc, 0, v[0:1]
	s_nop 1
	v_cndmask_b32_e32 v1, v7, v1, vcc
	s_nor_b64 s[12:13], vcc, s[0:1]
	v_cndmask_b32_e32 v0, 0, v0, vcc
	s_and_saveexec_b64 s[2:3], s[12:13]
	s_cbranch_execz .LBB27_101
; %bb.98:
	v_mbcnt_lo_u32_b32 v0, exec_lo, 0
	v_mbcnt_hi_u32_b32 v0, exec_hi, v0
	v_cmp_eq_u32_e32 vcc, 0, v0
	s_and_saveexec_b64 s[12:13], vcc
	s_cbranch_execz .LBB27_100
; %bb.99:
	v_mov_b32_e32 v0, 0
	v_mov_b32_e32 v1, s20
	global_atomic_smin v0, v1, s[10:11]
.LBB27_100:
	s_or_b64 exec, exec, s[12:13]
	v_mov_b64_e32 v[0:1], 1.0
.LBB27_101:
	s_or_b64 exec, exec, s[2:3]
	v_cmp_lt_u32_e32 vcc, 3, v13
	s_and_saveexec_b64 s[2:3], vcc
	s_cbranch_execz .LBB27_103
; %bb.102:
	ds_read_b64 v[8:9], v4 offset:24
	ds_read_b64 v[10:11], v16 offset:24
	s_waitcnt lgkmcnt(0)
	v_add_f64 v[8:9], v[8:9], -v[10:11]
	v_div_scale_f64 v[10:11], s[12:13], v[0:1], v[0:1], v[8:9]
	v_rcp_f64_e32 v[18:19], v[10:11]
	v_div_scale_f64 v[20:21], vcc, v[8:9], v[0:1], v[8:9]
	v_fma_f64 v[22:23], -v[10:11], v[18:19], 1.0
	v_fmac_f64_e32 v[18:19], v[18:19], v[22:23]
	v_fma_f64 v[22:23], -v[10:11], v[18:19], 1.0
	v_fmac_f64_e32 v[18:19], v[18:19], v[22:23]
	v_mul_f64 v[22:23], v[20:21], v[18:19]
	v_fma_f64 v[10:11], -v[10:11], v[22:23], v[20:21]
	v_div_fmas_f64 v[10:11], v[10:11], v[18:19], v[22:23]
	v_div_fixup_f64 v[0:1], v[10:11], v[0:1], v[8:9]
	ds_write_b64 v4, v[0:1] offset:24
	s_waitcnt lgkmcnt(0)
	ds_read_b64 v[8:9], v6 offset:24
	ds_read_b64 v[10:11], v15
	s_waitcnt lgkmcnt(0)
	v_fmac_f64_e32 v[10:11], v[0:1], v[8:9]
	ds_write_b64 v15, v[10:11]
.LBB27_103:
	s_or_b64 exec, exec, s[2:3]
	v_cmp_eq_u32_e32 vcc, 4, v13
	s_waitcnt lgkmcnt(0)
	s_and_saveexec_b64 s[2:3], vcc
	s_cbranch_execz .LBB27_105
; %bb.104:
	v_mov_b32_e32 v7, 0
	ds_read2_b64 v[8:11], v7 offset0:148 offset1:204
	s_mov_b32 s12, 0
	s_brev_b32 s13, 8
	v_mov_b32_e32 v17, 0x260
	s_waitcnt lgkmcnt(0)
	v_add_f64 v[0:1], v[8:9], -v[10:11]
	v_xor_b32_e32 v8, 0x80000000, v1
	v_cmp_gt_f64_e32 vcc, 0, v[0:1]
	s_nop 1
	v_cndmask_b32_e32 v1, v1, v8, vcc
	v_cmp_gt_f64_e32 vcc, s[12:13], v[0:1]
	s_and_b64 s[12:13], vcc, exec
	s_cselect_b32 s12, 0x100, 0
	v_ldexp_f64 v[0:1], v[0:1], s12
	v_rsq_f64_e32 v[8:9], v[0:1]
	s_cselect_b32 s12, 0xffffff80, 0
	v_cmp_class_f64_e32 vcc, v[0:1], v17
	v_mul_f64 v[10:11], v[0:1], v[8:9]
	v_mul_f64 v[8:9], v[8:9], 0.5
	v_fma_f64 v[18:19], -v[8:9], v[10:11], 0.5
	v_fmac_f64_e32 v[10:11], v[10:11], v[18:19]
	v_fmac_f64_e32 v[8:9], v[8:9], v[18:19]
	v_fma_f64 v[18:19], -v[10:11], v[10:11], v[0:1]
	v_fmac_f64_e32 v[10:11], v[18:19], v[8:9]
	v_fma_f64 v[18:19], -v[10:11], v[10:11], v[0:1]
	v_fmac_f64_e32 v[10:11], v[18:19], v[8:9]
	v_ldexp_f64 v[8:9], v[10:11], s12
	v_cndmask_b32_e32 v1, v9, v1, vcc
	v_cndmask_b32_e32 v0, v8, v0, vcc
	ds_write_b64 v7, v[0:1] offset:1184
.LBB27_105:
	s_or_b64 exec, exec, s[2:3]
	v_mov_b32_e32 v0, 0
	s_waitcnt lgkmcnt(0)
	ds_read_b64 v[0:1], v0 offset:1184
	v_mov_b32_e32 v7, 0x3ff00000
	s_waitcnt lgkmcnt(0)
	v_cmp_neq_f64_e32 vcc, 0, v[0:1]
	s_nop 1
	v_cndmask_b32_e32 v1, v7, v1, vcc
	s_nor_b64 s[12:13], vcc, s[0:1]
	v_cndmask_b32_e32 v0, 0, v0, vcc
	s_and_saveexec_b64 s[2:3], s[12:13]
	s_cbranch_execz .LBB27_109
; %bb.106:
	v_mbcnt_lo_u32_b32 v0, exec_lo, 0
	v_mbcnt_hi_u32_b32 v0, exec_hi, v0
	v_cmp_eq_u32_e32 vcc, 0, v0
	s_and_saveexec_b64 s[12:13], vcc
	s_cbranch_execz .LBB27_108
; %bb.107:
	v_mov_b32_e32 v0, 0
	v_mov_b32_e32 v1, s20
	global_atomic_smin v0, v1, s[10:11]
.LBB27_108:
	s_or_b64 exec, exec, s[12:13]
	v_mov_b64_e32 v[0:1], 1.0
.LBB27_109:
	s_or_b64 exec, exec, s[2:3]
	v_cmp_lt_u32_e32 vcc, 4, v13
	s_and_saveexec_b64 s[2:3], vcc
	s_cbranch_execz .LBB27_111
; %bb.110:
	ds_read_b64 v[8:9], v4 offset:32
	ds_read_b64 v[10:11], v16 offset:32
	s_waitcnt lgkmcnt(0)
	v_add_f64 v[8:9], v[8:9], -v[10:11]
	v_div_scale_f64 v[10:11], s[12:13], v[0:1], v[0:1], v[8:9]
	v_rcp_f64_e32 v[18:19], v[10:11]
	v_div_scale_f64 v[20:21], vcc, v[8:9], v[0:1], v[8:9]
	v_fma_f64 v[22:23], -v[10:11], v[18:19], 1.0
	v_fmac_f64_e32 v[18:19], v[18:19], v[22:23]
	v_fma_f64 v[22:23], -v[10:11], v[18:19], 1.0
	v_fmac_f64_e32 v[18:19], v[18:19], v[22:23]
	v_mul_f64 v[22:23], v[20:21], v[18:19]
	v_fma_f64 v[10:11], -v[10:11], v[22:23], v[20:21]
	v_div_fmas_f64 v[10:11], v[10:11], v[18:19], v[22:23]
	v_div_fixup_f64 v[0:1], v[10:11], v[0:1], v[8:9]
	ds_write_b64 v4, v[0:1] offset:32
	s_waitcnt lgkmcnt(0)
	ds_read_b64 v[8:9], v6 offset:32
	ds_read_b64 v[10:11], v15
	s_waitcnt lgkmcnt(0)
	v_fmac_f64_e32 v[10:11], v[0:1], v[8:9]
	ds_write_b64 v15, v[10:11]
.LBB27_111:
	s_or_b64 exec, exec, s[2:3]
	v_cmp_eq_u32_e32 vcc, 5, v13
	s_waitcnt lgkmcnt(0)
	s_and_saveexec_b64 s[2:3], vcc
	s_cbranch_execz .LBB27_113
; %bb.112:
	v_mov_b32_e32 v7, 0
	ds_read2_b64 v[8:11], v7 offset0:157 offset1:213
	s_mov_b32 s12, 0
	s_brev_b32 s13, 8
	v_mov_b32_e32 v17, 0x260
	s_waitcnt lgkmcnt(0)
	v_add_f64 v[0:1], v[8:9], -v[10:11]
	v_xor_b32_e32 v8, 0x80000000, v1
	v_cmp_gt_f64_e32 vcc, 0, v[0:1]
	s_nop 1
	v_cndmask_b32_e32 v1, v1, v8, vcc
	v_cmp_gt_f64_e32 vcc, s[12:13], v[0:1]
	s_and_b64 s[12:13], vcc, exec
	s_cselect_b32 s12, 0x100, 0
	v_ldexp_f64 v[0:1], v[0:1], s12
	v_rsq_f64_e32 v[8:9], v[0:1]
	s_cselect_b32 s12, 0xffffff80, 0
	v_cmp_class_f64_e32 vcc, v[0:1], v17
	v_mul_f64 v[10:11], v[0:1], v[8:9]
	v_mul_f64 v[8:9], v[8:9], 0.5
	v_fma_f64 v[18:19], -v[8:9], v[10:11], 0.5
	v_fmac_f64_e32 v[10:11], v[10:11], v[18:19]
	v_fmac_f64_e32 v[8:9], v[8:9], v[18:19]
	v_fma_f64 v[18:19], -v[10:11], v[10:11], v[0:1]
	v_fmac_f64_e32 v[10:11], v[18:19], v[8:9]
	v_fma_f64 v[18:19], -v[10:11], v[10:11], v[0:1]
	v_fmac_f64_e32 v[10:11], v[18:19], v[8:9]
	v_ldexp_f64 v[8:9], v[10:11], s12
	v_cndmask_b32_e32 v1, v9, v1, vcc
	v_cndmask_b32_e32 v0, v8, v0, vcc
	ds_write_b64 v7, v[0:1] offset:1256
.LBB27_113:
	s_or_b64 exec, exec, s[2:3]
	v_mov_b32_e32 v0, 0
	s_waitcnt lgkmcnt(0)
	ds_read_b64 v[0:1], v0 offset:1256
	v_mov_b32_e32 v7, 0x3ff00000
	s_waitcnt lgkmcnt(0)
	v_cmp_neq_f64_e32 vcc, 0, v[0:1]
	s_nop 1
	v_cndmask_b32_e32 v1, v7, v1, vcc
	s_nor_b64 s[12:13], vcc, s[0:1]
	v_cndmask_b32_e32 v0, 0, v0, vcc
	s_and_saveexec_b64 s[2:3], s[12:13]
	s_cbranch_execz .LBB27_117
; %bb.114:
	v_mbcnt_lo_u32_b32 v0, exec_lo, 0
	v_mbcnt_hi_u32_b32 v0, exec_hi, v0
	v_cmp_eq_u32_e32 vcc, 0, v0
	s_and_saveexec_b64 s[12:13], vcc
	s_cbranch_execz .LBB27_116
; %bb.115:
	v_mov_b32_e32 v0, 0
	v_mov_b32_e32 v1, s20
	global_atomic_smin v0, v1, s[10:11]
.LBB27_116:
	s_or_b64 exec, exec, s[12:13]
	v_mov_b64_e32 v[0:1], 1.0
.LBB27_117:
	s_or_b64 exec, exec, s[2:3]
	v_cmp_lt_u32_e32 vcc, 5, v13
	s_and_saveexec_b64 s[2:3], vcc
	s_cbranch_execz .LBB27_119
; %bb.118:
	ds_read_b64 v[8:9], v4 offset:40
	ds_read_b64 v[10:11], v16 offset:40
	s_waitcnt lgkmcnt(0)
	v_add_f64 v[8:9], v[8:9], -v[10:11]
	v_div_scale_f64 v[10:11], s[12:13], v[0:1], v[0:1], v[8:9]
	v_rcp_f64_e32 v[18:19], v[10:11]
	v_div_scale_f64 v[20:21], vcc, v[8:9], v[0:1], v[8:9]
	v_fma_f64 v[22:23], -v[10:11], v[18:19], 1.0
	v_fmac_f64_e32 v[18:19], v[18:19], v[22:23]
	v_fma_f64 v[22:23], -v[10:11], v[18:19], 1.0
	v_fmac_f64_e32 v[18:19], v[18:19], v[22:23]
	v_mul_f64 v[22:23], v[20:21], v[18:19]
	v_fma_f64 v[10:11], -v[10:11], v[22:23], v[20:21]
	v_div_fmas_f64 v[10:11], v[10:11], v[18:19], v[22:23]
	v_div_fixup_f64 v[0:1], v[10:11], v[0:1], v[8:9]
	ds_write_b64 v4, v[0:1] offset:40
	s_waitcnt lgkmcnt(0)
	ds_read_b64 v[8:9], v6 offset:40
	ds_read_b64 v[10:11], v15
	s_waitcnt lgkmcnt(0)
	v_fmac_f64_e32 v[10:11], v[0:1], v[8:9]
	ds_write_b64 v15, v[10:11]
.LBB27_119:
	s_or_b64 exec, exec, s[2:3]
	v_cmp_eq_u32_e32 vcc, 6, v13
	s_waitcnt lgkmcnt(0)
	s_and_saveexec_b64 s[2:3], vcc
	s_cbranch_execz .LBB27_121
; %bb.120:
	v_mov_b32_e32 v7, 0
	ds_read2_b64 v[8:11], v7 offset0:166 offset1:222
	s_mov_b32 s12, 0
	s_brev_b32 s13, 8
	v_mov_b32_e32 v17, 0x260
	s_waitcnt lgkmcnt(0)
	v_add_f64 v[0:1], v[8:9], -v[10:11]
	v_xor_b32_e32 v8, 0x80000000, v1
	v_cmp_gt_f64_e32 vcc, 0, v[0:1]
	s_nop 1
	v_cndmask_b32_e32 v1, v1, v8, vcc
	v_cmp_gt_f64_e32 vcc, s[12:13], v[0:1]
	s_and_b64 s[12:13], vcc, exec
	s_cselect_b32 s12, 0x100, 0
	v_ldexp_f64 v[0:1], v[0:1], s12
	v_rsq_f64_e32 v[8:9], v[0:1]
	s_cselect_b32 s12, 0xffffff80, 0
	v_cmp_class_f64_e32 vcc, v[0:1], v17
	v_mul_f64 v[10:11], v[0:1], v[8:9]
	v_mul_f64 v[8:9], v[8:9], 0.5
	v_fma_f64 v[18:19], -v[8:9], v[10:11], 0.5
	v_fmac_f64_e32 v[10:11], v[10:11], v[18:19]
	v_fmac_f64_e32 v[8:9], v[8:9], v[18:19]
	v_fma_f64 v[18:19], -v[10:11], v[10:11], v[0:1]
	v_fmac_f64_e32 v[10:11], v[18:19], v[8:9]
	v_fma_f64 v[18:19], -v[10:11], v[10:11], v[0:1]
	v_fmac_f64_e32 v[10:11], v[18:19], v[8:9]
	v_ldexp_f64 v[8:9], v[10:11], s12
	v_cndmask_b32_e32 v1, v9, v1, vcc
	v_cndmask_b32_e32 v0, v8, v0, vcc
	ds_write_b64 v7, v[0:1] offset:1328
.LBB27_121:
	s_or_b64 exec, exec, s[2:3]
	v_mov_b32_e32 v0, 0
	s_waitcnt lgkmcnt(0)
	ds_read_b64 v[0:1], v0 offset:1328
	v_mov_b32_e32 v7, 0x3ff00000
	s_waitcnt lgkmcnt(0)
	v_cmp_neq_f64_e32 vcc, 0, v[0:1]
	s_nop 1
	v_cndmask_b32_e32 v1, v7, v1, vcc
	s_nor_b64 s[2:3], vcc, s[0:1]
	v_cndmask_b32_e32 v0, 0, v0, vcc
	s_and_saveexec_b64 s[0:1], s[2:3]
	s_cbranch_execz .LBB27_125
; %bb.122:
	v_mbcnt_lo_u32_b32 v0, exec_lo, 0
	v_mbcnt_hi_u32_b32 v0, exec_hi, v0
	v_cmp_eq_u32_e32 vcc, 0, v0
	s_and_saveexec_b64 s[2:3], vcc
	s_cbranch_execz .LBB27_124
; %bb.123:
	v_mov_b32_e32 v0, 0
	v_mov_b32_e32 v1, s20
	global_atomic_smin v0, v1, s[10:11]
.LBB27_124:
	s_or_b64 exec, exec, s[2:3]
	v_mov_b64_e32 v[0:1], 1.0
.LBB27_125:
	s_or_b64 exec, exec, s[0:1]
	v_cmp_lt_u32_e32 vcc, 6, v13
	s_and_saveexec_b64 s[0:1], vcc
	s_cbranch_execz .LBB27_127
; %bb.126:
	ds_read_b64 v[8:9], v4 offset:48
	ds_read_b64 v[10:11], v16 offset:48
	s_waitcnt lgkmcnt(0)
	v_add_f64 v[8:9], v[8:9], -v[10:11]
	v_div_scale_f64 v[10:11], s[2:3], v[0:1], v[0:1], v[8:9]
	v_rcp_f64_e32 v[16:17], v[10:11]
	v_div_scale_f64 v[18:19], vcc, v[8:9], v[0:1], v[8:9]
	v_fma_f64 v[20:21], -v[10:11], v[16:17], 1.0
	v_fmac_f64_e32 v[16:17], v[16:17], v[20:21]
	v_fma_f64 v[20:21], -v[10:11], v[16:17], 1.0
	v_fmac_f64_e32 v[16:17], v[16:17], v[20:21]
	v_mul_f64 v[20:21], v[18:19], v[16:17]
	v_fma_f64 v[10:11], -v[10:11], v[20:21], v[18:19]
	v_div_fmas_f64 v[10:11], v[10:11], v[16:17], v[20:21]
	v_div_fixup_f64 v[0:1], v[10:11], v[0:1], v[8:9]
	ds_write_b64 v4, v[0:1] offset:48
	s_waitcnt lgkmcnt(0)
	ds_read_b64 v[6:7], v6 offset:48
	ds_read_b64 v[8:9], v15
	s_waitcnt lgkmcnt(0)
	v_fmac_f64_e32 v[8:9], v[0:1], v[6:7]
	ds_write_b64 v15, v[8:9]
.LBB27_127:
	s_or_b64 exec, exec, s[0:1]
	s_waitcnt lgkmcnt(0)
	ds_read_b64 v[0:1], v2
	s_andn2_b64 vcc, exec, s[4:5]
	s_cbranch_vccnz .LBB27_129
; %bb.128:
	v_mov_b32_e32 v14, v3
.LBB27_129:
	v_add_u32_e32 v2, s30, v14
	v_ashrrev_i32_e32 v3, 31, v2
	v_lshl_add_u64 v[2:3], v[2:3], 3, s[18:19]
	v_cmp_eq_u32_e32 vcc, 0, v5
	s_waitcnt lgkmcnt(0)
	global_store_dwordx2 v[2:3], v[0:1], off
	s_and_saveexec_b64 s[0:1], vcc
	s_cbranch_execz .LBB27_131
; %bb.130:
	s_add_u32 s2, s6, s8
	s_addc_u32 s3, s7, s9
	v_mov_b32_e32 v0, 0
	v_mov_b32_e32 v1, 1
	buffer_wbl2 sc1
	s_waitcnt vmcnt(0)
	global_store_dword v0, v1, s[2:3] sc1
.LBB27_131:
	s_or_b64 exec, exec, s[0:1]
.LBB27_132:
	s_endpgm
.LBB27_133:
	s_cbranch_execz .LBB27_132
; %bb.134:
	v_or_b32_e32 v0, v12, v13
	v_cmp_eq_u32_e32 vcc, 0, v0
	s_and_saveexec_b64 s[0:1], vcc
	s_cbranch_execz .LBB27_132
; %bb.135:
	v_mbcnt_lo_u32_b32 v0, exec_lo, 0
	v_mbcnt_hi_u32_b32 v0, exec_hi, v0
	v_cmp_eq_u32_e32 vcc, 0, v0
	s_and_saveexec_b64 s[0:1], vcc
	s_cbranch_execz .LBB27_137
; %bb.136:
	s_add_i32 s2, s16, s17
	v_mov_b32_e32 v0, 0
	v_mov_b32_e32 v1, s2
	global_atomic_smin v0, v1, s[10:11]
.LBB27_137:
	s_or_b64 exec, exec, s[0:1]
	s_add_u32 s0, s6, s8
	s_addc_u32 s1, s7, s9
	v_mov_b32_e32 v0, 0
	v_mov_b32_e32 v1, 1
	buffer_wbl2 sc1
	s_waitcnt vmcnt(0)
	global_store_dword v0, v1, s[0:1] sc1
	s_endpgm
	.section	.rodata,"a",@progbits
	.p2align	6, 0x0
	.amdhsa_kernel _ZN9rocsparseL26bsric0_2_8_unrolled_kernelILi49ELi32ELi7EdEEv20rocsparse_direction_iiPKiS3_PT2_S3_PiS3_S6_21rocsparse_index_base_
		.amdhsa_group_segment_fixed_size 2176
		.amdhsa_private_segment_fixed_size 0
		.amdhsa_kernarg_size 76
		.amdhsa_user_sgpr_count 2
		.amdhsa_user_sgpr_dispatch_ptr 0
		.amdhsa_user_sgpr_queue_ptr 0
		.amdhsa_user_sgpr_kernarg_segment_ptr 1
		.amdhsa_user_sgpr_dispatch_id 0
		.amdhsa_user_sgpr_kernarg_preload_length 0
		.amdhsa_user_sgpr_kernarg_preload_offset 0
		.amdhsa_user_sgpr_private_segment_size 0
		.amdhsa_uses_dynamic_stack 0
		.amdhsa_enable_private_segment 0
		.amdhsa_system_sgpr_workgroup_id_x 1
		.amdhsa_system_sgpr_workgroup_id_y 0
		.amdhsa_system_sgpr_workgroup_id_z 0
		.amdhsa_system_sgpr_workgroup_info 0
		.amdhsa_system_vgpr_workitem_id 1
		.amdhsa_next_free_vgpr 68
		.amdhsa_next_free_sgpr 40
		.amdhsa_accum_offset 68
		.amdhsa_reserve_vcc 1
		.amdhsa_float_round_mode_32 0
		.amdhsa_float_round_mode_16_64 0
		.amdhsa_float_denorm_mode_32 3
		.amdhsa_float_denorm_mode_16_64 3
		.amdhsa_dx10_clamp 1
		.amdhsa_ieee_mode 1
		.amdhsa_fp16_overflow 0
		.amdhsa_tg_split 0
		.amdhsa_exception_fp_ieee_invalid_op 0
		.amdhsa_exception_fp_denorm_src 0
		.amdhsa_exception_fp_ieee_div_zero 0
		.amdhsa_exception_fp_ieee_overflow 0
		.amdhsa_exception_fp_ieee_underflow 0
		.amdhsa_exception_fp_ieee_inexact 0
		.amdhsa_exception_int_div_zero 0
	.end_amdhsa_kernel
	.section	.text._ZN9rocsparseL26bsric0_2_8_unrolled_kernelILi49ELi32ELi7EdEEv20rocsparse_direction_iiPKiS3_PT2_S3_PiS3_S6_21rocsparse_index_base_,"axG",@progbits,_ZN9rocsparseL26bsric0_2_8_unrolled_kernelILi49ELi32ELi7EdEEv20rocsparse_direction_iiPKiS3_PT2_S3_PiS3_S6_21rocsparse_index_base_,comdat
.Lfunc_end27:
	.size	_ZN9rocsparseL26bsric0_2_8_unrolled_kernelILi49ELi32ELi7EdEEv20rocsparse_direction_iiPKiS3_PT2_S3_PiS3_S6_21rocsparse_index_base_, .Lfunc_end27-_ZN9rocsparseL26bsric0_2_8_unrolled_kernelILi49ELi32ELi7EdEEv20rocsparse_direction_iiPKiS3_PT2_S3_PiS3_S6_21rocsparse_index_base_
                                        ; -- End function
	.set _ZN9rocsparseL26bsric0_2_8_unrolled_kernelILi49ELi32ELi7EdEEv20rocsparse_direction_iiPKiS3_PT2_S3_PiS3_S6_21rocsparse_index_base_.num_vgpr, 68
	.set _ZN9rocsparseL26bsric0_2_8_unrolled_kernelILi49ELi32ELi7EdEEv20rocsparse_direction_iiPKiS3_PT2_S3_PiS3_S6_21rocsparse_index_base_.num_agpr, 0
	.set _ZN9rocsparseL26bsric0_2_8_unrolled_kernelILi49ELi32ELi7EdEEv20rocsparse_direction_iiPKiS3_PT2_S3_PiS3_S6_21rocsparse_index_base_.numbered_sgpr, 40
	.set _ZN9rocsparseL26bsric0_2_8_unrolled_kernelILi49ELi32ELi7EdEEv20rocsparse_direction_iiPKiS3_PT2_S3_PiS3_S6_21rocsparse_index_base_.num_named_barrier, 0
	.set _ZN9rocsparseL26bsric0_2_8_unrolled_kernelILi49ELi32ELi7EdEEv20rocsparse_direction_iiPKiS3_PT2_S3_PiS3_S6_21rocsparse_index_base_.private_seg_size, 0
	.set _ZN9rocsparseL26bsric0_2_8_unrolled_kernelILi49ELi32ELi7EdEEv20rocsparse_direction_iiPKiS3_PT2_S3_PiS3_S6_21rocsparse_index_base_.uses_vcc, 1
	.set _ZN9rocsparseL26bsric0_2_8_unrolled_kernelILi49ELi32ELi7EdEEv20rocsparse_direction_iiPKiS3_PT2_S3_PiS3_S6_21rocsparse_index_base_.uses_flat_scratch, 0
	.set _ZN9rocsparseL26bsric0_2_8_unrolled_kernelILi49ELi32ELi7EdEEv20rocsparse_direction_iiPKiS3_PT2_S3_PiS3_S6_21rocsparse_index_base_.has_dyn_sized_stack, 0
	.set _ZN9rocsparseL26bsric0_2_8_unrolled_kernelILi49ELi32ELi7EdEEv20rocsparse_direction_iiPKiS3_PT2_S3_PiS3_S6_21rocsparse_index_base_.has_recursion, 0
	.set _ZN9rocsparseL26bsric0_2_8_unrolled_kernelILi49ELi32ELi7EdEEv20rocsparse_direction_iiPKiS3_PT2_S3_PiS3_S6_21rocsparse_index_base_.has_indirect_call, 0
	.section	.AMDGPU.csdata,"",@progbits
; Kernel info:
; codeLenInByte = 8616
; TotalNumSgprs: 46
; NumVgprs: 68
; NumAgprs: 0
; TotalNumVgprs: 68
; ScratchSize: 0
; MemoryBound: 1
; FloatMode: 240
; IeeeMode: 1
; LDSByteSize: 2176 bytes/workgroup (compile time only)
; SGPRBlocks: 5
; VGPRBlocks: 8
; NumSGPRsForWavesPerEU: 46
; NumVGPRsForWavesPerEU: 68
; AccumOffset: 68
; Occupancy: 7
; WaveLimiterHint : 1
; COMPUTE_PGM_RSRC2:SCRATCH_EN: 0
; COMPUTE_PGM_RSRC2:USER_SGPR: 2
; COMPUTE_PGM_RSRC2:TRAP_HANDLER: 0
; COMPUTE_PGM_RSRC2:TGID_X_EN: 1
; COMPUTE_PGM_RSRC2:TGID_Y_EN: 0
; COMPUTE_PGM_RSRC2:TGID_Z_EN: 0
; COMPUTE_PGM_RSRC2:TIDIG_COMP_CNT: 1
; COMPUTE_PGM_RSRC3_GFX90A:ACCUM_OFFSET: 16
; COMPUTE_PGM_RSRC3_GFX90A:TG_SPLIT: 0
	.section	.text._ZN9rocsparseL26bsric0_2_8_unrolled_kernelILi64ELi32ELi8EdEEv20rocsparse_direction_iiPKiS3_PT2_S3_PiS3_S6_21rocsparse_index_base_,"axG",@progbits,_ZN9rocsparseL26bsric0_2_8_unrolled_kernelILi64ELi32ELi8EdEEv20rocsparse_direction_iiPKiS3_PT2_S3_PiS3_S6_21rocsparse_index_base_,comdat
	.globl	_ZN9rocsparseL26bsric0_2_8_unrolled_kernelILi64ELi32ELi8EdEEv20rocsparse_direction_iiPKiS3_PT2_S3_PiS3_S6_21rocsparse_index_base_ ; -- Begin function _ZN9rocsparseL26bsric0_2_8_unrolled_kernelILi64ELi32ELi8EdEEv20rocsparse_direction_iiPKiS3_PT2_S3_PiS3_S6_21rocsparse_index_base_
	.p2align	8
	.type	_ZN9rocsparseL26bsric0_2_8_unrolled_kernelILi64ELi32ELi8EdEEv20rocsparse_direction_iiPKiS3_PT2_S3_PiS3_S6_21rocsparse_index_base_,@function
_ZN9rocsparseL26bsric0_2_8_unrolled_kernelILi64ELi32ELi8EdEEv20rocsparse_direction_iiPKiS3_PT2_S3_PiS3_S6_21rocsparse_index_base_: ; @_ZN9rocsparseL26bsric0_2_8_unrolled_kernelILi64ELi32ELi8EdEEv20rocsparse_direction_iiPKiS3_PT2_S3_PiS3_S6_21rocsparse_index_base_
; %bb.0:
	s_load_dwordx8 s[4:11], s[0:1], 0x28
	s_mov_b32 s3, 0
	s_lshl_b64 s[2:3], s[2:3], 2
	v_and_b32_e32 v8, 0x3ff, v0
	v_bfe_u32 v9, v0, 10, 10
	s_waitcnt lgkmcnt(0)
	s_add_u32 s2, s8, s2
	s_addc_u32 s3, s9, s3
	s_load_dword s16, s[2:3], 0x0
	s_waitcnt lgkmcnt(0)
	s_ashr_i32 s17, s16, 31
	s_lshl_b64 s[8:9], s[16:17], 2
	s_add_u32 s2, s4, s8
	s_addc_u32 s3, s5, s9
	s_load_dword s30, s[2:3], 0x0
	s_load_dword s17, s[0:1], 0x48
	s_waitcnt lgkmcnt(0)
	s_cmp_lg_u32 s30, -1
	s_cbranch_scc0 .LBB28_16
; %bb.1:
	s_load_dwordx4 s[12:15], s[0:1], 0x10
	v_lshlrev_b32_e32 v14, 3, v9
	v_add_u32_e32 v13, v14, v8
	s_waitcnt lgkmcnt(0)
	s_add_u32 s2, s12, s8
	s_addc_u32 s3, s13, s9
	s_load_dword s24, s[2:3], 0x0
	s_waitcnt lgkmcnt(0)
	s_sub_i32 s31, s24, s17
	v_add_u32_e32 v0, s31, v13
	v_cmp_ge_i32_e32 vcc, s30, v0
	s_and_saveexec_b64 s[2:3], vcc
	s_cbranch_execz .LBB28_14
; %bb.2:
	v_add_u32_e32 v1, s24, v13
	v_subrev_u32_e32 v1, s17, v1
	v_add_u32_e32 v1, 64, v1
	s_add_i32 s18, s30, 1
	v_max_i32_e32 v1, s18, v1
	v_not_b32_e32 v2, v8
	v_add3_u32 v1, s17, v1, v2
	v_add_u32_e32 v2, s24, v14
	v_sub_u32_e32 v1, v1, v2
	v_cmp_lt_u32_e32 vcc, 63, v1
	s_mov_b64 s[20:21], -1
	s_and_saveexec_b64 s[18:19], vcc
	s_cbranch_execz .LBB28_11
; %bb.3:
	v_lshrrev_b32_e32 v4, 6, v1
	v_add_u32_e32 v2, -1, v4
	v_add_u32_e32 v1, 64, v0
	v_lshrrev_b32_e32 v3, 1, v2
	v_add_u32_e32 v5, 1, v3
	v_cmp_lt_u32_e32 vcc, 13, v2
	v_mov_b64_e32 v[2:3], v[0:1]
	s_and_saveexec_b64 s[20:21], vcc
	s_cbranch_execz .LBB28_7
; %bb.4:
	v_and_b32_e32 v6, -8, v5
	s_mov_b64 s[22:23], 0
	v_mov_b64_e32 v[2:3], v[0:1]
.LBB28_5:                               ; =>This Inner Loop Header: Depth=1
	v_ashrrev_i32_e32 v17, 31, v2
	v_mov_b32_e32 v16, v2
	v_ashrrev_i32_e32 v11, 31, v3
	v_mov_b32_e32 v10, v3
	v_add_u32_e32 v18, 0x80, v2
	v_add_u32_e32 v20, 0x80, v3
	v_lshl_add_u64 v[16:17], v[16:17], 2, s[14:15]
	v_add_u32_e32 v22, 0x100, v2
	v_add_u32_e32 v24, 0x100, v3
	;; [unrolled: 1-line block ×12, first 2 shown]
	v_lshl_add_u64 v[10:11], v[10:11], 2, s[14:15]
	v_ashrrev_i32_e32 v21, 31, v20
	v_ashrrev_i32_e32 v19, 31, v18
	global_load_dword v1, v[16:17], off
	global_load_dword v7, v[10:11], off
	v_ashrrev_i32_e32 v25, 31, v24
	v_ashrrev_i32_e32 v23, 31, v22
	;; [unrolled: 1-line block ×12, first 2 shown]
	v_lshl_add_u64 v[10:11], v[18:19], 2, s[14:15]
	v_lshl_add_u64 v[16:17], v[20:21], 2, s[14:15]
	v_lshl_add_u64 v[46:47], v[22:23], 2, s[14:15]
	v_lshl_add_u64 v[48:49], v[24:25], 2, s[14:15]
	v_lshl_add_u64 v[50:51], v[26:27], 2, s[14:15]
	v_lshl_add_u64 v[52:53], v[28:29], 2, s[14:15]
	v_lshl_add_u64 v[54:55], v[30:31], 2, s[14:15]
	v_lshl_add_u64 v[56:57], v[32:33], 2, s[14:15]
	v_lshl_add_u64 v[58:59], v[34:35], 2, s[14:15]
	v_lshl_add_u64 v[60:61], v[36:37], 2, s[14:15]
	v_lshl_add_u64 v[62:63], v[38:39], 2, s[14:15]
	v_lshl_add_u64 v[64:65], v[40:41], 2, s[14:15]
	v_lshl_add_u64 v[66:67], v[42:43], 2, s[14:15]
	global_load_dword v12, v[16:17], off
	v_lshl_add_u64 v[16:17], v[44:45], 2, s[14:15]
	global_load_dword v15, v[10:11], off
	global_load_dword v19, v[48:49], off
	;; [unrolled: 1-line block ×13, first 2 shown]
	v_subrev_u32_e32 v11, s31, v2
	v_add_u32_e32 v6, -8, v6
	v_subrev_u32_e32 v10, s31, v3
	v_lshlrev_b32_e32 v11, 2, v11
	v_subrev_u32_e32 v17, s31, v18
	v_cmp_eq_u32_e32 vcc, 0, v6
	v_add_u32_e32 v3, 0x400, v3
	v_add_u32_e32 v2, 0x400, v2
	v_lshlrev_b32_e32 v10, 2, v10
	v_subrev_u32_e32 v16, s31, v20
	v_subrev_u32_e32 v18, s31, v24
	;; [unrolled: 1-line block ×13, first 2 shown]
	v_lshlrev_b32_e32 v17, 2, v17
	s_or_b64 s[22:23], vcc, s[22:23]
	v_lshlrev_b32_e32 v16, 2, v16
	v_lshlrev_b32_e32 v20, 2, v20
	;; [unrolled: 1-line block ×13, first 2 shown]
	s_waitcnt vmcnt(15)
	v_subrev_u32_e32 v1, s17, v1
	s_waitcnt vmcnt(14)
	v_subrev_u32_e32 v7, s17, v7
	ds_write_b32 v11, v1 offset:2560
	ds_write_b32 v10, v7 offset:2560
	s_waitcnt vmcnt(12)
	v_subrev_u32_e32 v7, s17, v15
	s_waitcnt vmcnt(11)
	v_subrev_u32_e32 v10, s17, v19
	;; [unrolled: 2-line block ×8, first 2 shown]
	v_subrev_u32_e32 v1, s17, v12
	v_subrev_u32_e32 v12, s17, v23
	;; [unrolled: 1-line block ×3, first 2 shown]
	s_waitcnt vmcnt(2)
	v_subrev_u32_e32 v29, s17, v37
	s_waitcnt vmcnt(1)
	v_subrev_u32_e32 v31, s17, v39
	;; [unrolled: 2-line block ×3, first 2 shown]
	ds_write_b32 v17, v7 offset:2560
	ds_write_b32 v16, v1 offset:2560
	;; [unrolled: 1-line block ×14, first 2 shown]
	s_andn2_b64 exec, exec, s[22:23]
	s_cbranch_execnz .LBB28_5
; %bb.6:
	s_or_b64 exec, exec, s[22:23]
.LBB28_7:
	s_or_b64 exec, exec, s[20:21]
	v_and_b32_e32 v1, 7, v5
	v_cmp_ne_u32_e32 vcc, 0, v1
	s_and_saveexec_b64 s[20:21], vcc
	s_cbranch_execz .LBB28_10
; %bb.8:
	s_mov_b64 s[22:23], 0
.LBB28_9:                               ; =>This Inner Loop Header: Depth=1
	v_ashrrev_i32_e32 v7, 31, v3
	v_mov_b32_e32 v6, v3
	v_ashrrev_i32_e32 v11, 31, v2
	v_mov_b32_e32 v10, v2
	v_lshl_add_u64 v[6:7], v[6:7], 2, s[14:15]
	v_lshl_add_u64 v[10:11], v[10:11], 2, s[14:15]
	global_load_dword v5, v[6:7], off
	global_load_dword v12, v[10:11], off
	v_add_u32_e32 v1, -1, v1
	v_subrev_u32_e32 v7, s31, v2
	v_cmp_eq_u32_e32 vcc, 0, v1
	v_subrev_u32_e32 v6, s31, v3
	v_add_u32_e32 v3, 0x80, v3
	v_add_u32_e32 v2, 0x80, v2
	v_lshlrev_b32_e32 v7, 2, v7
	s_or_b64 s[22:23], vcc, s[22:23]
	v_lshlrev_b32_e32 v6, 2, v6
	s_waitcnt vmcnt(1)
	v_subrev_u32_e32 v5, s17, v5
	s_waitcnt vmcnt(0)
	v_subrev_u32_e32 v10, s17, v12
	ds_write_b32 v7, v10 offset:2560
	ds_write_b32 v6, v5 offset:2560
	s_andn2_b64 exec, exec, s[22:23]
	s_cbranch_execnz .LBB28_9
.LBB28_10:
	s_or_b64 exec, exec, s[20:21]
	v_add_u32_e32 v1, 1, v4
	v_and_b32_e32 v2, 0x7fffffe, v1
	v_cmp_ne_u32_e32 vcc, v1, v2
	v_lshl_add_u32 v0, v2, 6, v0
	s_orn2_b64 s[20:21], vcc, exec
.LBB28_11:
	s_or_b64 exec, exec, s[18:19]
	s_and_b64 exec, exec, s[20:21]
	s_cbranch_execz .LBB28_14
; %bb.12:
	v_add_u32_e32 v1, s17, v0
	v_subrev_u32_e32 v1, s24, v1
	v_mov_b32_e32 v2, 0xa00
	v_lshl_add_u32 v4, v1, 2, v2
	v_ashrrev_i32_e32 v1, 31, v0
	v_lshl_add_u64 v[2:3], v[0:1], 2, s[14:15]
	s_mov_b64 s[18:19], 0
	s_mov_b64 s[20:21], 0x100
.LBB28_13:                              ; =>This Inner Loop Header: Depth=1
	global_load_dword v1, v[2:3], off
	v_add_u32_e32 v0, 64, v0
	v_cmp_lt_i32_e32 vcc, s30, v0
	v_lshl_add_u64 v[2:3], v[2:3], 0, s[20:21]
	s_or_b64 s[18:19], vcc, s[18:19]
	s_waitcnt vmcnt(0)
	v_subrev_u32_e32 v1, s17, v1
	ds_write_b32 v4, v1
	v_add_u32_e32 v4, 0x100, v4
	s_andn2_b64 exec, exec, s[18:19]
	s_cbranch_execnz .LBB28_13
.LBB28_14:
	s_or_b64 exec, exec, s[2:3]
	s_load_dwordx2 s[2:3], s[0:1], 0x20
	s_movk_i32 s18, 0x48
	v_mov_b32_e32 v0, 0x6c0
	v_mad_u32_u24 v12, v9, s18, v0
	v_mov_b32_e32 v0, 0
	v_lshl_add_u32 v10, v8, 3, v12
	v_mov_b32_e32 v1, v0
	s_cmp_lt_i32 s31, s30
	ds_write_b64 v10, v[0:1]
	s_waitcnt lgkmcnt(0)
	s_cbranch_scc1 .LBB28_18
; %bb.15:
	v_lshl_add_u32 v15, v8, 3, v9
	v_or_b32_e32 v11, v8, v9
	s_load_dword s33, s[0:1], 0x0
	s_cbranch_execz .LBB28_19
	s_branch .LBB28_77
.LBB28_16:
	s_cbranch_execnz .LBB28_144
.LBB28_17:
	s_endpgm
.LBB28_18:
                                        ; implicit-def: $vgpr15
                                        ; implicit-def: $vgpr11
	s_load_dword s33, s[0:1], 0x0
.LBB28_19:
	s_waitcnt lgkmcnt(0)
	s_cmp_lg_u32 s33, 0
	s_cselect_b64 s[18:19], -1, 0
	s_cmp_eq_u32 s33, 0
	v_lshlrev_b32_e32 v16, 3, v8
	s_movk_i32 s0, 0x48
	v_mov_b32_e32 v0, 0x480
	v_mov_b32_e32 v1, 0x240
	v_add_u32_e32 v15, v16, v9
	v_mad_u32_u24 v17, v9, s0, v0
	v_mad_u32_u24 v20, v9, s0, v1
	v_or_b32_e32 v11, v8, v9
	s_cselect_b64 vcc, -1, 0
	v_add_u32_e32 v18, v17, v16
	v_mad_u32_u24 v19, v9, s0, v16
	v_add_u32_e32 v21, v20, v16
	v_mad_u32_u24 v22, v8, s0, v0
	v_cmp_ne_u32_e64 s[0:1], 0, v11
	v_cndmask_b32_e32 v23, v15, v13, vcc
	v_mov_b32_e32 v24, 0
	v_mov_b32_e32 v25, 0x3ff00000
	s_mov_b32 s20, s31
	s_branch .LBB28_22
.LBB28_20:                              ;   in Loop: Header=BB28_22 Depth=1
	s_or_b64 exec, exec, s[24:25]
	v_mov_b64_e32 v[4:5], 1.0
.LBB28_21:                              ;   in Loop: Header=BB28_22 Depth=1
	s_or_b64 exec, exec, s[22:23]
	ds_read_b64 v[6:7], v24 offset:552
	ds_read2_b64 v[26:29], v17 offset0:2 offset1:3
	ds_read2_b64 v[30:33], v17 offset1:1
	ds_read2_b64 v[34:37], v24 offset0:63 offset1:64
	ds_read_b64 v[50:51], v20 offset:56
	ds_read2_b64 v[38:41], v24 offset0:67 offset1:68
	ds_read2_b64 v[42:45], v24 offset0:65 offset1:66
	ds_read_b64 v[52:53], v17 offset:48
	ds_read2_b64 v[46:49], v17 offset0:4 offset1:5
	s_waitcnt lgkmcnt(4)
	v_fmac_f64_e32 v[50:51], v[34:35], v[30:31]
	v_fmac_f64_e32 v[50:51], v[36:37], v[32:33]
	s_waitcnt lgkmcnt(2)
	v_fmac_f64_e32 v[50:51], v[42:43], v[26:27]
	v_fmac_f64_e32 v[50:51], v[44:45], v[28:29]
	;; [unrolled: 3-line block ×3, first 2 shown]
	v_fmac_f64_e32 v[50:51], v[6:7], v[52:53]
	v_add_f64 v[2:3], v[2:3], -v[50:51]
	v_div_scale_f64 v[6:7], s[22:23], v[4:5], v[4:5], v[2:3]
	v_rcp_f64_e32 v[26:27], v[6:7]
	s_add_i32 s20, s20, 1
	s_cmp_ge_i32 s20, s30
	s_cselect_b64 s[22:23], -1, 0
	v_fma_f64 v[28:29], -v[6:7], v[26:27], 1.0
	v_fmac_f64_e32 v[26:27], v[26:27], v[28:29]
	v_fma_f64 v[28:29], -v[6:7], v[26:27], 1.0
	v_fmac_f64_e32 v[26:27], v[26:27], v[28:29]
	v_div_scale_f64 v[28:29], vcc, v[2:3], v[4:5], v[2:3]
	v_mul_f64 v[30:31], v[28:29], v[26:27]
	v_fma_f64 v[6:7], -v[6:7], v[30:31], v[28:29]
	s_nop 1
	v_div_fmas_f64 v[6:7], v[6:7], v[26:27], v[30:31]
	v_div_fixup_f64 v[2:3], v[6:7], v[4:5], v[2:3]
	ds_write_b64 v17, v[2:3] offset:56
	s_waitcnt lgkmcnt(0)
	ds_read_b64 v[4:5], v22 offset:56
	ds_read_b64 v[6:7], v10
	s_waitcnt lgkmcnt(0)
	v_fmac_f64_e32 v[6:7], v[2:3], v[4:5]
	ds_write_b64 v10, v[6:7]
	s_waitcnt lgkmcnt(0)
	ds_read_b64 v[2:3], v18
	s_waitcnt lgkmcnt(0)
	global_store_dwordx2 v[0:1], v[2:3], off
	buffer_wbl2 sc1
	s_waitcnt vmcnt(0)
	buffer_inv sc1
	s_and_b64 vcc, exec, s[22:23]
	s_cbranch_vccnz .LBB28_77
.LBB28_22:                              ; =>This Loop Header: Depth=1
                                        ;     Child Loop BB28_25 Depth 2
                                        ;     Child Loop BB28_36 Depth 2
	;; [unrolled: 1-line block ×3, first 2 shown]
	s_ashr_i32 s21, s20, 31
	s_lshl_b64 s[22:23], s[20:21], 2
	s_add_u32 s22, s14, s22
	s_addc_u32 s23, s15, s23
	s_load_dword s21, s[22:23], 0x0
	s_waitcnt lgkmcnt(0)
	s_sub_i32 s24, s21, s17
	s_ashr_i32 s25, s24, 31
	s_lshl_b64 s[22:23], s[24:25], 2
	s_add_u32 s26, s4, s22
	s_addc_u32 s27, s5, s23
	s_load_dword s25, s[26:27], 0x0
	s_waitcnt lgkmcnt(0)
	s_cmp_eq_u32 s25, -1
	s_cbranch_scc1 .LBB28_76
; %bb.23:                               ;   in Loop: Header=BB28_22 Depth=1
	v_lshl_add_u32 v0, s20, 6, v23
	v_ashrrev_i32_e32 v1, 31, v0
	v_lshl_add_u64 v[0:1], v[0:1], 3, s[2:3]
	global_load_dwordx2 v[2:3], v[0:1], off
	s_add_u32 s26, s12, s22
	s_addc_u32 s27, s13, s23
	s_load_dword s26, s[26:27], 0x0
	ds_read_b32 v4, v24 offset:2560
	s_mov_b32 s27, 0
	s_waitcnt lgkmcnt(0)
	s_sub_i32 s26, s26, s17
	s_cmp_le_i32 s26, s25
	v_cmp_ge_i32_e32 vcc, s24, v4
	s_cselect_b64 s[28:29], -1, 0
	s_and_b64 s[28:29], s[28:29], vcc
	s_andn2_b64 vcc, exec, s[28:29]
	s_waitcnt vmcnt(0)
	ds_write_b64 v18, v[2:3]
	s_cbranch_vccnz .LBB28_35
; %bb.24:                               ;   in Loop: Header=BB28_22 Depth=1
	s_mov_b32 s34, 0
	s_mov_b32 s35, 0
.LBB28_25:                              ;   Parent Loop BB28_22 Depth=1
                                        ; =>  This Inner Loop Header: Depth=2
	s_ashr_i32 s27, s26, 31
	s_lshl_b64 s[28:29], s[26:27], 2
	s_add_u32 s28, s14, s28
	s_addc_u32 s29, s15, s29
	s_load_dword s27, s[28:29], 0x0
	s_lshl_b32 s28, s35, 2
	v_mov_b32_e32 v2, s28
	ds_read_b32 v2, v2 offset:2560
	s_mov_b64 s[28:29], -1
	s_waitcnt lgkmcnt(0)
	s_sub_i32 s39, s27, s17
                                        ; implicit-def: $sgpr27
                                        ; implicit-def: $sgpr38
                                        ; implicit-def: $sgpr37
	v_cmp_ge_i32_e32 vcc, s39, v2
	v_readfirstlane_b32 s36, v2
	s_cbranch_vccz .LBB28_31
; %bb.26:                               ;   in Loop: Header=BB28_25 Depth=2
	s_cmp_le_i32 s39, s36
                                        ; implicit-def: $sgpr27
                                        ; implicit-def: $sgpr38
                                        ; implicit-def: $sgpr37
	s_cbranch_scc0 .LBB28_28
; %bb.27:                               ;   in Loop: Header=BB28_25 Depth=2
	s_add_i32 s27, s35, s31
	s_lshl_b32 s27, s27, 6
	s_lshl_b32 s28, s34, 2
	v_mov_b32_e32 v2, s28
	v_mov_b32_e32 v3, s27
	s_lshl_b32 s27, s26, 6
	v_mov_b32_e32 v4, s27
	v_add_u32_e32 v2, 0x800, v2
	ds_write2_b32 v2, v4, v3 offset0:64 offset1:96
	s_add_i32 s37, s35, 1
	s_add_i32 s38, s26, 1
	;; [unrolled: 1-line block ×3, first 2 shown]
	s_mov_b64 s[28:29], 0
.LBB28_28:                              ;   in Loop: Header=BB28_25 Depth=2
	s_andn2_b64 vcc, exec, s[28:29]
	s_cbranch_vccnz .LBB28_30
; %bb.29:                               ;   in Loop: Header=BB28_25 Depth=2
	s_add_i32 s37, s35, 1
	s_mov_b32 s27, s34
	s_mov_b32 s38, s26
.LBB28_30:                              ;   in Loop: Header=BB28_25 Depth=2
	s_mov_b64 s[28:29], 0
.LBB28_31:                              ;   in Loop: Header=BB28_25 Depth=2
	s_andn2_b64 vcc, exec, s[28:29]
	s_cbranch_vccnz .LBB28_33
; %bb.32:                               ;   in Loop: Header=BB28_25 Depth=2
	s_add_i32 s38, s26, 1
	s_mov_b32 s37, s35
	s_mov_b32 s27, s34
.LBB28_33:                              ;   in Loop: Header=BB28_25 Depth=2
	s_cmp_le_i32 s38, s25
	s_cselect_b64 s[28:29], -1, 0
	s_cmp_le_i32 s36, s24
	s_cselect_b64 s[34:35], -1, 0
	s_and_b64 s[28:29], s[28:29], s[34:35]
	s_and_b64 vcc, exec, s[28:29]
	s_cbranch_vccz .LBB28_35
; %bb.34:                               ;   in Loop: Header=BB28_25 Depth=2
	s_mov_b32 s34, s27
	s_mov_b32 s26, s38
	;; [unrolled: 1-line block ×3, first 2 shown]
	s_branch .LBB28_25
.LBB28_35:                              ;   in Loop: Header=BB28_22 Depth=1
	s_add_u32 s22, s6, s22
	s_addc_u32 s23, s7, s23
	s_waitcnt lgkmcnt(0)
.LBB28_36:                              ;   Parent Loop BB28_22 Depth=1
                                        ; =>  This Inner Loop Header: Depth=2
	global_load_dword v2, v24, s[22:23] sc1
	s_waitcnt vmcnt(0)
	v_cmp_eq_u32_e32 vcc, 0, v2
	s_cbranch_vccnz .LBB28_36
; %bb.37:                               ;   in Loop: Header=BB28_22 Depth=1
	v_lshl_add_u32 v2, s25, 6, v23
	v_ashrrev_i32_e32 v3, 31, v2
	v_lshl_add_u64 v[2:3], v[2:3], 3, s[2:3]
	buffer_inv sc1
	global_load_dwordx2 v[2:3], v[2:3], off
	s_cmp_lt_i32 s27, 2
	v_mov_b64_e32 v[6:7], 0
	s_waitcnt vmcnt(0)
	ds_write_b64 v19, v[2:3]
	s_waitcnt lgkmcnt(0)
	s_cbranch_scc1 .LBB28_45
; %bb.38:                               ;   in Loop: Header=BB28_22 Depth=1
	s_add_i32 s24, s27, -1
	v_mov_b64_e32 v[2:3], 0
	s_movk_i32 s25, 0x900
.LBB28_39:                              ;   Parent Loop BB28_22 Depth=1
                                        ; =>  This Inner Loop Header: Depth=2
	s_waitcnt lgkmcnt(0)
	v_mov_b32_e32 v4, s25
	ds_read2_b32 v[4:5], v4 offset1:32
	s_mov_b64 s[22:23], -1
	s_and_b64 vcc, exec, s[18:19]
                                        ; implicit-def: $vgpr6_vgpr7
	s_cbranch_vccz .LBB28_42
; %bb.40:                               ;   in Loop: Header=BB28_39 Depth=2
	s_waitcnt lgkmcnt(0)
	v_add_u32_e32 v6, v4, v8
	v_add_u32_e32 v28, v5, v9
	v_ashrrev_i32_e32 v7, 31, v6
	v_add_u32_e32 v32, 8, v6
	v_add_u32_e32 v34, 8, v28
	v_lshl_add_u64 v[26:27], v[6:7], 3, s[2:3]
	v_ashrrev_i32_e32 v29, 31, v28
	v_ashrrev_i32_e32 v33, 31, v32
	v_ashrrev_i32_e32 v35, 31, v34
	v_lshl_add_u64 v[30:31], v[28:29], 3, s[2:3]
	v_lshl_add_u64 v[32:33], v[32:33], 3, s[2:3]
	v_lshl_add_u64 v[34:35], v[34:35], 3, s[2:3]
	global_load_dwordx2 v[36:37], v[26:27], off
	global_load_dwordx2 v[38:39], v[30:31], off
	global_load_dwordx2 v[40:41], v[32:33], off
	global_load_dwordx2 v[42:43], v[34:35], off
	v_add_u32_e32 v26, 16, v6
	v_ashrrev_i32_e32 v27, 31, v26
	v_add_u32_e32 v30, 16, v28
	v_add_u32_e32 v32, 24, v6
	v_add_u32_e32 v34, 24, v28
	v_lshl_add_u64 v[26:27], v[26:27], 3, s[2:3]
	v_ashrrev_i32_e32 v31, 31, v30
	v_ashrrev_i32_e32 v33, 31, v32
	v_ashrrev_i32_e32 v35, 31, v34
	v_lshl_add_u64 v[30:31], v[30:31], 3, s[2:3]
	v_lshl_add_u64 v[32:33], v[32:33], 3, s[2:3]
	v_lshl_add_u64 v[34:35], v[34:35], 3, s[2:3]
	global_load_dwordx2 v[44:45], v[26:27], off
	global_load_dwordx2 v[46:47], v[30:31], off
	global_load_dwordx2 v[48:49], v[32:33], off
	global_load_dwordx2 v[50:51], v[34:35], off
	v_add_u32_e32 v26, 32, v6
	v_ashrrev_i32_e32 v27, 31, v26
	v_add_u32_e32 v30, 32, v28
	;; [unrolled: 16-line block ×3, first 2 shown]
	v_add_u32_e32 v6, 56, v6
	v_add_u32_e32 v28, 56, v28
	v_lshl_add_u64 v[26:27], v[26:27], 3, s[2:3]
	v_ashrrev_i32_e32 v31, 31, v30
	v_ashrrev_i32_e32 v7, 31, v6
	;; [unrolled: 1-line block ×3, first 2 shown]
	v_lshl_add_u64 v[30:31], v[30:31], 3, s[2:3]
	v_lshl_add_u64 v[6:7], v[6:7], 3, s[2:3]
	;; [unrolled: 1-line block ×3, first 2 shown]
	global_load_dwordx2 v[32:33], v[26:27], off
	global_load_dwordx2 v[34:35], v[30:31], off
	;; [unrolled: 1-line block ×4, first 2 shown]
	s_waitcnt vmcnt(14)
	v_fma_f64 v[6:7], v[36:37], v[38:39], v[2:3]
	s_waitcnt vmcnt(12)
	v_fmac_f64_e32 v[6:7], v[40:41], v[42:43]
	s_waitcnt vmcnt(10)
	v_fmac_f64_e32 v[6:7], v[44:45], v[46:47]
	;; [unrolled: 2-line block ×7, first 2 shown]
	s_cbranch_execz .LBB28_43
.LBB28_41:                              ;   in Loop: Header=BB28_39 Depth=2
	s_add_i32 s24, s24, -1
	s_add_i32 s25, s25, 4
	s_cmp_eq_u32 s24, 0
	s_cbranch_scc0 .LBB28_44
	s_branch .LBB28_45
.LBB28_42:                              ;   in Loop: Header=BB28_39 Depth=2
	s_andn2_b64 vcc, exec, s[22:23]
	s_cbranch_vccnz .LBB28_41
.LBB28_43:                              ;   in Loop: Header=BB28_39 Depth=2
	s_waitcnt lgkmcnt(0)
	v_add_u32_e32 v6, v4, v16
	v_add_u32_e32 v4, v5, v14
	v_ashrrev_i32_e32 v5, 31, v4
	v_ashrrev_i32_e32 v7, 31, v6
	v_lshl_add_u64 v[56:57], v[4:5], 3, s[2:3]
	v_lshl_add_u64 v[54:55], v[6:7], 3, s[2:3]
	global_load_dwordx4 v[4:7], v[56:57], off
	global_load_dwordx4 v[26:29], v[54:55], off
	global_load_dwordx4 v[30:33], v[54:55], off offset:16
	global_load_dwordx4 v[34:37], v[56:57], off offset:16
	;; [unrolled: 1-line block ×6, first 2 shown]
	s_waitcnt vmcnt(6)
	v_fmac_f64_e32 v[2:3], v[26:27], v[4:5]
	v_fmac_f64_e32 v[2:3], v[28:29], v[6:7]
	s_waitcnt vmcnt(4)
	v_fmac_f64_e32 v[2:3], v[30:31], v[34:35]
	v_fmac_f64_e32 v[2:3], v[32:33], v[36:37]
	;; [unrolled: 3-line block ×4, first 2 shown]
	v_mov_b64_e32 v[6:7], v[2:3]
	s_add_i32 s24, s24, -1
	s_add_i32 s25, s25, 4
	s_cmp_eq_u32 s24, 0
	s_cbranch_scc1 .LBB28_45
.LBB28_44:                              ;   in Loop: Header=BB28_39 Depth=2
	v_mov_b64_e32 v[2:3], v[6:7]
	s_branch .LBB28_39
.LBB28_45:                              ;   in Loop: Header=BB28_22 Depth=1
	ds_write_b64 v21, v[6:7]
	s_waitcnt lgkmcnt(0)
	ds_read_b64 v[4:5], v24
	ds_read_b64 v[2:3], v17
	s_waitcnt lgkmcnt(1)
	v_cmp_neq_f64_e32 vcc, 0, v[4:5]
	s_nop 1
	v_cndmask_b32_e32 v5, v25, v5, vcc
	s_nor_b64 s[24:25], vcc, s[0:1]
	v_cndmask_b32_e32 v4, 0, v4, vcc
	s_and_saveexec_b64 s[22:23], s[24:25]
	s_cbranch_execz .LBB28_49
; %bb.46:                               ;   in Loop: Header=BB28_22 Depth=1
	v_mbcnt_lo_u32_b32 v4, exec_lo, 0
	v_mbcnt_hi_u32_b32 v4, exec_hi, v4
	v_cmp_eq_u32_e32 vcc, 0, v4
	s_and_saveexec_b64 s[24:25], vcc
	s_cbranch_execz .LBB28_48
; %bb.47:                               ;   in Loop: Header=BB28_22 Depth=1
	v_mov_b32_e32 v4, s21
	global_atomic_smin v24, v4, s[10:11]
.LBB28_48:                              ;   in Loop: Header=BB28_22 Depth=1
	s_or_b64 exec, exec, s[24:25]
	v_mov_b64_e32 v[4:5], 1.0
.LBB28_49:                              ;   in Loop: Header=BB28_22 Depth=1
	s_or_b64 exec, exec, s[22:23]
	ds_read_b64 v[6:7], v20
	s_waitcnt lgkmcnt(0)
	v_add_f64 v[2:3], v[2:3], -v[6:7]
	v_div_scale_f64 v[6:7], s[22:23], v[4:5], v[4:5], v[2:3]
	v_rcp_f64_e32 v[26:27], v[6:7]
	v_div_scale_f64 v[28:29], vcc, v[2:3], v[4:5], v[2:3]
	v_fma_f64 v[30:31], -v[6:7], v[26:27], 1.0
	v_fmac_f64_e32 v[26:27], v[26:27], v[30:31]
	v_fma_f64 v[30:31], -v[6:7], v[26:27], 1.0
	v_fmac_f64_e32 v[26:27], v[26:27], v[30:31]
	v_mul_f64 v[30:31], v[28:29], v[26:27]
	v_fma_f64 v[6:7], -v[6:7], v[30:31], v[28:29]
	v_div_fmas_f64 v[6:7], v[6:7], v[26:27], v[30:31]
	v_div_fixup_f64 v[2:3], v[6:7], v[4:5], v[2:3]
	ds_write_b64 v17, v[2:3]
	s_waitcnt lgkmcnt(0)
	ds_read_b64 v[4:5], v22
	ds_read_b64 v[6:7], v10
	s_waitcnt lgkmcnt(0)
	v_fmac_f64_e32 v[6:7], v[2:3], v[4:5]
	ds_write_b64 v10, v[6:7]
	s_waitcnt lgkmcnt(0)
	ds_read_b64 v[4:5], v24 offset:80
	ds_read_b64 v[2:3], v17 offset:8
	s_waitcnt lgkmcnt(1)
	v_cmp_neq_f64_e32 vcc, 0, v[4:5]
	s_nop 1
	v_cndmask_b32_e32 v5, v25, v5, vcc
	s_nor_b64 s[24:25], vcc, s[0:1]
	v_cndmask_b32_e32 v4, 0, v4, vcc
	s_and_saveexec_b64 s[22:23], s[24:25]
	s_cbranch_execz .LBB28_53
; %bb.50:                               ;   in Loop: Header=BB28_22 Depth=1
	v_mbcnt_lo_u32_b32 v4, exec_lo, 0
	v_mbcnt_hi_u32_b32 v4, exec_hi, v4
	v_cmp_eq_u32_e32 vcc, 0, v4
	s_and_saveexec_b64 s[24:25], vcc
	s_cbranch_execz .LBB28_52
; %bb.51:                               ;   in Loop: Header=BB28_22 Depth=1
	v_mov_b32_e32 v4, s21
	global_atomic_smin v24, v4, s[10:11]
.LBB28_52:                              ;   in Loop: Header=BB28_22 Depth=1
	s_or_b64 exec, exec, s[24:25]
	v_mov_b64_e32 v[4:5], 1.0
.LBB28_53:                              ;   in Loop: Header=BB28_22 Depth=1
	s_or_b64 exec, exec, s[22:23]
	ds_read_b64 v[6:7], v24 offset:72
	ds_read_b64 v[26:27], v17
	ds_read_b64 v[28:29], v20 offset:8
	s_waitcnt lgkmcnt(0)
	v_fmac_f64_e32 v[28:29], v[6:7], v[26:27]
	v_add_f64 v[2:3], v[2:3], -v[28:29]
	v_div_scale_f64 v[6:7], s[22:23], v[4:5], v[4:5], v[2:3]
	v_rcp_f64_e32 v[26:27], v[6:7]
	v_div_scale_f64 v[28:29], vcc, v[2:3], v[4:5], v[2:3]
	v_fma_f64 v[30:31], -v[6:7], v[26:27], 1.0
	v_fmac_f64_e32 v[26:27], v[26:27], v[30:31]
	v_fma_f64 v[30:31], -v[6:7], v[26:27], 1.0
	v_fmac_f64_e32 v[26:27], v[26:27], v[30:31]
	v_mul_f64 v[30:31], v[28:29], v[26:27]
	v_fma_f64 v[6:7], -v[6:7], v[30:31], v[28:29]
	v_div_fmas_f64 v[6:7], v[6:7], v[26:27], v[30:31]
	v_div_fixup_f64 v[2:3], v[6:7], v[4:5], v[2:3]
	ds_write_b64 v17, v[2:3] offset:8
	s_waitcnt lgkmcnt(0)
	ds_read_b64 v[4:5], v22 offset:8
	ds_read_b64 v[6:7], v10
	s_waitcnt lgkmcnt(0)
	v_fmac_f64_e32 v[6:7], v[2:3], v[4:5]
	ds_write_b64 v10, v[6:7]
	s_waitcnt lgkmcnt(0)
	ds_read_b64 v[4:5], v24 offset:160
	ds_read_b64 v[2:3], v17 offset:16
	s_waitcnt lgkmcnt(1)
	v_cmp_neq_f64_e32 vcc, 0, v[4:5]
	s_nop 1
	v_cndmask_b32_e32 v5, v25, v5, vcc
	s_nor_b64 s[24:25], vcc, s[0:1]
	v_cndmask_b32_e32 v4, 0, v4, vcc
	s_and_saveexec_b64 s[22:23], s[24:25]
	s_cbranch_execz .LBB28_57
; %bb.54:                               ;   in Loop: Header=BB28_22 Depth=1
	v_mbcnt_lo_u32_b32 v4, exec_lo, 0
	v_mbcnt_hi_u32_b32 v4, exec_hi, v4
	v_cmp_eq_u32_e32 vcc, 0, v4
	s_and_saveexec_b64 s[24:25], vcc
	s_cbranch_execz .LBB28_56
; %bb.55:                               ;   in Loop: Header=BB28_22 Depth=1
	v_mov_b32_e32 v4, s21
	global_atomic_smin v24, v4, s[10:11]
.LBB28_56:                              ;   in Loop: Header=BB28_22 Depth=1
	s_or_b64 exec, exec, s[24:25]
	v_mov_b64_e32 v[4:5], 1.0
.LBB28_57:                              ;   in Loop: Header=BB28_22 Depth=1
	s_or_b64 exec, exec, s[22:23]
	ds_read_b128 v[26:29], v24 offset:144
	ds_read2_b64 v[30:33], v17 offset1:1
	ds_read_b64 v[6:7], v20 offset:16
	s_waitcnt lgkmcnt(0)
	v_fmac_f64_e32 v[6:7], v[26:27], v[30:31]
	v_fmac_f64_e32 v[6:7], v[28:29], v[32:33]
	v_add_f64 v[2:3], v[2:3], -v[6:7]
	v_div_scale_f64 v[6:7], s[22:23], v[4:5], v[4:5], v[2:3]
	v_rcp_f64_e32 v[26:27], v[6:7]
	v_div_scale_f64 v[28:29], vcc, v[2:3], v[4:5], v[2:3]
	v_fma_f64 v[30:31], -v[6:7], v[26:27], 1.0
	v_fmac_f64_e32 v[26:27], v[26:27], v[30:31]
	v_fma_f64 v[30:31], -v[6:7], v[26:27], 1.0
	v_fmac_f64_e32 v[26:27], v[26:27], v[30:31]
	v_mul_f64 v[30:31], v[28:29], v[26:27]
	v_fma_f64 v[6:7], -v[6:7], v[30:31], v[28:29]
	v_div_fmas_f64 v[6:7], v[6:7], v[26:27], v[30:31]
	v_div_fixup_f64 v[2:3], v[6:7], v[4:5], v[2:3]
	ds_write_b64 v17, v[2:3] offset:16
	s_waitcnt lgkmcnt(0)
	ds_read_b64 v[4:5], v22 offset:16
	ds_read_b64 v[6:7], v10
	s_waitcnt lgkmcnt(0)
	v_fmac_f64_e32 v[6:7], v[2:3], v[4:5]
	ds_write_b64 v10, v[6:7]
	s_waitcnt lgkmcnt(0)
	ds_read_b64 v[4:5], v24 offset:240
	ds_read_b64 v[2:3], v17 offset:24
	s_waitcnt lgkmcnt(1)
	v_cmp_neq_f64_e32 vcc, 0, v[4:5]
	s_nop 1
	v_cndmask_b32_e32 v5, v25, v5, vcc
	s_nor_b64 s[24:25], vcc, s[0:1]
	v_cndmask_b32_e32 v4, 0, v4, vcc
	s_and_saveexec_b64 s[22:23], s[24:25]
	s_cbranch_execz .LBB28_61
; %bb.58:                               ;   in Loop: Header=BB28_22 Depth=1
	v_mbcnt_lo_u32_b32 v4, exec_lo, 0
	v_mbcnt_hi_u32_b32 v4, exec_hi, v4
	v_cmp_eq_u32_e32 vcc, 0, v4
	s_and_saveexec_b64 s[24:25], vcc
	s_cbranch_execz .LBB28_60
; %bb.59:                               ;   in Loop: Header=BB28_22 Depth=1
	v_mov_b32_e32 v4, s21
	global_atomic_smin v24, v4, s[10:11]
.LBB28_60:                              ;   in Loop: Header=BB28_22 Depth=1
	s_or_b64 exec, exec, s[24:25]
	v_mov_b64_e32 v[4:5], 1.0
.LBB28_61:                              ;   in Loop: Header=BB28_22 Depth=1
	s_or_b64 exec, exec, s[22:23]
	ds_read2_b64 v[26:29], v24 offset0:27 offset1:28
	ds_read_b64 v[6:7], v20 offset:24
	ds_read2_b64 v[30:33], v17 offset1:1
	ds_read_b64 v[34:35], v17 offset:16
	ds_read_b64 v[36:37], v24 offset:232
	s_waitcnt lgkmcnt(2)
	v_fmac_f64_e32 v[6:7], v[26:27], v[30:31]
	v_fmac_f64_e32 v[6:7], v[28:29], v[32:33]
	s_waitcnt lgkmcnt(0)
	v_fmac_f64_e32 v[6:7], v[36:37], v[34:35]
	v_add_f64 v[2:3], v[2:3], -v[6:7]
	v_div_scale_f64 v[6:7], s[22:23], v[4:5], v[4:5], v[2:3]
	v_rcp_f64_e32 v[26:27], v[6:7]
	v_div_scale_f64 v[28:29], vcc, v[2:3], v[4:5], v[2:3]
	v_fma_f64 v[30:31], -v[6:7], v[26:27], 1.0
	v_fmac_f64_e32 v[26:27], v[26:27], v[30:31]
	v_fma_f64 v[30:31], -v[6:7], v[26:27], 1.0
	v_fmac_f64_e32 v[26:27], v[26:27], v[30:31]
	v_mul_f64 v[30:31], v[28:29], v[26:27]
	v_fma_f64 v[6:7], -v[6:7], v[30:31], v[28:29]
	v_div_fmas_f64 v[6:7], v[6:7], v[26:27], v[30:31]
	v_div_fixup_f64 v[2:3], v[6:7], v[4:5], v[2:3]
	ds_write_b64 v17, v[2:3] offset:24
	s_waitcnt lgkmcnt(0)
	ds_read_b64 v[4:5], v22 offset:24
	ds_read_b64 v[6:7], v10
	s_waitcnt lgkmcnt(0)
	v_fmac_f64_e32 v[6:7], v[2:3], v[4:5]
	ds_write_b64 v10, v[6:7]
	s_waitcnt lgkmcnt(0)
	ds_read_b64 v[4:5], v24 offset:320
	ds_read_b64 v[2:3], v17 offset:32
	s_waitcnt lgkmcnt(1)
	v_cmp_neq_f64_e32 vcc, 0, v[4:5]
	s_nop 1
	v_cndmask_b32_e32 v5, v25, v5, vcc
	s_nor_b64 s[24:25], vcc, s[0:1]
	v_cndmask_b32_e32 v4, 0, v4, vcc
	s_and_saveexec_b64 s[22:23], s[24:25]
	s_cbranch_execz .LBB28_65
; %bb.62:                               ;   in Loop: Header=BB28_22 Depth=1
	v_mbcnt_lo_u32_b32 v4, exec_lo, 0
	v_mbcnt_hi_u32_b32 v4, exec_hi, v4
	v_cmp_eq_u32_e32 vcc, 0, v4
	s_and_saveexec_b64 s[24:25], vcc
	s_cbranch_execz .LBB28_64
; %bb.63:                               ;   in Loop: Header=BB28_22 Depth=1
	v_mov_b32_e32 v4, s21
	global_atomic_smin v24, v4, s[10:11]
.LBB28_64:                              ;   in Loop: Header=BB28_22 Depth=1
	s_or_b64 exec, exec, s[24:25]
	v_mov_b64_e32 v[4:5], 1.0
.LBB28_65:                              ;   in Loop: Header=BB28_22 Depth=1
	s_or_b64 exec, exec, s[22:23]
	ds_read_b128 v[26:29], v24 offset:288
	ds_read_b64 v[6:7], v20 offset:32
	ds_read2_b64 v[30:33], v17 offset1:1
	ds_read2_b64 v[34:37], v17 offset0:2 offset1:3
	ds_read_b128 v[38:41], v24 offset:304
	s_waitcnt lgkmcnt(2)
	v_fmac_f64_e32 v[6:7], v[26:27], v[30:31]
	v_fmac_f64_e32 v[6:7], v[28:29], v[32:33]
	s_waitcnt lgkmcnt(0)
	v_fmac_f64_e32 v[6:7], v[38:39], v[34:35]
	v_fmac_f64_e32 v[6:7], v[40:41], v[36:37]
	v_add_f64 v[2:3], v[2:3], -v[6:7]
	v_div_scale_f64 v[6:7], s[22:23], v[4:5], v[4:5], v[2:3]
	v_rcp_f64_e32 v[26:27], v[6:7]
	v_div_scale_f64 v[28:29], vcc, v[2:3], v[4:5], v[2:3]
	v_fma_f64 v[30:31], -v[6:7], v[26:27], 1.0
	v_fmac_f64_e32 v[26:27], v[26:27], v[30:31]
	v_fma_f64 v[30:31], -v[6:7], v[26:27], 1.0
	v_fmac_f64_e32 v[26:27], v[26:27], v[30:31]
	v_mul_f64 v[30:31], v[28:29], v[26:27]
	v_fma_f64 v[6:7], -v[6:7], v[30:31], v[28:29]
	v_div_fmas_f64 v[6:7], v[6:7], v[26:27], v[30:31]
	v_div_fixup_f64 v[2:3], v[6:7], v[4:5], v[2:3]
	ds_write_b64 v17, v[2:3] offset:32
	s_waitcnt lgkmcnt(0)
	ds_read_b64 v[4:5], v22 offset:32
	ds_read_b64 v[6:7], v10
	s_waitcnt lgkmcnt(0)
	v_fmac_f64_e32 v[6:7], v[2:3], v[4:5]
	ds_write_b64 v10, v[6:7]
	s_waitcnt lgkmcnt(0)
	ds_read_b64 v[4:5], v24 offset:400
	ds_read_b64 v[2:3], v17 offset:40
	s_waitcnt lgkmcnt(1)
	v_cmp_neq_f64_e32 vcc, 0, v[4:5]
	s_nop 1
	v_cndmask_b32_e32 v5, v25, v5, vcc
	s_nor_b64 s[24:25], vcc, s[0:1]
	v_cndmask_b32_e32 v4, 0, v4, vcc
	s_and_saveexec_b64 s[22:23], s[24:25]
	s_cbranch_execz .LBB28_69
; %bb.66:                               ;   in Loop: Header=BB28_22 Depth=1
	v_mbcnt_lo_u32_b32 v4, exec_lo, 0
	v_mbcnt_hi_u32_b32 v4, exec_hi, v4
	v_cmp_eq_u32_e32 vcc, 0, v4
	s_and_saveexec_b64 s[24:25], vcc
	s_cbranch_execz .LBB28_68
; %bb.67:                               ;   in Loop: Header=BB28_22 Depth=1
	v_mov_b32_e32 v4, s21
	global_atomic_smin v24, v4, s[10:11]
.LBB28_68:                              ;   in Loop: Header=BB28_22 Depth=1
	s_or_b64 exec, exec, s[24:25]
	v_mov_b64_e32 v[4:5], 1.0
.LBB28_69:                              ;   in Loop: Header=BB28_22 Depth=1
	s_or_b64 exec, exec, s[22:23]
	ds_read2_b64 v[26:29], v17 offset1:1
	ds_read_b64 v[6:7], v20 offset:40
	ds_read2_b64 v[30:33], v24 offset0:45 offset1:46
	ds_read2_b64 v[34:37], v24 offset0:47 offset1:48
	;; [unrolled: 1-line block ×3, first 2 shown]
	ds_read_b64 v[42:43], v17 offset:32
	ds_read_b64 v[44:45], v24 offset:392
	s_waitcnt lgkmcnt(4)
	v_fmac_f64_e32 v[6:7], v[30:31], v[26:27]
	v_fmac_f64_e32 v[6:7], v[32:33], v[28:29]
	s_waitcnt lgkmcnt(2)
	v_fmac_f64_e32 v[6:7], v[34:35], v[38:39]
	v_fmac_f64_e32 v[6:7], v[36:37], v[40:41]
	s_waitcnt lgkmcnt(0)
	v_fmac_f64_e32 v[6:7], v[44:45], v[42:43]
	v_add_f64 v[2:3], v[2:3], -v[6:7]
	v_div_scale_f64 v[6:7], s[22:23], v[4:5], v[4:5], v[2:3]
	v_rcp_f64_e32 v[26:27], v[6:7]
	s_nop 0
	v_fma_f64 v[28:29], -v[6:7], v[26:27], 1.0
	v_fmac_f64_e32 v[26:27], v[26:27], v[28:29]
	v_fma_f64 v[28:29], -v[6:7], v[26:27], 1.0
	v_fmac_f64_e32 v[26:27], v[26:27], v[28:29]
	v_div_scale_f64 v[28:29], vcc, v[2:3], v[4:5], v[2:3]
	v_mul_f64 v[30:31], v[28:29], v[26:27]
	v_fma_f64 v[6:7], -v[6:7], v[30:31], v[28:29]
	s_nop 1
	v_div_fmas_f64 v[6:7], v[6:7], v[26:27], v[30:31]
	v_div_fixup_f64 v[2:3], v[6:7], v[4:5], v[2:3]
	ds_write_b64 v17, v[2:3] offset:40
	s_waitcnt lgkmcnt(0)
	ds_read_b64 v[4:5], v22 offset:40
	ds_read_b64 v[6:7], v10
	s_waitcnt lgkmcnt(0)
	v_fmac_f64_e32 v[6:7], v[2:3], v[4:5]
	ds_write_b64 v10, v[6:7]
	s_waitcnt lgkmcnt(0)
	ds_read_b64 v[4:5], v24 offset:480
	ds_read_b64 v[2:3], v17 offset:48
	s_waitcnt lgkmcnt(1)
	v_cmp_neq_f64_e32 vcc, 0, v[4:5]
	s_nop 1
	v_cndmask_b32_e32 v5, v25, v5, vcc
	s_nor_b64 s[24:25], vcc, s[0:1]
	v_cndmask_b32_e32 v4, 0, v4, vcc
	s_and_saveexec_b64 s[22:23], s[24:25]
	s_cbranch_execz .LBB28_73
; %bb.70:                               ;   in Loop: Header=BB28_22 Depth=1
	v_mbcnt_lo_u32_b32 v4, exec_lo, 0
	v_mbcnt_hi_u32_b32 v4, exec_hi, v4
	v_cmp_eq_u32_e32 vcc, 0, v4
	s_and_saveexec_b64 s[24:25], vcc
	s_cbranch_execz .LBB28_72
; %bb.71:                               ;   in Loop: Header=BB28_22 Depth=1
	v_mov_b32_e32 v4, s21
	global_atomic_smin v24, v4, s[10:11]
.LBB28_72:                              ;   in Loop: Header=BB28_22 Depth=1
	s_or_b64 exec, exec, s[24:25]
	v_mov_b64_e32 v[4:5], 1.0
.LBB28_73:                              ;   in Loop: Header=BB28_22 Depth=1
	s_or_b64 exec, exec, s[22:23]
	ds_read_b128 v[26:29], v24 offset:432
	ds_read_b64 v[6:7], v20 offset:48
	ds_read2_b64 v[30:33], v17 offset1:1
	ds_read2_b64 v[34:37], v17 offset0:2 offset1:3
	ds_read_b128 v[38:41], v24 offset:448
	ds_read2_b64 v[42:45], v17 offset0:4 offset1:5
	ds_read_b128 v[46:49], v24 offset:464
	s_waitcnt lgkmcnt(4)
	v_fmac_f64_e32 v[6:7], v[26:27], v[30:31]
	v_fmac_f64_e32 v[6:7], v[28:29], v[32:33]
	s_waitcnt lgkmcnt(2)
	v_fmac_f64_e32 v[6:7], v[38:39], v[34:35]
	v_fmac_f64_e32 v[6:7], v[40:41], v[36:37]
	;; [unrolled: 3-line block ×3, first 2 shown]
	v_add_f64 v[2:3], v[2:3], -v[6:7]
	v_div_scale_f64 v[6:7], s[22:23], v[4:5], v[4:5], v[2:3]
	v_rcp_f64_e32 v[26:27], v[6:7]
	s_nop 0
	v_fma_f64 v[28:29], -v[6:7], v[26:27], 1.0
	v_fmac_f64_e32 v[26:27], v[26:27], v[28:29]
	v_fma_f64 v[28:29], -v[6:7], v[26:27], 1.0
	v_fmac_f64_e32 v[26:27], v[26:27], v[28:29]
	v_div_scale_f64 v[28:29], vcc, v[2:3], v[4:5], v[2:3]
	v_mul_f64 v[30:31], v[28:29], v[26:27]
	v_fma_f64 v[6:7], -v[6:7], v[30:31], v[28:29]
	s_nop 1
	v_div_fmas_f64 v[6:7], v[6:7], v[26:27], v[30:31]
	v_div_fixup_f64 v[2:3], v[6:7], v[4:5], v[2:3]
	ds_write_b64 v17, v[2:3] offset:48
	s_waitcnt lgkmcnt(0)
	ds_read_b64 v[4:5], v22 offset:48
	ds_read_b64 v[6:7], v10
	s_waitcnt lgkmcnt(0)
	v_fmac_f64_e32 v[6:7], v[2:3], v[4:5]
	ds_write_b64 v10, v[6:7]
	s_waitcnt lgkmcnt(0)
	ds_read_b64 v[4:5], v24 offset:560
	ds_read_b64 v[2:3], v17 offset:56
	s_waitcnt lgkmcnt(1)
	v_cmp_neq_f64_e32 vcc, 0, v[4:5]
	s_nop 1
	v_cndmask_b32_e32 v5, v25, v5, vcc
	s_nor_b64 s[24:25], vcc, s[0:1]
	v_cndmask_b32_e32 v4, 0, v4, vcc
	s_and_saveexec_b64 s[22:23], s[24:25]
	s_cbranch_execz .LBB28_21
; %bb.74:                               ;   in Loop: Header=BB28_22 Depth=1
	v_mbcnt_lo_u32_b32 v4, exec_lo, 0
	v_mbcnt_hi_u32_b32 v4, exec_hi, v4
	v_cmp_eq_u32_e32 vcc, 0, v4
	s_and_saveexec_b64 s[24:25], vcc
	s_cbranch_execz .LBB28_20
; %bb.75:                               ;   in Loop: Header=BB28_22 Depth=1
	v_mov_b32_e32 v4, s21
	global_atomic_smin v24, v4, s[10:11]
	s_branch .LBB28_20
.LBB28_76:                              ;   in Loop: Header=BB28_22 Depth=1
                                        ; implicit-def: $sgpr20
	s_cbranch_execz .LBB28_22
.LBB28_77:
	s_waitcnt lgkmcnt(0)
	s_cmp_eq_u32 s33, 0
	s_cselect_b64 vcc, -1, 0
	v_cndmask_b32_e32 v0, v15, v13, vcc
	v_lshl_add_u32 v0, s30, 6, v0
	v_ashrrev_i32_e32 v1, 31, v0
	v_lshl_add_u64 v[0:1], v[0:1], 3, s[2:3]
	global_load_dwordx2 v[2:3], v[0:1], off
	s_movk_i32 s0, 0x48
	v_mov_b32_e32 v4, 0x480
	v_mad_u32_u24 v5, v9, s0, v4
	v_cmp_ne_u32_e32 vcc, 0, v9
	v_lshl_add_u32 v4, v8, 3, v5
	v_cmp_eq_u32_e64 s[0:1], 0, v9
	s_waitcnt vmcnt(0)
	ds_write_b64 v4, v[2:3]
	s_waitcnt lgkmcnt(0)
	s_and_saveexec_b64 s[2:3], s[0:1]
	s_cbranch_execz .LBB28_79
; %bb.78:
	v_mov_b32_e32 v13, 0
	ds_read2_b64 v[14:17], v13 offset0:144 offset1:216
	s_mov_b32 s4, 0
	s_brev_b32 s5, 8
	v_mov_b32_e32 v18, 0x260
	s_waitcnt lgkmcnt(0)
	v_add_f64 v[2:3], v[14:15], -v[16:17]
	v_xor_b32_e32 v6, 0x80000000, v3
	v_cmp_gt_f64_e64 s[0:1], 0, v[2:3]
	s_nop 1
	v_cndmask_b32_e64 v3, v3, v6, s[0:1]
	v_cmp_gt_f64_e64 s[0:1], s[4:5], v[2:3]
	s_and_b64 s[0:1], s[0:1], exec
	s_cselect_b32 s0, 0x100, 0
	v_ldexp_f64 v[2:3], v[2:3], s0
	v_rsq_f64_e32 v[6:7], v[2:3]
	s_cselect_b32 s0, 0xffffff80, 0
	v_mul_f64 v[14:15], v[2:3], v[6:7]
	v_mul_f64 v[6:7], v[6:7], 0.5
	v_fma_f64 v[16:17], -v[6:7], v[14:15], 0.5
	v_fmac_f64_e32 v[14:15], v[14:15], v[16:17]
	v_fmac_f64_e32 v[6:7], v[6:7], v[16:17]
	v_fma_f64 v[16:17], -v[14:15], v[14:15], v[2:3]
	v_fmac_f64_e32 v[14:15], v[16:17], v[6:7]
	v_fma_f64 v[16:17], -v[14:15], v[14:15], v[2:3]
	v_fmac_f64_e32 v[14:15], v[16:17], v[6:7]
	v_ldexp_f64 v[6:7], v[14:15], s0
	v_cmp_class_f64_e64 s[0:1], v[2:3], v18
	s_nop 1
	v_cndmask_b32_e64 v3, v7, v3, s[0:1]
	v_cndmask_b32_e64 v2, v6, v2, s[0:1]
	ds_write_b64 v13, v[2:3] offset:1152
.LBB28_79:
	s_or_b64 exec, exec, s[2:3]
	v_mov_b32_e32 v2, 0
	s_waitcnt lgkmcnt(0)
	ds_read_b64 v[2:3], v2 offset:1152
	v_cmp_ne_u32_e64 s[0:1], 0, v11
	v_mov_b32_e32 v6, 0x3ff00000
	s_add_i32 s14, s16, s17
	s_waitcnt lgkmcnt(0)
	v_cmp_neq_f64_e64 s[2:3], 0, v[2:3]
	s_nor_b64 s[12:13], s[2:3], s[0:1]
	s_nop 0
	v_cndmask_b32_e64 v3, v6, v3, s[2:3]
	v_cndmask_b32_e64 v2, 0, v2, s[2:3]
	s_and_saveexec_b64 s[4:5], s[12:13]
	s_cbranch_execz .LBB28_83
; %bb.80:
	v_mbcnt_lo_u32_b32 v2, exec_lo, 0
	v_mbcnt_hi_u32_b32 v2, exec_hi, v2
	v_cmp_eq_u32_e64 s[2:3], 0, v2
	s_and_saveexec_b64 s[12:13], s[2:3]
	s_cbranch_execz .LBB28_82
; %bb.81:
	v_mov_b32_e32 v2, 0
	v_mov_b32_e32 v3, s14
	global_atomic_smin v2, v3, s[10:11]
.LBB28_82:
	s_or_b64 exec, exec, s[12:13]
	v_mov_b64_e32 v[2:3], 1.0
.LBB28_83:
	s_or_b64 exec, exec, s[4:5]
	s_movk_i32 s2, 0x48
	v_mov_b32_e32 v6, 0x480
	v_mad_u32_u24 v6, v8, s2, v6
	s_and_saveexec_b64 s[2:3], vcc
	s_cbranch_execz .LBB28_85
; %bb.84:
	ds_read_b64 v[14:15], v5
	ds_read_b64 v[16:17], v12
	s_waitcnt lgkmcnt(0)
	v_add_f64 v[14:15], v[14:15], -v[16:17]
	v_div_scale_f64 v[16:17], s[4:5], v[2:3], v[2:3], v[14:15]
	v_rcp_f64_e32 v[18:19], v[16:17]
	v_div_scale_f64 v[20:21], vcc, v[14:15], v[2:3], v[14:15]
	v_fma_f64 v[22:23], -v[16:17], v[18:19], 1.0
	v_fmac_f64_e32 v[18:19], v[18:19], v[22:23]
	v_fma_f64 v[22:23], -v[16:17], v[18:19], 1.0
	v_fmac_f64_e32 v[18:19], v[18:19], v[22:23]
	v_mul_f64 v[22:23], v[20:21], v[18:19]
	v_fma_f64 v[16:17], -v[16:17], v[22:23], v[20:21]
	v_div_fmas_f64 v[16:17], v[16:17], v[18:19], v[22:23]
	v_div_fixup_f64 v[2:3], v[16:17], v[2:3], v[14:15]
	ds_write_b64 v5, v[2:3]
	s_waitcnt lgkmcnt(0)
	ds_read_b64 v[14:15], v6
	ds_read_b64 v[16:17], v10
	s_waitcnt lgkmcnt(0)
	v_fmac_f64_e32 v[16:17], v[2:3], v[14:15]
	ds_write_b64 v10, v[16:17]
.LBB28_85:
	s_or_b64 exec, exec, s[2:3]
	v_cmp_eq_u32_e32 vcc, 1, v9
	s_waitcnt lgkmcnt(0)
	s_and_saveexec_b64 s[2:3], vcc
	s_cbranch_execz .LBB28_87
; %bb.86:
	v_mov_b32_e32 v7, 0
	ds_read2_b64 v[14:17], v7 offset0:154 offset1:226
	s_mov_b32 s4, 0
	s_brev_b32 s5, 8
	s_waitcnt lgkmcnt(0)
	v_add_f64 v[2:3], v[14:15], -v[16:17]
	v_xor_b32_e32 v13, 0x80000000, v3
	v_cmp_gt_f64_e32 vcc, 0, v[2:3]
	s_nop 1
	v_cndmask_b32_e32 v3, v3, v13, vcc
	v_cmp_gt_f64_e32 vcc, s[4:5], v[2:3]
	s_and_b64 s[4:5], vcc, exec
	s_cselect_b32 s4, 0x100, 0
	v_ldexp_f64 v[2:3], v[2:3], s4
	v_rsq_f64_e32 v[14:15], v[2:3]
	v_mov_b32_e32 v13, 0x260
	s_cselect_b32 s4, 0xffffff80, 0
	v_cmp_class_f64_e32 vcc, v[2:3], v13
	v_mul_f64 v[16:17], v[2:3], v[14:15]
	v_mul_f64 v[14:15], v[14:15], 0.5
	v_fma_f64 v[18:19], -v[14:15], v[16:17], 0.5
	v_fmac_f64_e32 v[16:17], v[16:17], v[18:19]
	v_fmac_f64_e32 v[14:15], v[14:15], v[18:19]
	v_fma_f64 v[18:19], -v[16:17], v[16:17], v[2:3]
	v_fmac_f64_e32 v[16:17], v[18:19], v[14:15]
	v_fma_f64 v[18:19], -v[16:17], v[16:17], v[2:3]
	v_fmac_f64_e32 v[16:17], v[18:19], v[14:15]
	v_ldexp_f64 v[14:15], v[16:17], s4
	v_cndmask_b32_e32 v3, v15, v3, vcc
	v_cndmask_b32_e32 v2, v14, v2, vcc
	ds_write_b64 v7, v[2:3] offset:1232
.LBB28_87:
	s_or_b64 exec, exec, s[2:3]
	v_mov_b32_e32 v2, 0
	s_waitcnt lgkmcnt(0)
	ds_read_b64 v[2:3], v2 offset:1232
	v_mov_b32_e32 v7, 0x3ff00000
	s_waitcnt lgkmcnt(0)
	v_cmp_neq_f64_e32 vcc, 0, v[2:3]
	s_nop 1
	v_cndmask_b32_e32 v3, v7, v3, vcc
	s_nor_b64 s[4:5], vcc, s[0:1]
	v_cndmask_b32_e32 v2, 0, v2, vcc
	s_and_saveexec_b64 s[2:3], s[4:5]
	s_cbranch_execz .LBB28_91
; %bb.88:
	v_mbcnt_lo_u32_b32 v2, exec_lo, 0
	v_mbcnt_hi_u32_b32 v2, exec_hi, v2
	v_cmp_eq_u32_e32 vcc, 0, v2
	s_and_saveexec_b64 s[4:5], vcc
	s_cbranch_execz .LBB28_90
; %bb.89:
	v_mov_b32_e32 v2, 0
	v_mov_b32_e32 v3, s14
	global_atomic_smin v2, v3, s[10:11]
.LBB28_90:
	s_or_b64 exec, exec, s[4:5]
	v_mov_b64_e32 v[2:3], 1.0
.LBB28_91:
	s_or_b64 exec, exec, s[2:3]
	v_cmp_lt_u32_e32 vcc, 1, v9
	s_and_saveexec_b64 s[2:3], vcc
	s_cbranch_execz .LBB28_93
; %bb.92:
	ds_read_b64 v[14:15], v5 offset:8
	ds_read_b64 v[16:17], v12 offset:8
	s_waitcnt lgkmcnt(0)
	v_add_f64 v[14:15], v[14:15], -v[16:17]
	v_div_scale_f64 v[16:17], s[4:5], v[2:3], v[2:3], v[14:15]
	v_rcp_f64_e32 v[18:19], v[16:17]
	v_div_scale_f64 v[20:21], vcc, v[14:15], v[2:3], v[14:15]
	v_fma_f64 v[22:23], -v[16:17], v[18:19], 1.0
	v_fmac_f64_e32 v[18:19], v[18:19], v[22:23]
	v_fma_f64 v[22:23], -v[16:17], v[18:19], 1.0
	v_fmac_f64_e32 v[18:19], v[18:19], v[22:23]
	v_mul_f64 v[22:23], v[20:21], v[18:19]
	v_fma_f64 v[16:17], -v[16:17], v[22:23], v[20:21]
	v_div_fmas_f64 v[16:17], v[16:17], v[18:19], v[22:23]
	v_div_fixup_f64 v[2:3], v[16:17], v[2:3], v[14:15]
	ds_write_b64 v5, v[2:3] offset:8
	s_waitcnt lgkmcnt(0)
	ds_read_b64 v[14:15], v6 offset:8
	ds_read_b64 v[16:17], v10
	s_waitcnt lgkmcnt(0)
	v_fmac_f64_e32 v[16:17], v[2:3], v[14:15]
	ds_write_b64 v10, v[16:17]
.LBB28_93:
	s_or_b64 exec, exec, s[2:3]
	v_cmp_eq_u32_e32 vcc, 2, v9
	s_waitcnt lgkmcnt(0)
	s_and_saveexec_b64 s[2:3], vcc
	s_cbranch_execz .LBB28_95
; %bb.94:
	v_mov_b32_e32 v7, 0
	ds_read2_b64 v[14:17], v7 offset0:164 offset1:236
	s_mov_b32 s4, 0
	s_brev_b32 s5, 8
	s_waitcnt lgkmcnt(0)
	v_add_f64 v[2:3], v[14:15], -v[16:17]
	v_xor_b32_e32 v13, 0x80000000, v3
	v_cmp_gt_f64_e32 vcc, 0, v[2:3]
	s_nop 1
	v_cndmask_b32_e32 v3, v3, v13, vcc
	v_cmp_gt_f64_e32 vcc, s[4:5], v[2:3]
	s_and_b64 s[4:5], vcc, exec
	s_cselect_b32 s4, 0x100, 0
	v_ldexp_f64 v[2:3], v[2:3], s4
	v_rsq_f64_e32 v[14:15], v[2:3]
	v_mov_b32_e32 v13, 0x260
	s_cselect_b32 s4, 0xffffff80, 0
	v_cmp_class_f64_e32 vcc, v[2:3], v13
	v_mul_f64 v[16:17], v[2:3], v[14:15]
	v_mul_f64 v[14:15], v[14:15], 0.5
	v_fma_f64 v[18:19], -v[14:15], v[16:17], 0.5
	v_fmac_f64_e32 v[16:17], v[16:17], v[18:19]
	v_fmac_f64_e32 v[14:15], v[14:15], v[18:19]
	v_fma_f64 v[18:19], -v[16:17], v[16:17], v[2:3]
	v_fmac_f64_e32 v[16:17], v[18:19], v[14:15]
	v_fma_f64 v[18:19], -v[16:17], v[16:17], v[2:3]
	v_fmac_f64_e32 v[16:17], v[18:19], v[14:15]
	v_ldexp_f64 v[14:15], v[16:17], s4
	v_cndmask_b32_e32 v3, v15, v3, vcc
	v_cndmask_b32_e32 v2, v14, v2, vcc
	ds_write_b64 v7, v[2:3] offset:1312
.LBB28_95:
	s_or_b64 exec, exec, s[2:3]
	v_mov_b32_e32 v2, 0
	s_waitcnt lgkmcnt(0)
	ds_read_b64 v[2:3], v2 offset:1312
	v_mov_b32_e32 v7, 0x3ff00000
	s_waitcnt lgkmcnt(0)
	v_cmp_neq_f64_e32 vcc, 0, v[2:3]
	s_nop 1
	v_cndmask_b32_e32 v3, v7, v3, vcc
	s_nor_b64 s[4:5], vcc, s[0:1]
	v_cndmask_b32_e32 v2, 0, v2, vcc
	s_and_saveexec_b64 s[2:3], s[4:5]
	s_cbranch_execz .LBB28_99
; %bb.96:
	v_mbcnt_lo_u32_b32 v2, exec_lo, 0
	v_mbcnt_hi_u32_b32 v2, exec_hi, v2
	v_cmp_eq_u32_e32 vcc, 0, v2
	s_and_saveexec_b64 s[4:5], vcc
	s_cbranch_execz .LBB28_98
; %bb.97:
	v_mov_b32_e32 v2, 0
	v_mov_b32_e32 v3, s14
	global_atomic_smin v2, v3, s[10:11]
.LBB28_98:
	s_or_b64 exec, exec, s[4:5]
	v_mov_b64_e32 v[2:3], 1.0
.LBB28_99:
	s_or_b64 exec, exec, s[2:3]
	v_cmp_lt_u32_e32 vcc, 2, v9
	s_and_saveexec_b64 s[2:3], vcc
	s_cbranch_execz .LBB28_101
; %bb.100:
	ds_read_b64 v[14:15], v5 offset:16
	ds_read_b64 v[16:17], v12 offset:16
	s_waitcnt lgkmcnt(0)
	v_add_f64 v[14:15], v[14:15], -v[16:17]
	v_div_scale_f64 v[16:17], s[4:5], v[2:3], v[2:3], v[14:15]
	v_rcp_f64_e32 v[18:19], v[16:17]
	v_div_scale_f64 v[20:21], vcc, v[14:15], v[2:3], v[14:15]
	v_fma_f64 v[22:23], -v[16:17], v[18:19], 1.0
	v_fmac_f64_e32 v[18:19], v[18:19], v[22:23]
	v_fma_f64 v[22:23], -v[16:17], v[18:19], 1.0
	v_fmac_f64_e32 v[18:19], v[18:19], v[22:23]
	v_mul_f64 v[22:23], v[20:21], v[18:19]
	v_fma_f64 v[16:17], -v[16:17], v[22:23], v[20:21]
	v_div_fmas_f64 v[16:17], v[16:17], v[18:19], v[22:23]
	v_div_fixup_f64 v[2:3], v[16:17], v[2:3], v[14:15]
	ds_write_b64 v5, v[2:3] offset:16
	s_waitcnt lgkmcnt(0)
	ds_read_b64 v[14:15], v6 offset:16
	ds_read_b64 v[16:17], v10
	s_waitcnt lgkmcnt(0)
	v_fmac_f64_e32 v[16:17], v[2:3], v[14:15]
	ds_write_b64 v10, v[16:17]
.LBB28_101:
	s_or_b64 exec, exec, s[2:3]
	v_cmp_eq_u32_e32 vcc, 3, v9
	s_waitcnt lgkmcnt(0)
	s_and_saveexec_b64 s[2:3], vcc
	s_cbranch_execz .LBB28_103
; %bb.102:
	v_mov_b32_e32 v7, 0
	ds_read2_b64 v[14:17], v7 offset0:174 offset1:246
	s_mov_b32 s4, 0
	s_brev_b32 s5, 8
	s_waitcnt lgkmcnt(0)
	v_add_f64 v[2:3], v[14:15], -v[16:17]
	v_xor_b32_e32 v13, 0x80000000, v3
	v_cmp_gt_f64_e32 vcc, 0, v[2:3]
	s_nop 1
	v_cndmask_b32_e32 v3, v3, v13, vcc
	v_cmp_gt_f64_e32 vcc, s[4:5], v[2:3]
	s_and_b64 s[4:5], vcc, exec
	s_cselect_b32 s4, 0x100, 0
	v_ldexp_f64 v[2:3], v[2:3], s4
	v_rsq_f64_e32 v[14:15], v[2:3]
	v_mov_b32_e32 v13, 0x260
	s_cselect_b32 s4, 0xffffff80, 0
	v_cmp_class_f64_e32 vcc, v[2:3], v13
	v_mul_f64 v[16:17], v[2:3], v[14:15]
	v_mul_f64 v[14:15], v[14:15], 0.5
	v_fma_f64 v[18:19], -v[14:15], v[16:17], 0.5
	v_fmac_f64_e32 v[16:17], v[16:17], v[18:19]
	v_fmac_f64_e32 v[14:15], v[14:15], v[18:19]
	v_fma_f64 v[18:19], -v[16:17], v[16:17], v[2:3]
	v_fmac_f64_e32 v[16:17], v[18:19], v[14:15]
	v_fma_f64 v[18:19], -v[16:17], v[16:17], v[2:3]
	v_fmac_f64_e32 v[16:17], v[18:19], v[14:15]
	v_ldexp_f64 v[14:15], v[16:17], s4
	v_cndmask_b32_e32 v3, v15, v3, vcc
	v_cndmask_b32_e32 v2, v14, v2, vcc
	ds_write_b64 v7, v[2:3] offset:1392
.LBB28_103:
	s_or_b64 exec, exec, s[2:3]
	v_mov_b32_e32 v2, 0
	s_waitcnt lgkmcnt(0)
	ds_read_b64 v[2:3], v2 offset:1392
	v_mov_b32_e32 v7, 0x3ff00000
	s_waitcnt lgkmcnt(0)
	v_cmp_neq_f64_e32 vcc, 0, v[2:3]
	s_nop 1
	v_cndmask_b32_e32 v3, v7, v3, vcc
	s_nor_b64 s[4:5], vcc, s[0:1]
	v_cndmask_b32_e32 v2, 0, v2, vcc
	s_and_saveexec_b64 s[2:3], s[4:5]
	s_cbranch_execz .LBB28_107
; %bb.104:
	v_mbcnt_lo_u32_b32 v2, exec_lo, 0
	v_mbcnt_hi_u32_b32 v2, exec_hi, v2
	v_cmp_eq_u32_e32 vcc, 0, v2
	s_and_saveexec_b64 s[4:5], vcc
	s_cbranch_execz .LBB28_106
; %bb.105:
	v_mov_b32_e32 v2, 0
	v_mov_b32_e32 v3, s14
	global_atomic_smin v2, v3, s[10:11]
.LBB28_106:
	s_or_b64 exec, exec, s[4:5]
	v_mov_b64_e32 v[2:3], 1.0
.LBB28_107:
	s_or_b64 exec, exec, s[2:3]
	v_cmp_lt_u32_e32 vcc, 3, v9
	s_and_saveexec_b64 s[2:3], vcc
	s_cbranch_execz .LBB28_109
; %bb.108:
	ds_read_b64 v[14:15], v5 offset:24
	ds_read_b64 v[16:17], v12 offset:24
	s_waitcnt lgkmcnt(0)
	v_add_f64 v[14:15], v[14:15], -v[16:17]
	v_div_scale_f64 v[16:17], s[4:5], v[2:3], v[2:3], v[14:15]
	v_rcp_f64_e32 v[18:19], v[16:17]
	v_div_scale_f64 v[20:21], vcc, v[14:15], v[2:3], v[14:15]
	v_fma_f64 v[22:23], -v[16:17], v[18:19], 1.0
	v_fmac_f64_e32 v[18:19], v[18:19], v[22:23]
	v_fma_f64 v[22:23], -v[16:17], v[18:19], 1.0
	v_fmac_f64_e32 v[18:19], v[18:19], v[22:23]
	v_mul_f64 v[22:23], v[20:21], v[18:19]
	v_fma_f64 v[16:17], -v[16:17], v[22:23], v[20:21]
	v_div_fmas_f64 v[16:17], v[16:17], v[18:19], v[22:23]
	v_div_fixup_f64 v[2:3], v[16:17], v[2:3], v[14:15]
	ds_write_b64 v5, v[2:3] offset:24
	s_waitcnt lgkmcnt(0)
	ds_read_b64 v[14:15], v6 offset:24
	ds_read_b64 v[16:17], v10
	s_waitcnt lgkmcnt(0)
	v_fmac_f64_e32 v[16:17], v[2:3], v[14:15]
	ds_write_b64 v10, v[16:17]
.LBB28_109:
	s_or_b64 exec, exec, s[2:3]
	v_cmp_eq_u32_e32 vcc, 4, v9
	s_waitcnt lgkmcnt(0)
	s_and_saveexec_b64 s[2:3], vcc
	s_cbranch_execz .LBB28_111
; %bb.110:
	s_movk_i32 s4, 0x400
	v_add_u32_e64 v2, s4, 0
	ds_read2_b64 v[14:17], v2 offset0:56 offset1:128
	s_mov_b32 s4, 0
	s_brev_b32 s5, 8
	v_mov_b32_e32 v13, 0x260
	s_waitcnt lgkmcnt(0)
	v_add_f64 v[2:3], v[14:15], -v[16:17]
	v_xor_b32_e32 v7, 0x80000000, v3
	v_cmp_gt_f64_e32 vcc, 0, v[2:3]
	s_nop 1
	v_cndmask_b32_e32 v3, v3, v7, vcc
	v_cmp_gt_f64_e32 vcc, s[4:5], v[2:3]
	s_and_b64 s[4:5], vcc, exec
	s_cselect_b32 s4, 0x100, 0
	v_ldexp_f64 v[2:3], v[2:3], s4
	v_rsq_f64_e32 v[14:15], v[2:3]
	s_cselect_b32 s4, 0xffffff80, 0
	v_cmp_class_f64_e32 vcc, v[2:3], v13
	v_mov_b32_e32 v7, 0
	v_mul_f64 v[16:17], v[2:3], v[14:15]
	v_mul_f64 v[14:15], v[14:15], 0.5
	v_fma_f64 v[18:19], -v[14:15], v[16:17], 0.5
	v_fmac_f64_e32 v[16:17], v[16:17], v[18:19]
	v_fmac_f64_e32 v[14:15], v[14:15], v[18:19]
	v_fma_f64 v[18:19], -v[16:17], v[16:17], v[2:3]
	v_fmac_f64_e32 v[16:17], v[18:19], v[14:15]
	v_fma_f64 v[18:19], -v[16:17], v[16:17], v[2:3]
	v_fmac_f64_e32 v[16:17], v[18:19], v[14:15]
	v_ldexp_f64 v[14:15], v[16:17], s4
	v_cndmask_b32_e32 v3, v15, v3, vcc
	v_cndmask_b32_e32 v2, v14, v2, vcc
	ds_write_b64 v7, v[2:3] offset:1472
.LBB28_111:
	s_or_b64 exec, exec, s[2:3]
	v_mov_b32_e32 v2, 0
	s_waitcnt lgkmcnt(0)
	ds_read_b64 v[2:3], v2 offset:1472
	v_mov_b32_e32 v7, 0x3ff00000
	s_waitcnt lgkmcnt(0)
	v_cmp_neq_f64_e32 vcc, 0, v[2:3]
	s_nop 1
	v_cndmask_b32_e32 v3, v7, v3, vcc
	s_nor_b64 s[4:5], vcc, s[0:1]
	v_cndmask_b32_e32 v2, 0, v2, vcc
	s_and_saveexec_b64 s[2:3], s[4:5]
	s_cbranch_execz .LBB28_115
; %bb.112:
	v_mbcnt_lo_u32_b32 v2, exec_lo, 0
	v_mbcnt_hi_u32_b32 v2, exec_hi, v2
	v_cmp_eq_u32_e32 vcc, 0, v2
	s_and_saveexec_b64 s[4:5], vcc
	s_cbranch_execz .LBB28_114
; %bb.113:
	v_mov_b32_e32 v2, 0
	v_mov_b32_e32 v3, s14
	global_atomic_smin v2, v3, s[10:11]
.LBB28_114:
	s_or_b64 exec, exec, s[4:5]
	v_mov_b64_e32 v[2:3], 1.0
.LBB28_115:
	s_or_b64 exec, exec, s[2:3]
	v_cmp_lt_u32_e32 vcc, 4, v9
	s_and_saveexec_b64 s[2:3], vcc
	s_cbranch_execz .LBB28_117
; %bb.116:
	ds_read_b64 v[14:15], v5 offset:32
	ds_read_b64 v[16:17], v12 offset:32
	s_waitcnt lgkmcnt(0)
	v_add_f64 v[14:15], v[14:15], -v[16:17]
	v_div_scale_f64 v[16:17], s[4:5], v[2:3], v[2:3], v[14:15]
	v_rcp_f64_e32 v[18:19], v[16:17]
	v_div_scale_f64 v[20:21], vcc, v[14:15], v[2:3], v[14:15]
	v_fma_f64 v[22:23], -v[16:17], v[18:19], 1.0
	v_fmac_f64_e32 v[18:19], v[18:19], v[22:23]
	v_fma_f64 v[22:23], -v[16:17], v[18:19], 1.0
	v_fmac_f64_e32 v[18:19], v[18:19], v[22:23]
	v_mul_f64 v[22:23], v[20:21], v[18:19]
	v_fma_f64 v[16:17], -v[16:17], v[22:23], v[20:21]
	v_div_fmas_f64 v[16:17], v[16:17], v[18:19], v[22:23]
	v_div_fixup_f64 v[2:3], v[16:17], v[2:3], v[14:15]
	ds_write_b64 v5, v[2:3] offset:32
	s_waitcnt lgkmcnt(0)
	ds_read_b64 v[14:15], v6 offset:32
	ds_read_b64 v[16:17], v10
	s_waitcnt lgkmcnt(0)
	v_fmac_f64_e32 v[16:17], v[2:3], v[14:15]
	ds_write_b64 v10, v[16:17]
.LBB28_117:
	s_or_b64 exec, exec, s[2:3]
	v_cmp_eq_u32_e32 vcc, 5, v9
	s_waitcnt lgkmcnt(0)
	s_and_saveexec_b64 s[2:3], vcc
	s_cbranch_execz .LBB28_119
; %bb.118:
	s_movk_i32 s4, 0x400
	v_add_u32_e64 v2, s4, 0
	ds_read2_b64 v[14:17], v2 offset0:66 offset1:138
	s_mov_b32 s4, 0
	s_brev_b32 s5, 8
	v_mov_b32_e32 v13, 0x260
	s_waitcnt lgkmcnt(0)
	v_add_f64 v[2:3], v[14:15], -v[16:17]
	v_xor_b32_e32 v7, 0x80000000, v3
	v_cmp_gt_f64_e32 vcc, 0, v[2:3]
	s_nop 1
	v_cndmask_b32_e32 v3, v3, v7, vcc
	v_cmp_gt_f64_e32 vcc, s[4:5], v[2:3]
	s_and_b64 s[4:5], vcc, exec
	s_cselect_b32 s4, 0x100, 0
	v_ldexp_f64 v[2:3], v[2:3], s4
	v_rsq_f64_e32 v[14:15], v[2:3]
	s_cselect_b32 s4, 0xffffff80, 0
	v_cmp_class_f64_e32 vcc, v[2:3], v13
	v_mov_b32_e32 v7, 0
	v_mul_f64 v[16:17], v[2:3], v[14:15]
	v_mul_f64 v[14:15], v[14:15], 0.5
	v_fma_f64 v[18:19], -v[14:15], v[16:17], 0.5
	v_fmac_f64_e32 v[16:17], v[16:17], v[18:19]
	v_fmac_f64_e32 v[14:15], v[14:15], v[18:19]
	v_fma_f64 v[18:19], -v[16:17], v[16:17], v[2:3]
	v_fmac_f64_e32 v[16:17], v[18:19], v[14:15]
	v_fma_f64 v[18:19], -v[16:17], v[16:17], v[2:3]
	v_fmac_f64_e32 v[16:17], v[18:19], v[14:15]
	v_ldexp_f64 v[14:15], v[16:17], s4
	v_cndmask_b32_e32 v3, v15, v3, vcc
	v_cndmask_b32_e32 v2, v14, v2, vcc
	ds_write_b64 v7, v[2:3] offset:1552
.LBB28_119:
	s_or_b64 exec, exec, s[2:3]
	v_mov_b32_e32 v2, 0
	s_waitcnt lgkmcnt(0)
	ds_read_b64 v[2:3], v2 offset:1552
	v_mov_b32_e32 v7, 0x3ff00000
	s_waitcnt lgkmcnt(0)
	v_cmp_neq_f64_e32 vcc, 0, v[2:3]
	s_nop 1
	v_cndmask_b32_e32 v3, v7, v3, vcc
	s_nor_b64 s[4:5], vcc, s[0:1]
	v_cndmask_b32_e32 v2, 0, v2, vcc
	s_and_saveexec_b64 s[2:3], s[4:5]
	s_cbranch_execz .LBB28_123
; %bb.120:
	v_mbcnt_lo_u32_b32 v2, exec_lo, 0
	v_mbcnt_hi_u32_b32 v2, exec_hi, v2
	v_cmp_eq_u32_e32 vcc, 0, v2
	s_and_saveexec_b64 s[4:5], vcc
	s_cbranch_execz .LBB28_122
; %bb.121:
	v_mov_b32_e32 v2, 0
	v_mov_b32_e32 v3, s14
	global_atomic_smin v2, v3, s[10:11]
.LBB28_122:
	s_or_b64 exec, exec, s[4:5]
	v_mov_b64_e32 v[2:3], 1.0
.LBB28_123:
	s_or_b64 exec, exec, s[2:3]
	v_cmp_lt_u32_e32 vcc, 5, v9
	s_and_saveexec_b64 s[2:3], vcc
	s_cbranch_execz .LBB28_125
; %bb.124:
	ds_read_b64 v[14:15], v5 offset:40
	ds_read_b64 v[16:17], v12 offset:40
	s_waitcnt lgkmcnt(0)
	v_add_f64 v[14:15], v[14:15], -v[16:17]
	v_div_scale_f64 v[16:17], s[4:5], v[2:3], v[2:3], v[14:15]
	v_rcp_f64_e32 v[18:19], v[16:17]
	v_div_scale_f64 v[20:21], vcc, v[14:15], v[2:3], v[14:15]
	v_fma_f64 v[22:23], -v[16:17], v[18:19], 1.0
	v_fmac_f64_e32 v[18:19], v[18:19], v[22:23]
	v_fma_f64 v[22:23], -v[16:17], v[18:19], 1.0
	v_fmac_f64_e32 v[18:19], v[18:19], v[22:23]
	v_mul_f64 v[22:23], v[20:21], v[18:19]
	v_fma_f64 v[16:17], -v[16:17], v[22:23], v[20:21]
	v_div_fmas_f64 v[16:17], v[16:17], v[18:19], v[22:23]
	v_div_fixup_f64 v[2:3], v[16:17], v[2:3], v[14:15]
	ds_write_b64 v5, v[2:3] offset:40
	s_waitcnt lgkmcnt(0)
	ds_read_b64 v[14:15], v6 offset:40
	ds_read_b64 v[16:17], v10
	s_waitcnt lgkmcnt(0)
	v_fmac_f64_e32 v[16:17], v[2:3], v[14:15]
	ds_write_b64 v10, v[16:17]
.LBB28_125:
	s_or_b64 exec, exec, s[2:3]
	v_cmp_eq_u32_e32 vcc, 6, v9
	s_waitcnt lgkmcnt(0)
	s_and_saveexec_b64 s[2:3], vcc
	s_cbranch_execz .LBB28_127
; %bb.126:
	s_movk_i32 s4, 0x400
	v_add_u32_e64 v2, s4, 0
	ds_read2_b64 v[14:17], v2 offset0:76 offset1:148
	s_mov_b32 s4, 0
	s_brev_b32 s5, 8
	v_mov_b32_e32 v13, 0x260
	s_waitcnt lgkmcnt(0)
	v_add_f64 v[2:3], v[14:15], -v[16:17]
	v_xor_b32_e32 v7, 0x80000000, v3
	v_cmp_gt_f64_e32 vcc, 0, v[2:3]
	s_nop 1
	v_cndmask_b32_e32 v3, v3, v7, vcc
	v_cmp_gt_f64_e32 vcc, s[4:5], v[2:3]
	s_and_b64 s[4:5], vcc, exec
	s_cselect_b32 s4, 0x100, 0
	v_ldexp_f64 v[2:3], v[2:3], s4
	v_rsq_f64_e32 v[14:15], v[2:3]
	s_cselect_b32 s4, 0xffffff80, 0
	v_cmp_class_f64_e32 vcc, v[2:3], v13
	v_mov_b32_e32 v7, 0
	v_mul_f64 v[16:17], v[2:3], v[14:15]
	v_mul_f64 v[14:15], v[14:15], 0.5
	v_fma_f64 v[18:19], -v[14:15], v[16:17], 0.5
	v_fmac_f64_e32 v[16:17], v[16:17], v[18:19]
	v_fmac_f64_e32 v[14:15], v[14:15], v[18:19]
	v_fma_f64 v[18:19], -v[16:17], v[16:17], v[2:3]
	v_fmac_f64_e32 v[16:17], v[18:19], v[14:15]
	v_fma_f64 v[18:19], -v[16:17], v[16:17], v[2:3]
	v_fmac_f64_e32 v[16:17], v[18:19], v[14:15]
	v_ldexp_f64 v[14:15], v[16:17], s4
	v_cndmask_b32_e32 v3, v15, v3, vcc
	v_cndmask_b32_e32 v2, v14, v2, vcc
	ds_write_b64 v7, v[2:3] offset:1632
.LBB28_127:
	s_or_b64 exec, exec, s[2:3]
	v_mov_b32_e32 v2, 0
	s_waitcnt lgkmcnt(0)
	ds_read_b64 v[2:3], v2 offset:1632
	v_mov_b32_e32 v7, 0x3ff00000
	s_waitcnt lgkmcnt(0)
	v_cmp_neq_f64_e32 vcc, 0, v[2:3]
	s_nop 1
	v_cndmask_b32_e32 v3, v7, v3, vcc
	s_nor_b64 s[4:5], vcc, s[0:1]
	v_cndmask_b32_e32 v2, 0, v2, vcc
	s_and_saveexec_b64 s[2:3], s[4:5]
	s_cbranch_execz .LBB28_131
; %bb.128:
	v_mbcnt_lo_u32_b32 v2, exec_lo, 0
	v_mbcnt_hi_u32_b32 v2, exec_hi, v2
	v_cmp_eq_u32_e32 vcc, 0, v2
	s_and_saveexec_b64 s[4:5], vcc
	s_cbranch_execz .LBB28_130
; %bb.129:
	v_mov_b32_e32 v2, 0
	v_mov_b32_e32 v3, s14
	global_atomic_smin v2, v3, s[10:11]
.LBB28_130:
	s_or_b64 exec, exec, s[4:5]
	v_mov_b64_e32 v[2:3], 1.0
.LBB28_131:
	s_or_b64 exec, exec, s[2:3]
	v_cmp_lt_u32_e32 vcc, 6, v9
	s_and_saveexec_b64 s[2:3], vcc
	s_cbranch_execz .LBB28_133
; %bb.132:
	ds_read_b64 v[14:15], v5 offset:48
	ds_read_b64 v[16:17], v12 offset:48
	s_waitcnt lgkmcnt(0)
	v_add_f64 v[14:15], v[14:15], -v[16:17]
	v_div_scale_f64 v[16:17], s[4:5], v[2:3], v[2:3], v[14:15]
	v_rcp_f64_e32 v[18:19], v[16:17]
	v_div_scale_f64 v[20:21], vcc, v[14:15], v[2:3], v[14:15]
	v_fma_f64 v[22:23], -v[16:17], v[18:19], 1.0
	v_fmac_f64_e32 v[18:19], v[18:19], v[22:23]
	v_fma_f64 v[22:23], -v[16:17], v[18:19], 1.0
	v_fmac_f64_e32 v[18:19], v[18:19], v[22:23]
	v_mul_f64 v[22:23], v[20:21], v[18:19]
	v_fma_f64 v[16:17], -v[16:17], v[22:23], v[20:21]
	v_div_fmas_f64 v[16:17], v[16:17], v[18:19], v[22:23]
	v_div_fixup_f64 v[2:3], v[16:17], v[2:3], v[14:15]
	ds_write_b64 v5, v[2:3] offset:48
	s_waitcnt lgkmcnt(0)
	ds_read_b64 v[14:15], v6 offset:48
	ds_read_b64 v[16:17], v10
	s_waitcnt lgkmcnt(0)
	v_fmac_f64_e32 v[16:17], v[2:3], v[14:15]
	ds_write_b64 v10, v[16:17]
.LBB28_133:
	s_or_b64 exec, exec, s[2:3]
	v_cmp_eq_u32_e32 vcc, 7, v9
	s_waitcnt lgkmcnt(0)
	s_and_saveexec_b64 s[2:3], vcc
	s_cbranch_execz .LBB28_135
; %bb.134:
	s_movk_i32 s4, 0x400
	v_add_u32_e64 v2, s4, 0
	ds_read2_b64 v[14:17], v2 offset0:86 offset1:158
	s_mov_b32 s4, 0
	s_brev_b32 s5, 8
	v_mov_b32_e32 v13, 0x260
	s_waitcnt lgkmcnt(0)
	v_add_f64 v[2:3], v[14:15], -v[16:17]
	v_xor_b32_e32 v7, 0x80000000, v3
	v_cmp_gt_f64_e32 vcc, 0, v[2:3]
	s_nop 1
	v_cndmask_b32_e32 v3, v3, v7, vcc
	v_cmp_gt_f64_e32 vcc, s[4:5], v[2:3]
	s_and_b64 s[4:5], vcc, exec
	s_cselect_b32 s4, 0x100, 0
	v_ldexp_f64 v[2:3], v[2:3], s4
	v_rsq_f64_e32 v[14:15], v[2:3]
	s_cselect_b32 s4, 0xffffff80, 0
	v_cmp_class_f64_e32 vcc, v[2:3], v13
	v_mov_b32_e32 v7, 0
	v_mul_f64 v[16:17], v[2:3], v[14:15]
	v_mul_f64 v[14:15], v[14:15], 0.5
	v_fma_f64 v[18:19], -v[14:15], v[16:17], 0.5
	v_fmac_f64_e32 v[16:17], v[16:17], v[18:19]
	v_fmac_f64_e32 v[14:15], v[14:15], v[18:19]
	v_fma_f64 v[18:19], -v[16:17], v[16:17], v[2:3]
	v_fmac_f64_e32 v[16:17], v[18:19], v[14:15]
	v_fma_f64 v[18:19], -v[16:17], v[16:17], v[2:3]
	v_fmac_f64_e32 v[16:17], v[18:19], v[14:15]
	v_ldexp_f64 v[14:15], v[16:17], s4
	v_cndmask_b32_e32 v3, v15, v3, vcc
	v_cndmask_b32_e32 v2, v14, v2, vcc
	ds_write_b64 v7, v[2:3] offset:1712
.LBB28_135:
	s_or_b64 exec, exec, s[2:3]
	v_mov_b32_e32 v2, 0
	s_waitcnt lgkmcnt(0)
	ds_read_b64 v[2:3], v2 offset:1712
	v_mov_b32_e32 v7, 0x3ff00000
	s_waitcnt lgkmcnt(0)
	v_cmp_neq_f64_e32 vcc, 0, v[2:3]
	s_nop 1
	v_cndmask_b32_e32 v3, v7, v3, vcc
	s_nor_b64 s[2:3], vcc, s[0:1]
	v_cndmask_b32_e32 v2, 0, v2, vcc
	s_and_saveexec_b64 s[0:1], s[2:3]
	s_cbranch_execz .LBB28_139
; %bb.136:
	v_mbcnt_lo_u32_b32 v2, exec_lo, 0
	v_mbcnt_hi_u32_b32 v2, exec_hi, v2
	v_cmp_eq_u32_e32 vcc, 0, v2
	s_and_saveexec_b64 s[2:3], vcc
	s_cbranch_execz .LBB28_138
; %bb.137:
	v_mov_b32_e32 v2, 0
	v_mov_b32_e32 v3, s14
	global_atomic_smin v2, v3, s[10:11]
.LBB28_138:
	s_or_b64 exec, exec, s[2:3]
	v_mov_b64_e32 v[2:3], 1.0
.LBB28_139:
	s_or_b64 exec, exec, s[0:1]
	v_cmp_lt_u32_e32 vcc, 7, v9
	s_and_saveexec_b64 s[0:1], vcc
	s_cbranch_execz .LBB28_141
; %bb.140:
	ds_read_b64 v[14:15], v5 offset:56
	ds_read_b64 v[12:13], v12 offset:56
	s_waitcnt lgkmcnt(0)
	v_add_f64 v[12:13], v[14:15], -v[12:13]
	v_div_scale_f64 v[14:15], s[2:3], v[2:3], v[2:3], v[12:13]
	v_rcp_f64_e32 v[16:17], v[14:15]
	v_div_scale_f64 v[18:19], vcc, v[12:13], v[2:3], v[12:13]
	v_fma_f64 v[20:21], -v[14:15], v[16:17], 1.0
	v_fmac_f64_e32 v[16:17], v[16:17], v[20:21]
	v_fma_f64 v[20:21], -v[14:15], v[16:17], 1.0
	v_fmac_f64_e32 v[16:17], v[16:17], v[20:21]
	v_mul_f64 v[20:21], v[18:19], v[16:17]
	v_fma_f64 v[14:15], -v[14:15], v[20:21], v[18:19]
	v_div_fmas_f64 v[14:15], v[14:15], v[16:17], v[20:21]
	v_div_fixup_f64 v[2:3], v[14:15], v[2:3], v[12:13]
	ds_write_b64 v5, v[2:3] offset:56
	s_waitcnt lgkmcnt(0)
	ds_read_b64 v[6:7], v6 offset:56
	ds_read_b64 v[12:13], v10
	s_waitcnt lgkmcnt(0)
	v_fmac_f64_e32 v[12:13], v[2:3], v[6:7]
	ds_write_b64 v10, v[12:13]
.LBB28_141:
	s_or_b64 exec, exec, s[0:1]
	s_waitcnt lgkmcnt(0)
	ds_read_b64 v[2:3], v4
	v_cmp_eq_u32_e32 vcc, 0, v11
	s_waitcnt lgkmcnt(0)
	global_store_dwordx2 v[0:1], v[2:3], off
	s_and_saveexec_b64 s[0:1], vcc
	s_cbranch_execz .LBB28_143
; %bb.142:
	s_add_u32 s2, s6, s8
	s_addc_u32 s3, s7, s9
	v_mov_b32_e32 v0, 0
	v_mov_b32_e32 v1, 1
	buffer_wbl2 sc1
	s_waitcnt vmcnt(0)
	global_store_dword v0, v1, s[2:3] sc1
.LBB28_143:
	s_or_b64 exec, exec, s[0:1]
	s_branch .LBB28_17
.LBB28_144:
	v_or_b32_e32 v0, v8, v9
	v_cmp_eq_u32_e32 vcc, 0, v0
	s_and_saveexec_b64 s[0:1], vcc
	s_cbranch_execz .LBB28_17
; %bb.145:
	v_mbcnt_lo_u32_b32 v0, exec_lo, 0
	v_mbcnt_hi_u32_b32 v0, exec_hi, v0
	v_cmp_eq_u32_e32 vcc, 0, v0
	s_and_saveexec_b64 s[0:1], vcc
	s_cbranch_execz .LBB28_147
; %bb.146:
	s_add_i32 s2, s16, s17
	v_mov_b32_e32 v0, 0
	v_mov_b32_e32 v1, s2
	global_atomic_smin v0, v1, s[10:11]
.LBB28_147:
	s_or_b64 exec, exec, s[0:1]
	s_add_u32 s0, s6, s8
	s_addc_u32 s1, s7, s9
	v_mov_b32_e32 v0, 0
	v_mov_b32_e32 v1, 1
	buffer_wbl2 sc1
	s_waitcnt vmcnt(0)
	global_store_dword v0, v1, s[0:1] sc1
	s_endpgm
	.section	.rodata,"a",@progbits
	.p2align	6, 0x0
	.amdhsa_kernel _ZN9rocsparseL26bsric0_2_8_unrolled_kernelILi64ELi32ELi8EdEEv20rocsparse_direction_iiPKiS3_PT2_S3_PiS3_S6_21rocsparse_index_base_
		.amdhsa_group_segment_fixed_size 2688
		.amdhsa_private_segment_fixed_size 0
		.amdhsa_kernarg_size 76
		.amdhsa_user_sgpr_count 2
		.amdhsa_user_sgpr_dispatch_ptr 0
		.amdhsa_user_sgpr_queue_ptr 0
		.amdhsa_user_sgpr_kernarg_segment_ptr 1
		.amdhsa_user_sgpr_dispatch_id 0
		.amdhsa_user_sgpr_kernarg_preload_length 0
		.amdhsa_user_sgpr_kernarg_preload_offset 0
		.amdhsa_user_sgpr_private_segment_size 0
		.amdhsa_uses_dynamic_stack 0
		.amdhsa_enable_private_segment 0
		.amdhsa_system_sgpr_workgroup_id_x 1
		.amdhsa_system_sgpr_workgroup_id_y 0
		.amdhsa_system_sgpr_workgroup_id_z 0
		.amdhsa_system_sgpr_workgroup_info 0
		.amdhsa_system_vgpr_workitem_id 1
		.amdhsa_next_free_vgpr 68
		.amdhsa_next_free_sgpr 40
		.amdhsa_accum_offset 68
		.amdhsa_reserve_vcc 1
		.amdhsa_float_round_mode_32 0
		.amdhsa_float_round_mode_16_64 0
		.amdhsa_float_denorm_mode_32 3
		.amdhsa_float_denorm_mode_16_64 3
		.amdhsa_dx10_clamp 1
		.amdhsa_ieee_mode 1
		.amdhsa_fp16_overflow 0
		.amdhsa_tg_split 0
		.amdhsa_exception_fp_ieee_invalid_op 0
		.amdhsa_exception_fp_denorm_src 0
		.amdhsa_exception_fp_ieee_div_zero 0
		.amdhsa_exception_fp_ieee_overflow 0
		.amdhsa_exception_fp_ieee_underflow 0
		.amdhsa_exception_fp_ieee_inexact 0
		.amdhsa_exception_int_div_zero 0
	.end_amdhsa_kernel
	.section	.text._ZN9rocsparseL26bsric0_2_8_unrolled_kernelILi64ELi32ELi8EdEEv20rocsparse_direction_iiPKiS3_PT2_S3_PiS3_S6_21rocsparse_index_base_,"axG",@progbits,_ZN9rocsparseL26bsric0_2_8_unrolled_kernelILi64ELi32ELi8EdEEv20rocsparse_direction_iiPKiS3_PT2_S3_PiS3_S6_21rocsparse_index_base_,comdat
.Lfunc_end28:
	.size	_ZN9rocsparseL26bsric0_2_8_unrolled_kernelILi64ELi32ELi8EdEEv20rocsparse_direction_iiPKiS3_PT2_S3_PiS3_S6_21rocsparse_index_base_, .Lfunc_end28-_ZN9rocsparseL26bsric0_2_8_unrolled_kernelILi64ELi32ELi8EdEEv20rocsparse_direction_iiPKiS3_PT2_S3_PiS3_S6_21rocsparse_index_base_
                                        ; -- End function
	.set _ZN9rocsparseL26bsric0_2_8_unrolled_kernelILi64ELi32ELi8EdEEv20rocsparse_direction_iiPKiS3_PT2_S3_PiS3_S6_21rocsparse_index_base_.num_vgpr, 68
	.set _ZN9rocsparseL26bsric0_2_8_unrolled_kernelILi64ELi32ELi8EdEEv20rocsparse_direction_iiPKiS3_PT2_S3_PiS3_S6_21rocsparse_index_base_.num_agpr, 0
	.set _ZN9rocsparseL26bsric0_2_8_unrolled_kernelILi64ELi32ELi8EdEEv20rocsparse_direction_iiPKiS3_PT2_S3_PiS3_S6_21rocsparse_index_base_.numbered_sgpr, 40
	.set _ZN9rocsparseL26bsric0_2_8_unrolled_kernelILi64ELi32ELi8EdEEv20rocsparse_direction_iiPKiS3_PT2_S3_PiS3_S6_21rocsparse_index_base_.num_named_barrier, 0
	.set _ZN9rocsparseL26bsric0_2_8_unrolled_kernelILi64ELi32ELi8EdEEv20rocsparse_direction_iiPKiS3_PT2_S3_PiS3_S6_21rocsparse_index_base_.private_seg_size, 0
	.set _ZN9rocsparseL26bsric0_2_8_unrolled_kernelILi64ELi32ELi8EdEEv20rocsparse_direction_iiPKiS3_PT2_S3_PiS3_S6_21rocsparse_index_base_.uses_vcc, 1
	.set _ZN9rocsparseL26bsric0_2_8_unrolled_kernelILi64ELi32ELi8EdEEv20rocsparse_direction_iiPKiS3_PT2_S3_PiS3_S6_21rocsparse_index_base_.uses_flat_scratch, 0
	.set _ZN9rocsparseL26bsric0_2_8_unrolled_kernelILi64ELi32ELi8EdEEv20rocsparse_direction_iiPKiS3_PT2_S3_PiS3_S6_21rocsparse_index_base_.has_dyn_sized_stack, 0
	.set _ZN9rocsparseL26bsric0_2_8_unrolled_kernelILi64ELi32ELi8EdEEv20rocsparse_direction_iiPKiS3_PT2_S3_PiS3_S6_21rocsparse_index_base_.has_recursion, 0
	.set _ZN9rocsparseL26bsric0_2_8_unrolled_kernelILi64ELi32ELi8EdEEv20rocsparse_direction_iiPKiS3_PT2_S3_PiS3_S6_21rocsparse_index_base_.has_indirect_call, 0
	.section	.AMDGPU.csdata,"",@progbits
; Kernel info:
; codeLenInByte = 9516
; TotalNumSgprs: 46
; NumVgprs: 68
; NumAgprs: 0
; TotalNumVgprs: 68
; ScratchSize: 0
; MemoryBound: 1
; FloatMode: 240
; IeeeMode: 1
; LDSByteSize: 2688 bytes/workgroup (compile time only)
; SGPRBlocks: 5
; VGPRBlocks: 8
; NumSGPRsForWavesPerEU: 46
; NumVGPRsForWavesPerEU: 68
; AccumOffset: 68
; Occupancy: 7
; WaveLimiterHint : 1
; COMPUTE_PGM_RSRC2:SCRATCH_EN: 0
; COMPUTE_PGM_RSRC2:USER_SGPR: 2
; COMPUTE_PGM_RSRC2:TRAP_HANDLER: 0
; COMPUTE_PGM_RSRC2:TGID_X_EN: 1
; COMPUTE_PGM_RSRC2:TGID_Y_EN: 0
; COMPUTE_PGM_RSRC2:TGID_Z_EN: 0
; COMPUTE_PGM_RSRC2:TIDIG_COMP_CNT: 1
; COMPUTE_PGM_RSRC3_GFX90A:ACCUM_OFFSET: 16
; COMPUTE_PGM_RSRC3_GFX90A:TG_SPLIT: 0
	.section	.text._ZN9rocsparseL18bsric0_9_16_kernelILi64ELi32ELi16EdEEv20rocsparse_direction_iiPKiS3_PT2_S3_PiS3_S6_21rocsparse_index_base_,"axG",@progbits,_ZN9rocsparseL18bsric0_9_16_kernelILi64ELi32ELi16EdEEv20rocsparse_direction_iiPKiS3_PT2_S3_PiS3_S6_21rocsparse_index_base_,comdat
	.globl	_ZN9rocsparseL18bsric0_9_16_kernelILi64ELi32ELi16EdEEv20rocsparse_direction_iiPKiS3_PT2_S3_PiS3_S6_21rocsparse_index_base_ ; -- Begin function _ZN9rocsparseL18bsric0_9_16_kernelILi64ELi32ELi16EdEEv20rocsparse_direction_iiPKiS3_PT2_S3_PiS3_S6_21rocsparse_index_base_
	.p2align	8
	.type	_ZN9rocsparseL18bsric0_9_16_kernelILi64ELi32ELi16EdEEv20rocsparse_direction_iiPKiS3_PT2_S3_PiS3_S6_21rocsparse_index_base_,@function
_ZN9rocsparseL18bsric0_9_16_kernelILi64ELi32ELi16EdEEv20rocsparse_direction_iiPKiS3_PT2_S3_PiS3_S6_21rocsparse_index_base_: ; @_ZN9rocsparseL18bsric0_9_16_kernelILi64ELi32ELi16EdEEv20rocsparse_direction_iiPKiS3_PT2_S3_PiS3_S6_21rocsparse_index_base_
; %bb.0:
	s_load_dwordx8 s[8:15], s[0:1], 0x28
	s_mov_b32 s3, 0
	s_lshl_b64 s[2:3], s[2:3], 2
	v_and_b32_e32 v1, 0x3ff, v0
	v_bfe_u32 v0, v0, 10, 10
	s_waitcnt lgkmcnt(0)
	s_add_u32 s2, s12, s2
	s_addc_u32 s3, s13, s3
	s_load_dword s12, s[2:3], 0x0
	s_waitcnt lgkmcnt(0)
	s_ashr_i32 s13, s12, 31
	s_lshl_b64 s[6:7], s[12:13], 2
	s_add_u32 s2, s8, s6
	s_addc_u32 s3, s9, s7
	s_load_dword s33, s[2:3], 0x0
	s_load_dword s13, s[0:1], 0x48
	s_waitcnt lgkmcnt(0)
	s_cmp_lg_u32 s33, -1
	s_cbranch_scc0 .LBB29_128
; %bb.1:
	s_load_dwordx4 s[16:19], s[0:1], 0x10
	s_load_dwordx2 s[20:21], s[0:1], 0x20
	v_lshlrev_b32_e32 v2, 2, v0
	s_waitcnt lgkmcnt(0)
	s_add_u32 s2, s16, s6
	s_addc_u32 s3, s17, s7
	s_load_dword s2, s[2:3], 0x0
	s_waitcnt lgkmcnt(0)
	s_sub_i32 s46, s2, s13
	v_add3_u32 v2, v2, v1, s46
	v_cmp_ge_i32_e32 vcc, s33, v2
	s_and_saveexec_b64 s[2:3], vcc
	s_cbranch_execz .LBB29_4
; %bb.2:
	v_lshlrev_b32_e32 v3, 4, v0
	v_lshlrev_b32_e32 v4, 2, v1
	s_movk_i32 s4, 0x2300
	v_add3_u32 v4, v3, v4, s4
	s_mov_b64 s[4:5], 0
.LBB29_3:                               ; =>This Inner Loop Header: Depth=1
	v_ashrrev_i32_e32 v3, 31, v2
	v_lshl_add_u64 v[6:7], v[2:3], 2, s[18:19]
	global_load_dword v3, v[6:7], off
	v_add_u32_e32 v2, 64, v2
	v_cmp_lt_i32_e32 vcc, s33, v2
	s_or_b64 s[4:5], vcc, s[4:5]
	s_waitcnt vmcnt(0)
	v_subrev_u32_e32 v3, s13, v3
	ds_write_b32 v4, v3
	v_add_u32_e32 v4, 0x100, v4
	s_andn2_b64 exec, exec, s[4:5]
	s_cbranch_execnz .LBB29_3
.LBB29_4:
	s_or_b64 exec, exec, s[2:3]
	v_cmp_gt_u32_e32 vcc, 16, v1
	v_lshlrev_b32_e32 v14, 3, v1
	s_and_saveexec_b64 s[2:3], vcc
	s_cbranch_execz .LBB29_7
; %bb.5:
	v_mul_u32_u24_e32 v3, 0x88, v0
	s_movk_i32 s4, 0x1980
	v_mov_b32_e32 v4, 0
	v_add_u32_e32 v2, -4, v1
	v_add3_u32 v3, v3, v14, s4
	s_mov_b64 s[4:5], 0
	v_mov_b32_e32 v5, v4
.LBB29_6:                               ; =>This Inner Loop Header: Depth=1
	v_add_u32_e32 v2, 4, v2
	v_cmp_lt_u32_e32 vcc, 11, v2
	ds_write_b64 v3, v[4:5]
	s_or_b64 s[4:5], vcc, s[4:5]
	v_add_u32_e32 v3, 32, v3
	s_andn2_b64 exec, exec, s[4:5]
	s_cbranch_execnz .LBB29_6
.LBB29_7:
	s_or_b64 exec, exec, s[2:3]
	s_load_dword s44, s[0:1], 0x8
	s_load_dword s45, s[0:1], 0x0
	s_cmp_ge_i32 s46, s33
	s_waitcnt lgkmcnt(0)
	v_cmp_gt_i32_e64 s[0:1], s44, v1
	s_cbranch_scc1 .LBB29_89
; %bb.8:
	s_movk_i32 s26, 0x88
	v_mov_b32_e32 v3, 0x880
	s_cmp_lg_u32 s45, 0
	v_mov_b32_e32 v2, 0x1100
	v_mad_u32_u24 v16, v0, s26, v3
	v_or_b32_e32 v3, v1, v0
	s_mul_i32 s27, s44, s46
	s_cselect_b64 s[22:23], -1, 0
	v_mad_u32_u24 v15, v0, s26, v2
	s_cmp_gt_i32 s44, 0
	v_cmp_ne_u32_e64 s[4:5], 0, v3
	v_mad_u32_u24 v18, v0, s26, v14
	v_add_u32_e32 v3, s27, v0
	v_mad_u32_u24 v23, v1, s26, v2
	v_mov_b32_e32 v2, 0
	v_cmp_gt_i32_e64 s[2:3], s44, v0
	s_mul_i32 s47, s44, s44
	v_mul_lo_u32 v17, s44, v0
	s_cselect_b64 s[24:25], -1, 0
	v_add_u32_e32 v19, 0x880, v18
	v_mul_lo_u32 v21, s44, v3
	v_mul_lo_u32 v20, v1, s44
	s_lshl_b32 s48, s44, 2
	v_add_u32_e32 v22, 0x1980, v18
	v_add_u32_e32 v24, 0x1100, v18
	v_mov_b32_e32 v3, v2
	v_mov_b32_e32 v25, 0x3ff00000
	s_mov_b32 s26, s46
	s_branch .LBB29_10
.LBB29_9:                               ;   in Loop: Header=BB29_10 Depth=1
	s_or_b64 exec, exec, s[28:29]
	s_add_i32 s26, s26, 1
	s_cmp_ge_i32 s26, s33
	buffer_wbl2 sc1
	s_waitcnt vmcnt(0)
	buffer_inv sc1
	v_add_u32_e32 v21, s47, v21
	s_cselect_b64 s[28:29], -1, 0
	s_and_b64 vcc, exec, s[28:29]
	s_cbranch_vccnz .LBB29_89
.LBB29_10:                              ; =>This Loop Header: Depth=1
                                        ;     Child Loop BB29_14 Depth 2
                                        ;     Child Loop BB29_26 Depth 2
	;; [unrolled: 1-line block ×5, first 2 shown]
                                        ;       Child Loop BB29_56 Depth 3
                                        ;     Child Loop BB29_70 Depth 2
                                        ;       Child Loop BB29_75 Depth 3
                                        ;       Child Loop BB29_78 Depth 3
                                        ;     Child Loop BB29_84 Depth 2
	s_ashr_i32 s27, s26, 31
	s_lshl_b64 s[28:29], s[26:27], 2
	s_add_u32 s28, s18, s28
	s_addc_u32 s29, s19, s29
	s_load_dword s49, s[28:29], 0x0
	s_waitcnt lgkmcnt(0)
	s_sub_i32 s30, s49, s13
	s_ashr_i32 s31, s30, 31
	s_lshl_b64 s[28:29], s[30:31], 2
	s_add_u32 s34, s8, s28
	s_addc_u32 s35, s9, s29
	s_load_dword s31, s[34:35], 0x0
	s_waitcnt lgkmcnt(0)
	s_cmp_eq_u32 s31, -1
	s_cbranch_scc1 .LBB29_88
; %bb.11:                               ;   in Loop: Header=BB29_10 Depth=1
	s_add_u32 s34, s16, s28
	s_addc_u32 s35, s17, s29
	s_load_dword s50, s[34:35], 0x0
	s_mul_i32 s27, s26, s44
	s_and_saveexec_b64 s[34:35], s[0:1]
	s_cbranch_execz .LBB29_24
; %bb.12:                               ;   in Loop: Header=BB29_10 Depth=1
	s_mov_b64 s[36:37], 0
	v_mov_b32_e32 v6, v19
	v_mov_b32_e32 v7, v1
	s_branch .LBB29_14
.LBB29_13:                              ;   in Loop: Header=BB29_14 Depth=2
	s_or_b64 exec, exec, s[40:41]
	v_add_u32_e32 v7, 4, v7
	v_cmp_le_i32_e32 vcc, s44, v7
	s_waitcnt vmcnt(0)
	ds_write_b64 v6, v[8:9] offset:2176
	ds_write_b64 v6, v[2:3]
	s_or_b64 s[36:37], vcc, s[36:37]
	v_add_u32_e32 v6, 32, v6
	s_andn2_b64 exec, exec, s[36:37]
	s_cbranch_execz .LBB29_24
.LBB29_14:                              ;   Parent Loop BB29_10 Depth=1
                                        ; =>  This Inner Loop Header: Depth=2
	s_and_b64 vcc, exec, s[22:23]
	s_cbranch_vccz .LBB29_21
; %bb.15:                               ;   in Loop: Header=BB29_14 Depth=2
	s_mov_b64 s[40:41], 0
	s_mov_b64 s[38:39], 0
                                        ; implicit-def: $vgpr4
	s_and_saveexec_b64 s[42:43], s[2:3]
	s_xor_b64 s[42:43], exec, s[42:43]
; %bb.16:                               ;   in Loop: Header=BB29_14 Depth=2
	v_add_u32_e32 v4, s27, v7
	s_mov_b64 s[38:39], exec
	v_mad_u64_u32 v[4:5], s[52:53], v4, s44, v[0:1]
; %bb.17:                               ;   in Loop: Header=BB29_14 Depth=2
	s_or_b64 exec, exec, s[42:43]
	s_and_b64 vcc, exec, s[40:41]
	s_cbranch_vccz .LBB29_22
.LBB29_18:                              ;   in Loop: Header=BB29_14 Depth=2
                                        ; implicit-def: $vgpr4
	s_and_saveexec_b64 s[40:41], s[2:3]
; %bb.19:                               ;   in Loop: Header=BB29_14 Depth=2
	v_add_u32_e32 v4, v21, v7
	s_or_b64 s[38:39], s[38:39], exec
; %bb.20:                               ;   in Loop: Header=BB29_14 Depth=2
	s_or_b64 exec, exec, s[40:41]
	v_mov_b64_e32 v[8:9], 0
	s_and_saveexec_b64 s[40:41], s[38:39]
	s_cbranch_execz .LBB29_13
	s_branch .LBB29_23
.LBB29_21:                              ;   in Loop: Header=BB29_14 Depth=2
	s_mov_b64 s[38:39], 0
                                        ; implicit-def: $vgpr4
	s_cbranch_execnz .LBB29_18
.LBB29_22:                              ;   in Loop: Header=BB29_14 Depth=2
	v_mov_b64_e32 v[8:9], 0
	s_and_saveexec_b64 s[40:41], s[38:39]
	s_cbranch_execz .LBB29_13
.LBB29_23:                              ;   in Loop: Header=BB29_14 Depth=2
	v_ashrrev_i32_e32 v5, 31, v4
	v_lshl_add_u64 v[4:5], v[4:5], 3, s[20:21]
	global_load_dwordx2 v[8:9], v[4:5], off
	s_branch .LBB29_13
.LBB29_24:                              ;   in Loop: Header=BB29_10 Depth=1
	s_or_b64 exec, exec, s[34:35]
	ds_read_b32 v4, v2 offset:8960
	s_waitcnt lgkmcnt(0)
	s_sub_i32 s34, s50, s13
	s_cmp_le_i32 s34, s31
	s_cselect_b64 s[36:37], -1, 0
	s_mov_b32 s40, 0
	v_cmp_ge_i32_e32 vcc, s30, v4
	s_and_b64 s[36:37], s[36:37], vcc
	s_andn2_b64 vcc, exec, s[36:37]
	s_cbranch_vccnz .LBB29_36
; %bb.25:                               ;   in Loop: Header=BB29_10 Depth=1
	s_mov_b32 s38, 0
	s_mov_b32 s39, 0
.LBB29_26:                              ;   Parent Loop BB29_10 Depth=1
                                        ; =>  This Inner Loop Header: Depth=2
	s_ashr_i32 s35, s34, 31
	s_lshl_b64 s[36:37], s[34:35], 2
	s_add_u32 s36, s18, s36
	s_addc_u32 s37, s19, s37
	s_load_dword s35, s[36:37], 0x0
	s_lshl_b32 s36, s39, 2
	v_mov_b32_e32 v4, s36
	ds_read_b32 v4, v4 offset:8960
	s_mov_b64 s[36:37], -1
	s_waitcnt lgkmcnt(0)
	s_sub_i32 s43, s35, s13
                                        ; implicit-def: $sgpr40
                                        ; implicit-def: $sgpr42
                                        ; implicit-def: $sgpr41
	v_cmp_ge_i32_e32 vcc, s43, v4
	v_readfirstlane_b32 s35, v4
	s_cbranch_vccz .LBB29_32
; %bb.27:                               ;   in Loop: Header=BB29_26 Depth=2
	s_cmp_le_i32 s43, s35
                                        ; implicit-def: $sgpr40
                                        ; implicit-def: $sgpr42
                                        ; implicit-def: $sgpr41
	s_cbranch_scc0 .LBB29_29
; %bb.28:                               ;   in Loop: Header=BB29_26 Depth=2
	s_add_i32 s36, s39, s46
	s_mul_i32 s36, s36, s47
	s_lshl_b32 s37, s38, 2
	v_mov_b32_e32 v4, s37
	v_mov_b32_e32 v5, s36
	s_mul_i32 s36, s34, s47
	v_mov_b32_e32 v6, s36
	v_add_u32_e32 v4, 0x2000, v4
	ds_write2_b32 v4, v6, v5 offset0:128 offset1:160
	s_add_i32 s41, s39, 1
	s_add_i32 s42, s34, 1
	;; [unrolled: 1-line block ×3, first 2 shown]
	s_mov_b64 s[36:37], 0
.LBB29_29:                              ;   in Loop: Header=BB29_26 Depth=2
	s_andn2_b64 vcc, exec, s[36:37]
	s_cbranch_vccnz .LBB29_31
; %bb.30:                               ;   in Loop: Header=BB29_26 Depth=2
	s_add_i32 s41, s39, 1
	s_mov_b32 s40, s38
	s_mov_b32 s42, s34
.LBB29_31:                              ;   in Loop: Header=BB29_26 Depth=2
	s_mov_b64 s[36:37], 0
.LBB29_32:                              ;   in Loop: Header=BB29_26 Depth=2
	s_andn2_b64 vcc, exec, s[36:37]
	s_cbranch_vccnz .LBB29_34
; %bb.33:                               ;   in Loop: Header=BB29_26 Depth=2
	s_add_i32 s42, s34, 1
	s_mov_b32 s41, s39
	s_mov_b32 s40, s38
.LBB29_34:                              ;   in Loop: Header=BB29_26 Depth=2
	s_cmp_le_i32 s42, s31
	s_cselect_b64 s[36:37], -1, 0
	s_cmp_le_i32 s35, s30
	s_cselect_b64 s[34:35], -1, 0
	s_and_b64 s[34:35], s[36:37], s[34:35]
	s_and_b64 vcc, exec, s[34:35]
	s_cbranch_vccz .LBB29_36
; %bb.35:                               ;   in Loop: Header=BB29_26 Depth=2
	s_mov_b32 s38, s40
	s_mov_b32 s34, s42
	;; [unrolled: 1-line block ×3, first 2 shown]
	s_branch .LBB29_26
.LBB29_36:                              ;   in Loop: Header=BB29_10 Depth=1
	s_add_u32 s28, s10, s28
	s_addc_u32 s29, s11, s29
	s_waitcnt lgkmcnt(0)
.LBB29_37:                              ;   Parent Loop BB29_10 Depth=1
                                        ; =>  This Inner Loop Header: Depth=2
	global_load_dword v4, v2, s[28:29] sc1
	s_waitcnt vmcnt(0)
	v_cmp_eq_u32_e32 vcc, 0, v4
	s_cbranch_vccnz .LBB29_37
; %bb.38:                               ;   in Loop: Header=BB29_10 Depth=1
	buffer_inv sc1
	s_and_saveexec_b64 s[28:29], s[0:1]
	s_cbranch_execz .LBB29_51
; %bb.39:                               ;   in Loop: Header=BB29_10 Depth=1
	s_mul_i32 s41, s31, s44
	v_add_u32_e32 v4, s41, v0
	v_mul_lo_u32 v6, v4, s44
	s_mov_b64 s[30:31], 0
	v_mov_b32_e32 v7, v18
	v_mov_b32_e32 v8, v1
	s_branch .LBB29_41
.LBB29_40:                              ;   in Loop: Header=BB29_41 Depth=2
	s_or_b64 exec, exec, s[36:37]
	v_add_u32_e32 v8, 4, v8
	v_cmp_le_i32_e32 vcc, s44, v8
	s_waitcnt vmcnt(0)
	ds_write_b64 v7, v[10:11]
	s_or_b64 s[30:31], vcc, s[30:31]
	v_add_u32_e32 v7, 32, v7
	s_andn2_b64 exec, exec, s[30:31]
	s_cbranch_execz .LBB29_51
.LBB29_41:                              ;   Parent Loop BB29_10 Depth=1
                                        ; =>  This Inner Loop Header: Depth=2
	s_and_b64 vcc, exec, s[22:23]
	s_cbranch_vccz .LBB29_48
; %bb.42:                               ;   in Loop: Header=BB29_41 Depth=2
	s_mov_b64 s[36:37], 0
	s_mov_b64 s[34:35], 0
                                        ; implicit-def: $vgpr4
	s_and_saveexec_b64 s[38:39], s[2:3]
	s_xor_b64 s[38:39], exec, s[38:39]
; %bb.43:                               ;   in Loop: Header=BB29_41 Depth=2
	v_add_u32_e32 v4, s41, v8
	s_mov_b64 s[34:35], exec
	v_mad_u64_u32 v[4:5], s[42:43], v4, s44, v[0:1]
; %bb.44:                               ;   in Loop: Header=BB29_41 Depth=2
	s_or_b64 exec, exec, s[38:39]
	s_and_b64 vcc, exec, s[36:37]
	s_cbranch_vccz .LBB29_49
.LBB29_45:                              ;   in Loop: Header=BB29_41 Depth=2
                                        ; implicit-def: $vgpr4
	s_and_saveexec_b64 s[36:37], s[2:3]
; %bb.46:                               ;   in Loop: Header=BB29_41 Depth=2
	v_add_u32_e32 v4, v6, v8
	s_or_b64 s[34:35], s[34:35], exec
; %bb.47:                               ;   in Loop: Header=BB29_41 Depth=2
	s_or_b64 exec, exec, s[36:37]
	v_mov_b64_e32 v[10:11], 0
	s_and_saveexec_b64 s[36:37], s[34:35]
	s_cbranch_execz .LBB29_40
	s_branch .LBB29_50
.LBB29_48:                              ;   in Loop: Header=BB29_41 Depth=2
	s_mov_b64 s[34:35], 0
                                        ; implicit-def: $vgpr4
	s_cbranch_execnz .LBB29_45
.LBB29_49:                              ;   in Loop: Header=BB29_41 Depth=2
	v_mov_b64_e32 v[10:11], 0
	s_and_saveexec_b64 s[36:37], s[34:35]
	s_cbranch_execz .LBB29_40
.LBB29_50:                              ;   in Loop: Header=BB29_41 Depth=2
	v_ashrrev_i32_e32 v5, 31, v4
	v_lshl_add_u64 v[4:5], v[4:5], 3, s[20:21]
	global_load_dwordx2 v[10:11], v[4:5], off
	s_branch .LBB29_40
.LBB29_51:                              ;   in Loop: Header=BB29_10 Depth=1
	s_or_b64 exec, exec, s[28:29]
	s_cmp_lt_i32 s40, 2
	s_cbranch_scc1 .LBB29_67
; %bb.52:                               ;   in Loop: Header=BB29_10 Depth=1
	s_add_i32 s36, s40, -2
	s_mov_b32 s37, 0
	s_branch .LBB29_54
.LBB29_53:                              ;   in Loop: Header=BB29_54 Depth=2
	s_or_b64 exec, exec, s[28:29]
	s_add_i32 s28, s37, 1
	s_cmp_eq_u32 s37, s36
	s_mov_b32 s37, s28
	s_cbranch_scc1 .LBB29_67
.LBB29_54:                              ;   Parent Loop BB29_10 Depth=1
                                        ; =>  This Loop Header: Depth=2
                                        ;       Child Loop BB29_56 Depth 3
	s_and_saveexec_b64 s[28:29], s[0:1]
	s_cbranch_execz .LBB29_53
; %bb.55:                               ;   in Loop: Header=BB29_54 Depth=2
	s_lshl_b32 s30, s37, 2
	v_mov_b32_e32 v4, s30
	v_add_u32_e32 v4, 0x2000, v4
	ds_read2_b32 v[4:5], v4 offset0:128 offset1:160
	s_mov_b64 s[30:31], 0
	v_mov_b32_e32 v30, v1
	s_waitcnt lgkmcnt(0)
	v_add_u32_e32 v26, v5, v17
	v_add_u32_e32 v27, v0, v5
	;; [unrolled: 1-line block ×4, first 2 shown]
.LBB29_56:                              ;   Parent Loop BB29_10 Depth=1
                                        ;     Parent Loop BB29_54 Depth=2
                                        ; =>    This Inner Loop Header: Depth=3
	v_mov_b64_e32 v[8:9], 0
	s_mov_b32 s38, 0
	v_mov_b32_e32 v4, v28
	v_mov_b32_e32 v6, v27
	s_and_b64 vcc, exec, s[22:23]
	s_cbranch_vccnz .LBB29_59
	s_branch .LBB29_58
.LBB29_57:                              ;   in Loop: Header=BB29_56 Depth=3
	v_mov_b64_e32 v[8:9], v[10:11]
	s_and_b64 vcc, exec, s[22:23]
	s_cbranch_vccnz .LBB29_59
.LBB29_58:                              ;   in Loop: Header=BB29_56 Depth=3
                                        ; implicit-def: $vgpr10_vgpr11
	s_cbranch_execz .LBB29_65
	s_branch .LBB29_62
.LBB29_59:                              ;   in Loop: Header=BB29_56 Depth=3
	v_ashrrev_i32_e32 v5, 31, v4
	v_lshl_add_u64 v[10:11], v[4:5], 3, s[20:21]
	global_load_dwordx2 v[10:11], v[10:11], off
	v_mov_b64_e32 v[12:13], 0
	s_and_saveexec_b64 s[34:35], s[2:3]
	s_cbranch_execz .LBB29_61
; %bb.60:                               ;   in Loop: Header=BB29_56 Depth=3
	v_ashrrev_i32_e32 v7, 31, v6
	v_lshl_add_u64 v[12:13], v[6:7], 3, s[20:21]
	global_load_dwordx2 v[12:13], v[12:13], off
.LBB29_61:                              ;   in Loop: Header=BB29_56 Depth=3
	s_or_b64 exec, exec, s[34:35]
	s_waitcnt vmcnt(0)
	v_fma_f64 v[10:11], v[10:11], v[12:13], v[8:9]
	s_branch .LBB29_65
.LBB29_62:                              ;   in Loop: Header=BB29_56 Depth=3
	v_add_u32_e32 v10, s38, v29
	v_ashrrev_i32_e32 v11, 31, v10
	v_lshl_add_u64 v[10:11], v[10:11], 3, s[20:21]
	global_load_dwordx2 v[10:11], v[10:11], off
	v_mov_b64_e32 v[12:13], 0
	s_and_saveexec_b64 s[34:35], s[2:3]
	s_cbranch_execz .LBB29_64
; %bb.63:                               ;   in Loop: Header=BB29_56 Depth=3
	v_add_u32_e32 v12, s38, v26
	v_ashrrev_i32_e32 v13, 31, v12
	v_lshl_add_u64 v[12:13], v[12:13], 3, s[20:21]
	global_load_dwordx2 v[12:13], v[12:13], off
.LBB29_64:                              ;   in Loop: Header=BB29_56 Depth=3
	s_or_b64 exec, exec, s[34:35]
	s_waitcnt vmcnt(0)
	v_fmac_f64_e32 v[8:9], v[10:11], v[12:13]
	v_mov_b64_e32 v[10:11], v[8:9]
.LBB29_65:                              ;   in Loop: Header=BB29_56 Depth=3
	s_add_i32 s38, s38, 1
	v_add_u32_e32 v6, s44, v6
	s_cmp_eq_u32 s44, s38
	v_add_u32_e32 v4, s44, v4
	s_cbranch_scc0 .LBB29_57
; %bb.66:                               ;   in Loop: Header=BB29_56 Depth=3
	v_lshl_add_u32 v6, v30, 3, v16
	ds_read_b64 v[4:5], v6
	v_add_u32_e32 v30, 4, v30
	v_cmp_le_i32_e32 vcc, s44, v30
	v_add_u32_e32 v28, 4, v28
	s_or_b64 s[30:31], vcc, s[30:31]
	s_waitcnt lgkmcnt(0)
	v_add_f64 v[4:5], v[10:11], v[4:5]
	v_add_u32_e32 v29, s48, v29
	ds_write_b64 v6, v[4:5]
	s_andn2_b64 exec, exec, s[30:31]
	s_cbranch_execnz .LBB29_56
	s_branch .LBB29_53
.LBB29_67:                              ;   in Loop: Header=BB29_10 Depth=1
	s_andn2_b64 vcc, exec, s[24:25]
	s_waitcnt lgkmcnt(0)
	s_cbranch_vccnz .LBB29_79
; %bb.68:                               ;   in Loop: Header=BB29_10 Depth=1
	s_mov_b32 s34, 0
	v_mov_b32_e32 v13, s49
	v_mov_b32_e32 v10, v23
	s_mov_b32 s35, 0
	s_branch .LBB29_70
.LBB29_69:                              ;   in Loop: Header=BB29_70 Depth=2
	s_or_b64 exec, exec, s[28:29]
	s_add_i32 s35, s35, 1
	s_addk_i32 s34, 0x88
	s_cmp_eq_u32 s35, s44
	v_add_u32_e32 v10, 8, v10
	s_waitcnt lgkmcnt(0)
	s_cbranch_scc1 .LBB29_79
.LBB29_70:                              ;   Parent Loop BB29_10 Depth=1
                                        ; =>  This Loop Header: Depth=2
                                        ;       Child Loop BB29_75 Depth 3
                                        ;       Child Loop BB29_78 Depth 3
	s_lshl_b32 s28, s35, 3
	s_mul_i32 s29, s35, 0x88
	s_add_i32 s29, s29, s28
	v_mov_b32_e32 v4, s29
	ds_read_b64 v[4:5], v4
	v_add_u32_e32 v11, s28, v15
	ds_read_b64 v[6:7], v11
	s_waitcnt lgkmcnt(1)
	v_cmp_neq_f64_e32 vcc, 0, v[4:5]
	s_nop 1
	v_cndmask_b32_e32 v5, v25, v5, vcc
	s_nor_b64 s[30:31], vcc, s[4:5]
	v_cndmask_b32_e32 v4, 0, v4, vcc
	s_and_saveexec_b64 s[28:29], s[30:31]
	s_cbranch_execz .LBB29_74
; %bb.71:                               ;   in Loop: Header=BB29_70 Depth=2
	v_mbcnt_lo_u32_b32 v4, exec_lo, 0
	v_mbcnt_hi_u32_b32 v4, exec_hi, v4
	v_cmp_eq_u32_e32 vcc, 0, v4
	s_and_saveexec_b64 s[30:31], vcc
	s_cbranch_execz .LBB29_73
; %bb.72:                               ;   in Loop: Header=BB29_70 Depth=2
	global_atomic_smin v2, v13, s[14:15]
.LBB29_73:                              ;   in Loop: Header=BB29_70 Depth=2
	s_or_b64 exec, exec, s[30:31]
	v_mov_b64_e32 v[4:5], 1.0
.LBB29_74:                              ;   in Loop: Header=BB29_70 Depth=2
	s_or_b64 exec, exec, s[28:29]
	v_lshl_add_u32 v8, s35, 3, v16
	ds_read_b64 v[8:9], v8
	s_cmp_eq_u32 s35, 0
	v_mov_b32_e32 v12, v15
	s_mov_b32 s28, s34
	s_mov_b32 s29, s35
	s_cbranch_scc1 .LBB29_76
.LBB29_75:                              ;   Parent Loop BB29_10 Depth=1
                                        ;     Parent Loop BB29_70 Depth=2
                                        ; =>    This Inner Loop Header: Depth=3
	v_mov_b32_e32 v28, s28
	ds_read_b64 v[26:27], v12
	ds_read_b64 v[28:29], v28
	s_add_i32 s29, s29, -1
	s_add_i32 s28, s28, 8
	v_add_u32_e32 v12, 8, v12
	s_cmp_eq_u32 s29, 0
	s_waitcnt lgkmcnt(0)
	v_fmac_f64_e32 v[8:9], v[28:29], v[26:27]
	s_cbranch_scc0 .LBB29_75
.LBB29_76:                              ;   in Loop: Header=BB29_70 Depth=2
	s_waitcnt lgkmcnt(0)
	v_add_f64 v[6:7], v[6:7], -v[8:9]
	v_div_scale_f64 v[8:9], s[28:29], v[4:5], v[4:5], v[6:7]
	v_rcp_f64_e32 v[26:27], v[8:9]
	v_div_scale_f64 v[28:29], vcc, v[6:7], v[4:5], v[6:7]
	v_fma_f64 v[30:31], -v[8:9], v[26:27], 1.0
	v_fmac_f64_e32 v[26:27], v[26:27], v[30:31]
	v_fma_f64 v[30:31], -v[8:9], v[26:27], 1.0
	v_fmac_f64_e32 v[26:27], v[26:27], v[30:31]
	v_mul_f64 v[30:31], v[28:29], v[26:27]
	v_fma_f64 v[8:9], -v[8:9], v[30:31], v[28:29]
	v_div_fmas_f64 v[8:9], v[8:9], v[26:27], v[30:31]
	v_div_fixup_f64 v[4:5], v[8:9], v[4:5], v[6:7]
	ds_write_b64 v11, v[4:5]
	s_waitcnt lgkmcnt(0)
	s_and_saveexec_b64 s[28:29], s[0:1]
	s_cbranch_execz .LBB29_69
; %bb.77:                               ;   in Loop: Header=BB29_70 Depth=2
	s_mov_b64 s[30:31], 0
	v_mov_b32_e32 v6, v10
	v_mov_b32_e32 v7, v22
	;; [unrolled: 1-line block ×3, first 2 shown]
.LBB29_78:                              ;   Parent Loop BB29_10 Depth=1
                                        ;     Parent Loop BB29_70 Depth=2
                                        ; =>    This Inner Loop Header: Depth=3
	ds_read_b64 v[26:27], v6
	ds_read_b64 v[28:29], v7
	v_add_u32_e32 v8, 4, v8
	v_cmp_le_i32_e32 vcc, s44, v8
	s_or_b64 s[30:31], vcc, s[30:31]
	v_add_u32_e32 v6, 0x220, v6
	s_waitcnt lgkmcnt(0)
	v_fmac_f64_e32 v[28:29], v[4:5], v[26:27]
	ds_write_b64 v7, v[28:29]
	v_add_u32_e32 v7, 32, v7
	s_andn2_b64 exec, exec, s[30:31]
	s_cbranch_execnz .LBB29_78
	s_branch .LBB29_69
.LBB29_79:                              ;   in Loop: Header=BB29_10 Depth=1
	s_and_saveexec_b64 s[28:29], s[0:1]
	s_cbranch_execz .LBB29_9
; %bb.80:                               ;   in Loop: Header=BB29_10 Depth=1
	s_mov_b64 s[30:31], 0
	v_mov_b32_e32 v8, v24
	v_mov_b32_e32 v9, v1
	s_branch .LBB29_84
.LBB29_81:                              ;   in Loop: Header=BB29_84 Depth=2
	v_add_u32_e32 v6, v21, v9
.LBB29_82:                              ;   in Loop: Header=BB29_84 Depth=2
	v_ashrrev_i32_e32 v7, 31, v6
	v_lshl_add_u64 v[6:7], v[6:7], 3, s[20:21]
	s_waitcnt lgkmcnt(0)
	global_store_dwordx2 v[6:7], v[4:5], off
.LBB29_83:                              ;   in Loop: Header=BB29_84 Depth=2
	s_or_b64 exec, exec, s[34:35]
	v_add_u32_e32 v9, 4, v9
	v_cmp_le_i32_e32 vcc, s44, v9
	s_or_b64 s[30:31], vcc, s[30:31]
	v_add_u32_e32 v8, 32, v8
	s_andn2_b64 exec, exec, s[30:31]
	s_cbranch_execz .LBB29_9
.LBB29_84:                              ;   Parent Loop BB29_10 Depth=1
                                        ; =>  This Inner Loop Header: Depth=2
	s_and_saveexec_b64 s[34:35], s[2:3]
	s_cbranch_execz .LBB29_83
; %bb.85:                               ;   in Loop: Header=BB29_84 Depth=2
	ds_read_b64 v[4:5], v8
	s_and_b64 vcc, exec, s[22:23]
	s_cbranch_vccz .LBB29_87
; %bb.86:                               ;   in Loop: Header=BB29_84 Depth=2
	v_add_u32_e32 v6, s27, v9
	v_mad_u64_u32 v[6:7], s[36:37], v6, s44, v[0:1]
	s_cbranch_execnz .LBB29_82
	s_branch .LBB29_81
.LBB29_87:                              ;   in Loop: Header=BB29_84 Depth=2
                                        ; implicit-def: $vgpr6
	s_branch .LBB29_81
.LBB29_88:                              ;   in Loop: Header=BB29_10 Depth=1
                                        ; implicit-def: $sgpr26
                                        ; implicit-def: $vgpr21
	s_cbranch_execz .LBB29_10
.LBB29_89:
	v_cmp_gt_i32_e64 s[0:1], s44, v1
	s_and_saveexec_b64 s[4:5], s[0:1]
	s_cbranch_execz .LBB29_102
; %bb.90:
	s_mul_i32 s26, s33, s44
	v_add_u32_e32 v2, s26, v0
	s_cmp_lg_u32 s45, 0
	v_mul_lo_u32 v4, v2, s44
	v_mul_u32_u24_e32 v2, 0x88, v0
	s_movk_i32 s16, 0x1100
	s_cselect_b64 s[8:9], -1, 0
	v_cmp_gt_i32_e64 s[2:3], s44, v0
	v_add3_u32 v5, v2, v14, s16
	s_mov_b64 s[16:17], 0
	v_mov_b32_e32 v6, v1
	s_branch .LBB29_92
.LBB29_91:                              ;   in Loop: Header=BB29_92 Depth=1
	s_or_b64 exec, exec, s[22:23]
	v_add_u32_e32 v6, 4, v6
	v_cmp_le_i32_e32 vcc, s44, v6
	s_waitcnt vmcnt(0)
	ds_write_b64 v5, v[8:9]
	s_or_b64 s[16:17], vcc, s[16:17]
	v_add_u32_e32 v5, 32, v5
	s_andn2_b64 exec, exec, s[16:17]
	s_cbranch_execz .LBB29_102
.LBB29_92:                              ; =>This Inner Loop Header: Depth=1
	s_and_b64 vcc, exec, s[8:9]
	s_cbranch_vccz .LBB29_99
; %bb.93:                               ;   in Loop: Header=BB29_92 Depth=1
	s_mov_b64 s[22:23], 0
	s_mov_b64 s[18:19], 0
                                        ; implicit-def: $vgpr2
	s_and_saveexec_b64 s[24:25], s[2:3]
	s_xor_b64 s[24:25], exec, s[24:25]
; %bb.94:                               ;   in Loop: Header=BB29_92 Depth=1
	v_add_u32_e32 v2, s26, v6
	s_mov_b64 s[18:19], exec
	v_mad_u64_u32 v[2:3], s[28:29], v2, s44, v[0:1]
; %bb.95:                               ;   in Loop: Header=BB29_92 Depth=1
	s_or_b64 exec, exec, s[24:25]
	s_and_b64 vcc, exec, s[22:23]
	s_cbranch_vccz .LBB29_100
.LBB29_96:                              ;   in Loop: Header=BB29_92 Depth=1
                                        ; implicit-def: $vgpr2
	s_and_saveexec_b64 s[22:23], s[2:3]
; %bb.97:                               ;   in Loop: Header=BB29_92 Depth=1
	v_add_u32_e32 v2, v4, v6
	s_or_b64 s[18:19], s[18:19], exec
; %bb.98:                               ;   in Loop: Header=BB29_92 Depth=1
	s_or_b64 exec, exec, s[22:23]
	v_mov_b64_e32 v[8:9], 0
	s_and_saveexec_b64 s[22:23], s[18:19]
	s_cbranch_execz .LBB29_91
	s_branch .LBB29_101
.LBB29_99:                              ;   in Loop: Header=BB29_92 Depth=1
	s_mov_b64 s[18:19], 0
                                        ; implicit-def: $vgpr2
	s_cbranch_execnz .LBB29_96
.LBB29_100:                             ;   in Loop: Header=BB29_92 Depth=1
	v_mov_b64_e32 v[8:9], 0
	s_and_saveexec_b64 s[22:23], s[18:19]
	s_cbranch_execz .LBB29_91
.LBB29_101:                             ;   in Loop: Header=BB29_92 Depth=1
	v_ashrrev_i32_e32 v3, 31, v2
	v_lshl_add_u64 v[2:3], v[2:3], 3, s[20:21]
	global_load_dwordx2 v[8:9], v[2:3], off
	s_branch .LBB29_91
.LBB29_102:
	s_or_b64 exec, exec, s[4:5]
	s_cmp_lt_i32 s44, 1
	s_waitcnt lgkmcnt(0)
	s_cbranch_scc1 .LBB29_115
; %bb.103:
	v_or_b32_e32 v4, v1, v0
	s_movk_i32 s4, 0x88
	v_mov_b32_e32 v2, 0x1100
	v_mul_u32_u24_e32 v3, 0x88, v0
	v_cmp_ne_u32_e64 s[2:3], 0, v4
	s_movk_i32 s5, 0x1980
	v_mov_b32_e32 v4, 0x1980
	v_mad_u32_u24 v6, v0, s4, v2
	s_add_i32 s8, s12, s13
	v_mad_u32_u24 v7, v0, s4, v4
	v_lshlrev_b32_e32 v4, 3, v0
	v_add3_u32 v10, v3, v14, s5
	v_mad_u32_u24 v11, v1, s4, v2
	s_mov_b32 s4, 0
	s_mov_b32 s18, 0
	v_add_u32_e32 v8, v6, v4
	v_add_u32_e32 v9, v7, v4
	s_brev_b32 s5, 8
	v_mov_b32_e32 v12, 0x260
	v_mov_b32_e32 v13, 0x3ff00000
	;; [unrolled: 1-line block ×6, first 2 shown]
	s_branch .LBB29_105
.LBB29_104:                             ;   in Loop: Header=BB29_105 Depth=1
	s_or_b64 exec, exec, s[8:9]
	s_add_i32 s18, s18, 1
	s_cmp_eq_u32 s18, s44
	v_add_u32_e32 v11, 8, v11
	s_waitcnt lgkmcnt(0)
	s_cbranch_scc1 .LBB29_115
.LBB29_105:                             ; =>This Loop Header: Depth=1
                                        ;     Child Loop BB29_114 Depth 2
	v_cmp_eq_u32_e32 vcc, s18, v0
	s_and_saveexec_b64 s[8:9], vcc
	s_cbranch_execz .LBB29_107
; %bb.106:                              ;   in Loop: Header=BB29_105 Depth=1
	ds_read_b64 v[2:3], v8
	ds_read_b64 v[4:5], v9
	s_waitcnt lgkmcnt(0)
	v_add_f64 v[2:3], v[2:3], -v[4:5]
	v_xor_b32_e32 v4, 0x80000000, v3
	v_cmp_gt_f64_e32 vcc, 0, v[2:3]
	s_nop 1
	v_cndmask_b32_e32 v3, v3, v4, vcc
	v_cmp_gt_f64_e32 vcc, s[4:5], v[2:3]
	s_nop 1
	v_cndmask_b32_e32 v4, 0, v16, vcc
	v_ldexp_f64 v[2:3], v[2:3], v4
	v_rsq_f64_e32 v[4:5], v[2:3]
	v_cndmask_b32_e32 v18, 0, v17, vcc
	v_cmp_class_f64_e32 vcc, v[2:3], v12
	v_mul_f64 v[20:21], v[2:3], v[4:5]
	v_mul_f64 v[4:5], v[4:5], 0.5
	v_fma_f64 v[22:23], -v[4:5], v[20:21], 0.5
	v_fmac_f64_e32 v[20:21], v[20:21], v[22:23]
	v_fmac_f64_e32 v[4:5], v[4:5], v[22:23]
	v_fma_f64 v[22:23], -v[20:21], v[20:21], v[2:3]
	v_fmac_f64_e32 v[20:21], v[22:23], v[4:5]
	v_fma_f64 v[22:23], -v[20:21], v[20:21], v[2:3]
	v_fmac_f64_e32 v[20:21], v[22:23], v[4:5]
	v_ldexp_f64 v[4:5], v[20:21], v18
	v_cndmask_b32_e32 v3, v5, v3, vcc
	v_cndmask_b32_e32 v2, v4, v2, vcc
	ds_write_b64 v8, v[2:3]
.LBB29_107:                             ;   in Loop: Header=BB29_105 Depth=1
	s_or_b64 exec, exec, s[8:9]
	s_lshl_b32 s8, s18, 3
	s_mul_i32 s9, s18, 0x88
	s_add_i32 s9, s9, s8
	v_mov_b32_e32 v2, s9
	s_waitcnt lgkmcnt(0)
	ds_read_b64 v[2:3], v2 offset:4352
	v_add_u32_e32 v18, s8, v6
	ds_read_b64 v[4:5], v18
	s_waitcnt lgkmcnt(1)
	v_cmp_neq_f64_e32 vcc, 0, v[2:3]
	s_nop 1
	v_cndmask_b32_e32 v3, v13, v3, vcc
	s_nor_b64 s[16:17], vcc, s[2:3]
	v_cndmask_b32_e32 v2, 0, v2, vcc
	s_and_saveexec_b64 s[8:9], s[16:17]
	s_cbranch_execz .LBB29_111
; %bb.108:                              ;   in Loop: Header=BB29_105 Depth=1
	v_mbcnt_lo_u32_b32 v2, exec_lo, 0
	v_mbcnt_hi_u32_b32 v2, exec_hi, v2
	v_cmp_eq_u32_e32 vcc, 0, v2
	s_and_saveexec_b64 s[16:17], vcc
	s_cbranch_execz .LBB29_110
; %bb.109:                              ;   in Loop: Header=BB29_105 Depth=1
	global_atomic_smin v15, v19, s[14:15]
.LBB29_110:                             ;   in Loop: Header=BB29_105 Depth=1
	s_or_b64 exec, exec, s[16:17]
	v_mov_b64_e32 v[2:3], 1.0
.LBB29_111:                             ;   in Loop: Header=BB29_105 Depth=1
	s_or_b64 exec, exec, s[8:9]
	v_cmp_lt_u32_e32 vcc, s18, v0
	s_and_saveexec_b64 s[8:9], vcc
	s_cbranch_execz .LBB29_104
; %bb.112:                              ;   in Loop: Header=BB29_105 Depth=1
	v_lshl_add_u32 v20, s18, 3, v7
	ds_read_b64 v[20:21], v20
	s_waitcnt lgkmcnt(0)
	v_add_f64 v[4:5], v[4:5], -v[20:21]
	v_div_scale_f64 v[20:21], s[16:17], v[2:3], v[2:3], v[4:5]
	v_rcp_f64_e32 v[22:23], v[20:21]
	v_div_scale_f64 v[24:25], vcc, v[4:5], v[2:3], v[4:5]
	v_fma_f64 v[26:27], -v[20:21], v[22:23], 1.0
	v_fmac_f64_e32 v[22:23], v[22:23], v[26:27]
	v_fma_f64 v[26:27], -v[20:21], v[22:23], 1.0
	v_fmac_f64_e32 v[22:23], v[22:23], v[26:27]
	v_mul_f64 v[26:27], v[24:25], v[22:23]
	v_fma_f64 v[20:21], -v[20:21], v[26:27], v[24:25]
	v_div_fmas_f64 v[20:21], v[20:21], v[22:23], v[26:27]
	v_div_fixup_f64 v[2:3], v[20:21], v[2:3], v[4:5]
	ds_write_b64 v18, v[2:3]
	s_waitcnt lgkmcnt(0)
	s_and_b64 exec, exec, s[0:1]
	s_cbranch_execz .LBB29_104
; %bb.113:                              ;   in Loop: Header=BB29_105 Depth=1
	s_mov_b64 s[16:17], 0
	v_mov_b32_e32 v4, v11
	v_mov_b32_e32 v5, v10
	;; [unrolled: 1-line block ×3, first 2 shown]
.LBB29_114:                             ;   Parent Loop BB29_105 Depth=1
                                        ; =>  This Inner Loop Header: Depth=2
	ds_read_b64 v[20:21], v4
	ds_read_b64 v[22:23], v5
	v_add_u32_e32 v18, 4, v18
	v_cmp_le_i32_e32 vcc, s44, v18
	s_or_b64 s[16:17], vcc, s[16:17]
	v_add_u32_e32 v4, 0x220, v4
	s_waitcnt lgkmcnt(0)
	v_fmac_f64_e32 v[22:23], v[2:3], v[20:21]
	ds_write_b64 v5, v[22:23]
	v_add_u32_e32 v5, 32, v5
	s_andn2_b64 exec, exec, s[16:17]
	s_cbranch_execnz .LBB29_114
	s_branch .LBB29_104
.LBB29_115:
	s_and_saveexec_b64 s[2:3], s[0:1]
	s_cbranch_execz .LBB29_124
; %bb.116:
	s_mul_i32 s33, s33, s44
	v_add_u32_e32 v2, s33, v0
	s_cmp_lg_u32 s45, 0
	v_mul_lo_u32 v6, v2, s44
	v_mul_u32_u24_e32 v2, 0x88, v0
	s_movk_i32 s8, 0x1100
	v_cmp_gt_i32_e64 s[0:1], s44, v0
	s_cselect_b64 s[4:5], -1, 0
	v_add3_u32 v7, v2, v14, s8
	s_mov_b64 s[8:9], 0
	v_mov_b32_e32 v8, v1
	s_branch .LBB29_120
.LBB29_117:                             ;   in Loop: Header=BB29_120 Depth=1
	v_add_u32_e32 v4, v6, v8
.LBB29_118:                             ;   in Loop: Header=BB29_120 Depth=1
	v_ashrrev_i32_e32 v5, 31, v4
	v_lshl_add_u64 v[4:5], v[4:5], 3, s[20:21]
	s_waitcnt lgkmcnt(0)
	global_store_dwordx2 v[4:5], v[2:3], off
.LBB29_119:                             ;   in Loop: Header=BB29_120 Depth=1
	s_or_b64 exec, exec, s[16:17]
	v_add_u32_e32 v8, 4, v8
	v_cmp_le_i32_e32 vcc, s44, v8
	s_or_b64 s[8:9], vcc, s[8:9]
	v_add_u32_e32 v7, 32, v7
	s_andn2_b64 exec, exec, s[8:9]
	s_cbranch_execz .LBB29_124
.LBB29_120:                             ; =>This Inner Loop Header: Depth=1
	s_and_saveexec_b64 s[16:17], s[0:1]
	s_cbranch_execz .LBB29_119
; %bb.121:                              ;   in Loop: Header=BB29_120 Depth=1
	ds_read_b64 v[2:3], v7
	s_and_b64 vcc, exec, s[4:5]
	s_cbranch_vccz .LBB29_123
; %bb.122:                              ;   in Loop: Header=BB29_120 Depth=1
	v_add_u32_e32 v4, s33, v8
	v_mad_u64_u32 v[4:5], s[18:19], v4, s44, v[0:1]
	s_cbranch_execnz .LBB29_118
	s_branch .LBB29_117
.LBB29_123:                             ;   in Loop: Header=BB29_120 Depth=1
                                        ; implicit-def: $vgpr4
	s_branch .LBB29_117
.LBB29_124:
	s_or_b64 exec, exec, s[2:3]
	v_or_b32_e32 v2, v1, v0
	v_cmp_eq_u32_e32 vcc, 0, v2
	s_and_saveexec_b64 s[0:1], vcc
	s_cbranch_execz .LBB29_126
; %bb.125:
	s_add_u32 s2, s10, s6
	s_addc_u32 s3, s11, s7
	v_mov_b32_e32 v2, 0
	v_mov_b32_e32 v3, 1
	buffer_wbl2 sc1
	s_waitcnt vmcnt(0)
	global_store_dword v2, v3, s[2:3] sc1
.LBB29_126:
	s_or_b64 exec, exec, s[0:1]
.LBB29_127:
	s_endpgm
.LBB29_128:
	s_cbranch_execz .LBB29_127
; %bb.129:
	v_or_b32_e32 v0, v1, v0
	v_cmp_eq_u32_e32 vcc, 0, v0
	s_and_saveexec_b64 s[0:1], vcc
	s_cbranch_execz .LBB29_127
; %bb.130:
	v_mbcnt_lo_u32_b32 v0, exec_lo, 0
	v_mbcnt_hi_u32_b32 v0, exec_hi, v0
	v_cmp_eq_u32_e32 vcc, 0, v0
	s_and_saveexec_b64 s[0:1], vcc
	s_cbranch_execz .LBB29_132
; %bb.131:
	s_add_i32 s2, s12, s13
	v_mov_b32_e32 v0, 0
	v_mov_b32_e32 v1, s2
	global_atomic_smin v0, v1, s[14:15]
.LBB29_132:
	s_or_b64 exec, exec, s[0:1]
	s_add_u32 s0, s10, s6
	s_addc_u32 s1, s11, s7
	v_mov_b32_e32 v0, 0
	v_mov_b32_e32 v1, 1
	buffer_wbl2 sc1
	s_waitcnt vmcnt(0)
	global_store_dword v0, v1, s[0:1] sc1
	s_endpgm
	.section	.rodata,"a",@progbits
	.p2align	6, 0x0
	.amdhsa_kernel _ZN9rocsparseL18bsric0_9_16_kernelILi64ELi32ELi16EdEEv20rocsparse_direction_iiPKiS3_PT2_S3_PiS3_S6_21rocsparse_index_base_
		.amdhsa_group_segment_fixed_size 9088
		.amdhsa_private_segment_fixed_size 0
		.amdhsa_kernarg_size 76
		.amdhsa_user_sgpr_count 2
		.amdhsa_user_sgpr_dispatch_ptr 0
		.amdhsa_user_sgpr_queue_ptr 0
		.amdhsa_user_sgpr_kernarg_segment_ptr 1
		.amdhsa_user_sgpr_dispatch_id 0
		.amdhsa_user_sgpr_kernarg_preload_length 0
		.amdhsa_user_sgpr_kernarg_preload_offset 0
		.amdhsa_user_sgpr_private_segment_size 0
		.amdhsa_uses_dynamic_stack 0
		.amdhsa_enable_private_segment 0
		.amdhsa_system_sgpr_workgroup_id_x 1
		.amdhsa_system_sgpr_workgroup_id_y 0
		.amdhsa_system_sgpr_workgroup_id_z 0
		.amdhsa_system_sgpr_workgroup_info 0
		.amdhsa_system_vgpr_workitem_id 1
		.amdhsa_next_free_vgpr 81
		.amdhsa_next_free_sgpr 96
		.amdhsa_accum_offset 32
		.amdhsa_reserve_vcc 1
		.amdhsa_float_round_mode_32 0
		.amdhsa_float_round_mode_16_64 0
		.amdhsa_float_denorm_mode_32 3
		.amdhsa_float_denorm_mode_16_64 3
		.amdhsa_dx10_clamp 1
		.amdhsa_ieee_mode 1
		.amdhsa_fp16_overflow 0
		.amdhsa_tg_split 0
		.amdhsa_exception_fp_ieee_invalid_op 0
		.amdhsa_exception_fp_denorm_src 0
		.amdhsa_exception_fp_ieee_div_zero 0
		.amdhsa_exception_fp_ieee_overflow 0
		.amdhsa_exception_fp_ieee_underflow 0
		.amdhsa_exception_fp_ieee_inexact 0
		.amdhsa_exception_int_div_zero 0
	.end_amdhsa_kernel
	.section	.text._ZN9rocsparseL18bsric0_9_16_kernelILi64ELi32ELi16EdEEv20rocsparse_direction_iiPKiS3_PT2_S3_PiS3_S6_21rocsparse_index_base_,"axG",@progbits,_ZN9rocsparseL18bsric0_9_16_kernelILi64ELi32ELi16EdEEv20rocsparse_direction_iiPKiS3_PT2_S3_PiS3_S6_21rocsparse_index_base_,comdat
.Lfunc_end29:
	.size	_ZN9rocsparseL18bsric0_9_16_kernelILi64ELi32ELi16EdEEv20rocsparse_direction_iiPKiS3_PT2_S3_PiS3_S6_21rocsparse_index_base_, .Lfunc_end29-_ZN9rocsparseL18bsric0_9_16_kernelILi64ELi32ELi16EdEEv20rocsparse_direction_iiPKiS3_PT2_S3_PiS3_S6_21rocsparse_index_base_
                                        ; -- End function
	.set _ZN9rocsparseL18bsric0_9_16_kernelILi64ELi32ELi16EdEEv20rocsparse_direction_iiPKiS3_PT2_S3_PiS3_S6_21rocsparse_index_base_.num_vgpr, 32
	.set _ZN9rocsparseL18bsric0_9_16_kernelILi64ELi32ELi16EdEEv20rocsparse_direction_iiPKiS3_PT2_S3_PiS3_S6_21rocsparse_index_base_.num_agpr, 0
	.set _ZN9rocsparseL18bsric0_9_16_kernelILi64ELi32ELi16EdEEv20rocsparse_direction_iiPKiS3_PT2_S3_PiS3_S6_21rocsparse_index_base_.numbered_sgpr, 54
	.set _ZN9rocsparseL18bsric0_9_16_kernelILi64ELi32ELi16EdEEv20rocsparse_direction_iiPKiS3_PT2_S3_PiS3_S6_21rocsparse_index_base_.num_named_barrier, 0
	.set _ZN9rocsparseL18bsric0_9_16_kernelILi64ELi32ELi16EdEEv20rocsparse_direction_iiPKiS3_PT2_S3_PiS3_S6_21rocsparse_index_base_.private_seg_size, 0
	.set _ZN9rocsparseL18bsric0_9_16_kernelILi64ELi32ELi16EdEEv20rocsparse_direction_iiPKiS3_PT2_S3_PiS3_S6_21rocsparse_index_base_.uses_vcc, 1
	.set _ZN9rocsparseL18bsric0_9_16_kernelILi64ELi32ELi16EdEEv20rocsparse_direction_iiPKiS3_PT2_S3_PiS3_S6_21rocsparse_index_base_.uses_flat_scratch, 0
	.set _ZN9rocsparseL18bsric0_9_16_kernelILi64ELi32ELi16EdEEv20rocsparse_direction_iiPKiS3_PT2_S3_PiS3_S6_21rocsparse_index_base_.has_dyn_sized_stack, 0
	.set _ZN9rocsparseL18bsric0_9_16_kernelILi64ELi32ELi16EdEEv20rocsparse_direction_iiPKiS3_PT2_S3_PiS3_S6_21rocsparse_index_base_.has_recursion, 0
	.set _ZN9rocsparseL18bsric0_9_16_kernelILi64ELi32ELi16EdEEv20rocsparse_direction_iiPKiS3_PT2_S3_PiS3_S6_21rocsparse_index_base_.has_indirect_call, 0
	.section	.AMDGPU.csdata,"",@progbits
; Kernel info:
; codeLenInByte = 3704
; TotalNumSgprs: 60
; NumVgprs: 32
; NumAgprs: 0
; TotalNumVgprs: 32
; ScratchSize: 0
; MemoryBound: 0
; FloatMode: 240
; IeeeMode: 1
; LDSByteSize: 9088 bytes/workgroup (compile time only)
; SGPRBlocks: 12
; VGPRBlocks: 10
; NumSGPRsForWavesPerEU: 102
; NumVGPRsForWavesPerEU: 81
; AccumOffset: 32
; Occupancy: 5
; WaveLimiterHint : 1
; COMPUTE_PGM_RSRC2:SCRATCH_EN: 0
; COMPUTE_PGM_RSRC2:USER_SGPR: 2
; COMPUTE_PGM_RSRC2:TRAP_HANDLER: 0
; COMPUTE_PGM_RSRC2:TGID_X_EN: 1
; COMPUTE_PGM_RSRC2:TGID_Y_EN: 0
; COMPUTE_PGM_RSRC2:TGID_Z_EN: 0
; COMPUTE_PGM_RSRC2:TIDIG_COMP_CNT: 1
; COMPUTE_PGM_RSRC3_GFX90A:ACCUM_OFFSET: 7
; COMPUTE_PGM_RSRC3_GFX90A:TG_SPLIT: 0
	.section	.text._ZN9rocsparseL19bsric0_17_32_kernelILi64ELi32ELi32EdEEv20rocsparse_direction_iiPKiS3_PT2_S3_PiS3_S6_21rocsparse_index_base_,"axG",@progbits,_ZN9rocsparseL19bsric0_17_32_kernelILi64ELi32ELi32EdEEv20rocsparse_direction_iiPKiS3_PT2_S3_PiS3_S6_21rocsparse_index_base_,comdat
	.globl	_ZN9rocsparseL19bsric0_17_32_kernelILi64ELi32ELi32EdEEv20rocsparse_direction_iiPKiS3_PT2_S3_PiS3_S6_21rocsparse_index_base_ ; -- Begin function _ZN9rocsparseL19bsric0_17_32_kernelILi64ELi32ELi32EdEEv20rocsparse_direction_iiPKiS3_PT2_S3_PiS3_S6_21rocsparse_index_base_
	.p2align	8
	.type	_ZN9rocsparseL19bsric0_17_32_kernelILi64ELi32ELi32EdEEv20rocsparse_direction_iiPKiS3_PT2_S3_PiS3_S6_21rocsparse_index_base_,@function
_ZN9rocsparseL19bsric0_17_32_kernelILi64ELi32ELi32EdEEv20rocsparse_direction_iiPKiS3_PT2_S3_PiS3_S6_21rocsparse_index_base_: ; @_ZN9rocsparseL19bsric0_17_32_kernelILi64ELi32ELi32EdEEv20rocsparse_direction_iiPKiS3_PT2_S3_PiS3_S6_21rocsparse_index_base_
; %bb.0:
	s_load_dwordx8 s[8:15], s[0:1], 0x28
	s_mov_b32 s3, 0
	s_lshl_b64 s[2:3], s[2:3], 2
	v_and_b32_e32 v1, 0x3ff, v0
	v_bfe_u32 v0, v0, 10, 10
	s_waitcnt lgkmcnt(0)
	s_add_u32 s2, s12, s2
	s_addc_u32 s3, s13, s3
	s_load_dword s12, s[2:3], 0x0
	s_waitcnt lgkmcnt(0)
	s_ashr_i32 s13, s12, 31
	s_lshl_b64 s[6:7], s[12:13], 2
	s_add_u32 s2, s8, s6
	s_addc_u32 s3, s9, s7
	s_load_dword s33, s[2:3], 0x0
	s_load_dword s13, s[0:1], 0x48
	s_waitcnt lgkmcnt(0)
	s_cmp_lg_u32 s33, -1
	s_cbranch_scc0 .LBB30_118
; %bb.1:
	s_load_dwordx4 s[16:19], s[0:1], 0x10
	s_load_dwordx2 s[20:21], s[0:1], 0x20
	v_lshlrev_b32_e32 v2, 1, v0
	v_lshlrev_b32_e32 v15, 3, v0
	s_waitcnt lgkmcnt(0)
	s_add_u32 s2, s16, s6
	s_addc_u32 s3, s17, s7
	s_load_dword s2, s[2:3], 0x0
	s_waitcnt lgkmcnt(0)
	s_sub_i32 s48, s2, s13
	v_add3_u32 v2, v2, v1, s48
	v_cmp_ge_i32_e32 vcc, s33, v2
	s_and_saveexec_b64 s[2:3], vcc
	s_cbranch_execz .LBB30_4
; %bb.2:
	v_lshlrev_b32_e32 v3, 2, v1
	s_movk_i32 s4, 0x6400
	v_add3_u32 v4, v15, v3, s4
	s_mov_b64 s[4:5], 0
.LBB30_3:                               ; =>This Inner Loop Header: Depth=1
	v_ashrrev_i32_e32 v3, 31, v2
	v_lshl_add_u64 v[6:7], v[2:3], 2, s[18:19]
	global_load_dword v3, v[6:7], off
	v_add_u32_e32 v2, 64, v2
	v_cmp_lt_i32_e32 vcc, s33, v2
	s_or_b64 s[4:5], vcc, s[4:5]
	s_waitcnt vmcnt(0)
	v_subrev_u32_e32 v3, s13, v3
	ds_write_b32 v4, v3
	v_add_u32_e32 v4, 0x100, v4
	s_andn2_b64 exec, exec, s[4:5]
	s_cbranch_execnz .LBB30_3
.LBB30_4:
	s_or_b64 exec, exec, s[2:3]
	v_cmp_gt_u32_e32 vcc, 32, v1
	v_lshlrev_b32_e32 v14, 3, v1
	s_and_saveexec_b64 s[2:3], vcc
	s_cbranch_execz .LBB30_7
; %bb.5:
	v_mul_u32_u24_e32 v3, 0x108, v0
	s_movk_i32 s4, 0x4200
	v_mov_b32_e32 v4, 0
	v_add_u32_e32 v2, -2, v1
	v_add3_u32 v3, v3, v14, s4
	s_mov_b64 s[4:5], 0
	v_mov_b32_e32 v5, v4
.LBB30_6:                               ; =>This Inner Loop Header: Depth=1
	v_add_u32_e32 v2, 2, v2
	v_cmp_lt_u32_e32 vcc, 29, v2
	ds_write_b64 v3, v[4:5]
	s_or_b64 s[4:5], vcc, s[4:5]
	v_add_u32_e32 v3, 16, v3
	s_andn2_b64 exec, exec, s[4:5]
	s_cbranch_execnz .LBB30_6
.LBB30_7:
	s_or_b64 exec, exec, s[2:3]
	s_load_dword s46, s[0:1], 0x8
	s_load_dword s47, s[0:1], 0x0
	s_cmp_ge_i32 s48, s33
	s_waitcnt lgkmcnt(0)
	v_cmp_gt_i32_e64 s[0:1], s46, v1
	s_cbranch_scc1 .LBB30_79
; %bb.8:
	s_cmp_eq_u32 s47, 0
	s_cselect_b64 s[22:23], -1, 0
	s_cmp_lg_u32 s47, 0
	s_movk_i32 s28, 0x108
	v_mov_b32_e32 v2, 0x2100
	v_or_b32_e32 v3, v1, v0
	s_mul_i32 s29, s46, s48
	s_cselect_b64 s[24:25], -1, 0
	v_mad_u32_u24 v17, v0, s28, v2
	s_cmp_gt_i32 s46, 0
	v_cmp_ne_u32_e64 s[4:5], 0, v3
	v_mad_u32_u24 v19, v0, s28, v14
	v_add_u32_e32 v3, s29, v0
	v_mad_u32_u24 v23, v1, s28, v2
	v_mov_b32_e32 v2, 0
	s_mul_i32 s49, s46, s46
	v_cmp_gt_i32_e64 s[2:3], s46, v0
	v_mul_u32_u24_e32 v16, 0x108, v0
	v_mul_lo_u32 v18, s46, v0
	s_cselect_b64 s[26:27], -1, 0
	v_mul_lo_u32 v21, s46, v3
	v_mul_lo_u32 v20, v1, s46
	s_lshl_b32 s50, s46, 1
	v_add_u32_e32 v22, 0x4200, v19
	v_add_u32_e32 v24, 0x2100, v19
	v_mov_b32_e32 v3, v2
	v_mov_b32_e32 v25, 0x3ff00000
	s_mov_b32 s28, s48
	s_branch .LBB30_10
.LBB30_9:                               ;   in Loop: Header=BB30_10 Depth=1
	s_or_b64 exec, exec, s[30:31]
	s_add_i32 s28, s28, 1
	s_cmp_ge_i32 s28, s33
	buffer_wbl2 sc1
	s_waitcnt vmcnt(0)
	buffer_inv sc1
	v_add_u32_e32 v21, s49, v21
	s_cselect_b64 s[30:31], -1, 0
	s_and_b64 vcc, exec, s[30:31]
	s_cbranch_vccnz .LBB30_79
.LBB30_10:                              ; =>This Loop Header: Depth=1
                                        ;     Child Loop BB30_14 Depth 2
                                        ;     Child Loop BB30_26 Depth 2
	;; [unrolled: 1-line block ×4, first 2 shown]
                                        ;       Child Loop BB30_43 Depth 3
                                        ;         Child Loop BB30_48 Depth 4
                                        ;     Child Loop BB30_57 Depth 2
                                        ;       Child Loop BB30_64 Depth 3
                                        ;       Child Loop BB30_68 Depth 3
                                        ;     Child Loop BB30_73 Depth 2
	s_ashr_i32 s29, s28, 31
	s_lshl_b64 s[30:31], s[28:29], 2
	s_add_u32 s30, s18, s30
	s_addc_u32 s31, s19, s31
	s_load_dword s51, s[30:31], 0x0
	s_waitcnt lgkmcnt(0)
	s_sub_i32 s34, s51, s13
	s_ashr_i32 s35, s34, 31
	s_lshl_b64 s[30:31], s[34:35], 2
	s_add_u32 s36, s8, s30
	s_addc_u32 s37, s9, s31
	s_load_dword s52, s[36:37], 0x0
	s_waitcnt lgkmcnt(0)
	s_cmp_eq_u32 s52, -1
	s_cbranch_scc1 .LBB30_78
; %bb.11:                               ;   in Loop: Header=BB30_10 Depth=1
	s_add_u32 s36, s16, s30
	s_addc_u32 s37, s17, s31
	s_load_dword s35, s[36:37], 0x0
	s_mul_i32 s29, s28, s46
	s_and_saveexec_b64 s[36:37], s[0:1]
	s_cbranch_execz .LBB30_24
; %bb.12:                               ;   in Loop: Header=BB30_10 Depth=1
	s_mov_b64 s[38:39], 0
	v_mov_b32_e32 v6, v19
	v_mov_b32_e32 v7, v1
	s_branch .LBB30_14
.LBB30_13:                              ;   in Loop: Header=BB30_14 Depth=2
	s_or_b64 exec, exec, s[42:43]
	v_add_u32_e32 v7, 2, v7
	v_cmp_le_i32_e32 vcc, s46, v7
	s_waitcnt vmcnt(0)
	ds_write_b64 v6, v[8:9] offset:8448
	ds_write_b64 v6, v[2:3]
	s_or_b64 s[38:39], vcc, s[38:39]
	v_add_u32_e32 v6, 16, v6
	s_andn2_b64 exec, exec, s[38:39]
	s_cbranch_execz .LBB30_24
.LBB30_14:                              ;   Parent Loop BB30_10 Depth=1
                                        ; =>  This Inner Loop Header: Depth=2
	s_mov_b64 s[42:43], -1
	s_and_b64 vcc, exec, s[24:25]
	s_mov_b64 s[40:41], 0
                                        ; implicit-def: $vgpr4
	s_cbranch_vccz .LBB30_19
; %bb.15:                               ;   in Loop: Header=BB30_14 Depth=2
	s_mov_b64 s[42:43], 0
                                        ; implicit-def: $vgpr4
	s_and_saveexec_b64 s[44:45], s[2:3]
	s_xor_b64 s[44:45], exec, s[44:45]
; %bb.16:                               ;   in Loop: Header=BB30_14 Depth=2
	v_add_u32_e32 v4, s29, v7
	s_mov_b64 s[40:41], exec
	v_mad_u64_u32 v[4:5], s[54:55], v4, s46, v[0:1]
; %bb.17:                               ;   in Loop: Header=BB30_14 Depth=2
	s_or_b64 exec, exec, s[44:45]
	s_and_b64 vcc, exec, s[42:43]
	s_cbranch_vccnz .LBB30_20
.LBB30_18:                              ;   in Loop: Header=BB30_14 Depth=2
	v_mov_b64_e32 v[8:9], 0
	s_and_saveexec_b64 s[42:43], s[40:41]
	s_cbranch_execz .LBB30_13
	s_branch .LBB30_23
.LBB30_19:                              ;   in Loop: Header=BB30_14 Depth=2
	s_and_b64 vcc, exec, s[42:43]
	s_cbranch_vccz .LBB30_18
.LBB30_20:                              ;   in Loop: Header=BB30_14 Depth=2
                                        ; implicit-def: $vgpr4
	s_and_saveexec_b64 s[42:43], s[2:3]
; %bb.21:                               ;   in Loop: Header=BB30_14 Depth=2
	v_add_u32_e32 v4, v21, v7
	s_or_b64 s[40:41], s[40:41], exec
; %bb.22:                               ;   in Loop: Header=BB30_14 Depth=2
	s_or_b64 exec, exec, s[42:43]
	v_mov_b64_e32 v[8:9], 0
	s_and_saveexec_b64 s[42:43], s[40:41]
	s_cbranch_execz .LBB30_13
.LBB30_23:                              ;   in Loop: Header=BB30_14 Depth=2
	v_ashrrev_i32_e32 v5, 31, v4
	v_lshl_add_u64 v[4:5], v[4:5], 3, s[20:21]
	global_load_dwordx2 v[8:9], v[4:5], off
	s_branch .LBB30_13
.LBB30_24:                              ;   in Loop: Header=BB30_10 Depth=1
	s_or_b64 exec, exec, s[36:37]
	ds_read_b32 v4, v2 offset:25600
	s_waitcnt lgkmcnt(0)
	s_sub_i32 s36, s35, s13
	s_cmp_le_i32 s36, s52
	s_cselect_b64 s[38:39], -1, 0
	s_mov_b32 s37, 0
	v_cmp_ge_i32_e32 vcc, s34, v4
	s_and_b64 s[38:39], s[38:39], vcc
	s_andn2_b64 vcc, exec, s[38:39]
	s_cbranch_vccnz .LBB30_36
; %bb.25:                               ;   in Loop: Header=BB30_10 Depth=1
	s_mov_b32 s35, 0
	s_mov_b32 s40, 0
.LBB30_26:                              ;   Parent Loop BB30_10 Depth=1
                                        ; =>  This Inner Loop Header: Depth=2
	s_ashr_i32 s37, s36, 31
	s_lshl_b64 s[38:39], s[36:37], 2
	s_add_u32 s38, s18, s38
	s_addc_u32 s39, s19, s39
	s_load_dword s37, s[38:39], 0x0
	s_lshl_b32 s38, s40, 2
	v_mov_b32_e32 v4, s38
	ds_read_b32 v4, v4 offset:25600
	s_mov_b64 s[38:39], -1
	s_waitcnt lgkmcnt(0)
	s_sub_i32 s44, s37, s13
                                        ; implicit-def: $sgpr37
                                        ; implicit-def: $sgpr43
                                        ; implicit-def: $sgpr42
	v_cmp_ge_i32_e32 vcc, s44, v4
	v_readfirstlane_b32 s41, v4
	s_cbranch_vccz .LBB30_32
; %bb.27:                               ;   in Loop: Header=BB30_26 Depth=2
	s_cmp_le_i32 s44, s41
                                        ; implicit-def: $sgpr37
                                        ; implicit-def: $sgpr43
                                        ; implicit-def: $sgpr42
	s_cbranch_scc0 .LBB30_29
; %bb.28:                               ;   in Loop: Header=BB30_26 Depth=2
	s_add_i32 s37, s40, s48
	s_mul_i32 s37, s37, s49
	s_lshl_b32 s38, s35, 2
	v_mov_b32_e32 v4, s38
	v_mov_b32_e32 v5, s37
	s_mul_i32 s37, s36, s49
	v_mov_b32_e32 v6, s37
	v_add_u32_e32 v4, 0x6000, v4
	ds_write2_b32 v4, v6, v5 offset0:192 offset1:224
	s_add_i32 s42, s40, 1
	s_add_i32 s43, s36, 1
	;; [unrolled: 1-line block ×3, first 2 shown]
	s_mov_b64 s[38:39], 0
.LBB30_29:                              ;   in Loop: Header=BB30_26 Depth=2
	s_andn2_b64 vcc, exec, s[38:39]
	s_cbranch_vccnz .LBB30_31
; %bb.30:                               ;   in Loop: Header=BB30_26 Depth=2
	s_add_i32 s42, s40, 1
	s_mov_b32 s37, s35
	s_mov_b32 s43, s36
.LBB30_31:                              ;   in Loop: Header=BB30_26 Depth=2
	s_mov_b64 s[38:39], 0
.LBB30_32:                              ;   in Loop: Header=BB30_26 Depth=2
	s_andn2_b64 vcc, exec, s[38:39]
	s_cbranch_vccnz .LBB30_34
; %bb.33:                               ;   in Loop: Header=BB30_26 Depth=2
	s_add_i32 s43, s36, 1
	s_mov_b32 s42, s40
	s_mov_b32 s37, s35
.LBB30_34:                              ;   in Loop: Header=BB30_26 Depth=2
	s_cmp_le_i32 s43, s52
	s_cselect_b64 s[38:39], -1, 0
	s_cmp_le_i32 s41, s34
	s_cselect_b64 s[40:41], -1, 0
	s_and_b64 s[38:39], s[38:39], s[40:41]
	s_and_b64 vcc, exec, s[38:39]
	s_cbranch_vccz .LBB30_36
; %bb.35:                               ;   in Loop: Header=BB30_26 Depth=2
	s_mov_b32 s35, s37
	s_mov_b32 s36, s43
	;; [unrolled: 1-line block ×3, first 2 shown]
	s_branch .LBB30_26
.LBB30_36:                              ;   in Loop: Header=BB30_10 Depth=1
	s_add_u32 s30, s10, s30
	s_addc_u32 s31, s11, s31
	s_waitcnt lgkmcnt(0)
.LBB30_37:                              ;   Parent Loop BB30_10 Depth=1
                                        ; =>  This Inner Loop Header: Depth=2
	global_load_dword v4, v2, s[30:31] sc1
	s_waitcnt vmcnt(0)
	v_cmp_eq_u32_e32 vcc, 0, v4
	s_cbranch_vccnz .LBB30_37
; %bb.38:                               ;   in Loop: Header=BB30_10 Depth=1
	s_cmp_lt_i32 s37, 2
	buffer_inv sc1
	s_cbranch_scc1 .LBB30_54
; %bb.39:                               ;   in Loop: Header=BB30_10 Depth=1
	s_add_i32 s38, s37, -2
	s_mov_b32 s39, 0
	s_branch .LBB30_41
.LBB30_40:                              ;   in Loop: Header=BB30_41 Depth=2
	s_or_b64 exec, exec, s[30:31]
	s_add_i32 s30, s39, 1
	s_cmp_eq_u32 s39, s38
	s_mov_b32 s39, s30
	s_cbranch_scc1 .LBB30_54
.LBB30_41:                              ;   Parent Loop BB30_10 Depth=1
                                        ; =>  This Loop Header: Depth=2
                                        ;       Child Loop BB30_43 Depth 3
                                        ;         Child Loop BB30_48 Depth 4
	s_and_saveexec_b64 s[30:31], s[0:1]
	s_cbranch_execz .LBB30_40
; %bb.42:                               ;   in Loop: Header=BB30_41 Depth=2
	s_lshl_b32 s34, s39, 2
	v_mov_b32_e32 v4, s34
	v_add_u32_e32 v4, 0x6000, v4
	ds_read2_b32 v[4:5], v4 offset0:192 offset1:224
	s_mov_b64 s[34:35], 0
	v_mov_b32_e32 v30, v1
	s_waitcnt lgkmcnt(0)
	v_add_u32_e32 v26, v5, v18
	v_add_u32_e32 v27, v0, v5
	;; [unrolled: 1-line block ×4, first 2 shown]
.LBB30_43:                              ;   Parent Loop BB30_10 Depth=1
                                        ;     Parent Loop BB30_41 Depth=2
                                        ; =>    This Loop Header: Depth=3
                                        ;         Child Loop BB30_48 Depth 4
	v_mov_b64_e32 v[8:9], 0
	s_mov_b32 s40, 0
	v_mov_b32_e32 v4, v28
	v_mov_b32_e32 v6, v27
	s_mov_b64 s[36:37], -1
	s_and_b64 vcc, exec, s[24:25]
                                        ; implicit-def: $vgpr10_vgpr11
	s_cbranch_vccz .LBB30_48
	s_branch .LBB30_45
.LBB30_44:                              ;   in Loop: Header=BB30_48 Depth=4
	v_mov_b64_e32 v[8:9], v[10:11]
	s_mov_b64 s[36:37], -1
	s_and_b64 vcc, exec, s[24:25]
                                        ; implicit-def: $vgpr10_vgpr11
	s_cbranch_vccz .LBB30_48
.LBB30_45:                              ;   in Loop: Header=BB30_43 Depth=3
	v_ashrrev_i32_e32 v5, 31, v4
	v_lshl_add_u64 v[10:11], v[4:5], 3, s[20:21]
	global_load_dwordx2 v[10:11], v[10:11], off
	v_mov_b64_e32 v[12:13], 0
	s_and_saveexec_b64 s[36:37], s[2:3]
	s_cbranch_execz .LBB30_47
; %bb.46:                               ;   in Loop: Header=BB30_43 Depth=3
	v_ashrrev_i32_e32 v7, 31, v6
	v_lshl_add_u64 v[12:13], v[6:7], 3, s[20:21]
	global_load_dwordx2 v[12:13], v[12:13], off
.LBB30_47:                              ;   in Loop: Header=BB30_43 Depth=3
	s_or_b64 exec, exec, s[36:37]
	s_waitcnt vmcnt(0)
	v_fma_f64 v[10:11], v[10:11], v[12:13], v[8:9]
	s_mov_b64 s[36:37], 0
.LBB30_48:                              ;   Parent Loop BB30_10 Depth=1
                                        ;     Parent Loop BB30_41 Depth=2
                                        ;       Parent Loop BB30_43 Depth=3
                                        ; =>      This Inner Loop Header: Depth=4
	s_and_b64 vcc, exec, s[36:37]
	s_cbranch_vccz .LBB30_52
; %bb.49:                               ;   in Loop: Header=BB30_48 Depth=4
	v_add_u32_e32 v10, s40, v29
	v_ashrrev_i32_e32 v11, 31, v10
	v_lshl_add_u64 v[10:11], v[10:11], 3, s[20:21]
	global_load_dwordx2 v[10:11], v[10:11], off
	v_mov_b64_e32 v[12:13], 0
	s_and_saveexec_b64 s[36:37], s[2:3]
	s_cbranch_execz .LBB30_51
; %bb.50:                               ;   in Loop: Header=BB30_48 Depth=4
	v_add_u32_e32 v12, s40, v26
	v_ashrrev_i32_e32 v13, 31, v12
	v_lshl_add_u64 v[12:13], v[12:13], 3, s[20:21]
	global_load_dwordx2 v[12:13], v[12:13], off
.LBB30_51:                              ;   in Loop: Header=BB30_48 Depth=4
	s_or_b64 exec, exec, s[36:37]
	s_waitcnt vmcnt(0)
	v_fmac_f64_e32 v[8:9], v[10:11], v[12:13]
	v_mov_b64_e32 v[10:11], v[8:9]
.LBB30_52:                              ;   in Loop: Header=BB30_48 Depth=4
	s_add_i32 s40, s40, 1
	v_add_u32_e32 v6, s46, v6
	s_cmp_eq_u32 s46, s40
	v_add_u32_e32 v4, s46, v4
	s_cbranch_scc0 .LBB30_44
; %bb.53:                               ;   in Loop: Header=BB30_43 Depth=3
	v_lshl_add_u32 v6, v30, 3, v16
	ds_read_b64 v[4:5], v6
	v_add_u32_e32 v30, 2, v30
	v_cmp_le_i32_e32 vcc, s46, v30
	v_add_u32_e32 v28, 2, v28
	s_or_b64 s[34:35], vcc, s[34:35]
	s_waitcnt lgkmcnt(0)
	v_add_f64 v[4:5], v[10:11], v[4:5]
	v_add_u32_e32 v29, s50, v29
	ds_write_b64 v6, v[4:5]
	s_andn2_b64 exec, exec, s[34:35]
	s_cbranch_execnz .LBB30_43
	s_branch .LBB30_40
.LBB30_54:                              ;   in Loop: Header=BB30_10 Depth=1
	s_andn2_b64 vcc, exec, s[26:27]
	s_waitcnt lgkmcnt(0)
	s_cbranch_vccnz .LBB30_69
; %bb.55:                               ;   in Loop: Header=BB30_10 Depth=1
	s_mul_i32 s36, s49, s52
	s_mov_b32 s37, 0
	v_mov_b32_e32 v13, s51
	v_mov_b32_e32 v10, v23
	s_mov_b32 s38, s36
	s_branch .LBB30_57
.LBB30_56:                              ;   in Loop: Header=BB30_57 Depth=2
	s_or_b64 exec, exec, s[30:31]
	s_add_i32 s37, s37, 1
	s_add_i32 s38, s38, 1
	s_cmp_eq_u32 s37, s46
	v_add_u32_e32 v10, 8, v10
	s_waitcnt lgkmcnt(0)
	s_cbranch_scc1 .LBB30_69
.LBB30_57:                              ;   Parent Loop BB30_10 Depth=1
                                        ; =>  This Loop Header: Depth=2
                                        ;       Child Loop BB30_64 Depth 3
                                        ;       Child Loop BB30_68 Depth 3
	s_mul_i32 s39, s37, s46
	s_add_i32 s39, s39, s36
	s_add_i32 s30, s39, s37
	s_ashr_i32 s31, s30, 31
	s_lshl_b64 s[30:31], s[30:31], 3
	s_add_u32 s30, s20, s30
	s_addc_u32 s31, s21, s31
	global_load_dwordx2 v[4:5], v2, s[30:31]
	v_lshl_add_u32 v11, s37, 3, v17
	ds_read_b64 v[6:7], v11
	s_waitcnt vmcnt(0)
	v_cmp_neq_f64_e32 vcc, 0, v[4:5]
	s_nop 1
	v_cndmask_b32_e32 v5, v25, v5, vcc
	s_nor_b64 s[34:35], vcc, s[4:5]
	v_cndmask_b32_e32 v4, 0, v4, vcc
	s_and_saveexec_b64 s[30:31], s[34:35]
	s_cbranch_execz .LBB30_61
; %bb.58:                               ;   in Loop: Header=BB30_57 Depth=2
	v_mbcnt_lo_u32_b32 v4, exec_lo, 0
	v_mbcnt_hi_u32_b32 v4, exec_hi, v4
	v_cmp_eq_u32_e32 vcc, 0, v4
	s_and_saveexec_b64 s[34:35], vcc
	s_cbranch_execz .LBB30_60
; %bb.59:                               ;   in Loop: Header=BB30_57 Depth=2
	global_atomic_smin v2, v13, s[14:15]
.LBB30_60:                              ;   in Loop: Header=BB30_57 Depth=2
	s_or_b64 exec, exec, s[34:35]
	v_mov_b64_e32 v[4:5], 1.0
.LBB30_61:                              ;   in Loop: Header=BB30_57 Depth=2
	s_or_b64 exec, exec, s[30:31]
	v_lshl_add_u32 v8, s37, 3, v16
	ds_read_b64 v[8:9], v8
	s_cmp_eq_u32 s37, 0
	s_cbranch_scc1 .LBB30_66
; %bb.62:                               ;   in Loop: Header=BB30_57 Depth=2
	s_mov_b32 s34, 0
	s_mov_b32 s35, s37
	;; [unrolled: 1-line block ×3, first 2 shown]
	v_mov_b32_e32 v12, v17
	s_branch .LBB30_64
.LBB30_63:                              ;   in Loop: Header=BB30_64 Depth=3
	s_ashr_i32 s31, s30, 31
	s_lshl_b64 s[30:31], s[30:31], 3
	s_add_u32 s30, s20, s30
	s_addc_u32 s31, s21, s31
	global_load_dwordx2 v[26:27], v2, s[30:31]
	ds_read_b64 v[28:29], v12
	s_add_i32 s34, s34, 1
	s_add_i32 s40, s40, s46
	s_add_i32 s35, s35, -1
	s_cmp_eq_u32 s35, 0
	v_add_u32_e32 v12, 8, v12
	s_waitcnt vmcnt(0) lgkmcnt(0)
	v_fmac_f64_e32 v[8:9], v[26:27], v[28:29]
	s_cbranch_scc1 .LBB30_66
.LBB30_64:                              ;   Parent Loop BB30_10 Depth=1
                                        ;     Parent Loop BB30_57 Depth=2
                                        ; =>    This Inner Loop Header: Depth=3
	s_andn2_b64 vcc, exec, s[22:23]
	s_mov_b32 s30, s40
	s_cbranch_vccnz .LBB30_63
; %bb.65:                               ;   in Loop: Header=BB30_64 Depth=3
	s_add_i32 s30, s34, s39
	s_branch .LBB30_63
.LBB30_66:                              ;   in Loop: Header=BB30_57 Depth=2
	s_waitcnt lgkmcnt(0)
	v_add_f64 v[6:7], v[6:7], -v[8:9]
	v_div_scale_f64 v[8:9], s[30:31], v[4:5], v[4:5], v[6:7]
	v_rcp_f64_e32 v[26:27], v[8:9]
	v_div_scale_f64 v[28:29], vcc, v[6:7], v[4:5], v[6:7]
	v_fma_f64 v[30:31], -v[8:9], v[26:27], 1.0
	v_fmac_f64_e32 v[26:27], v[26:27], v[30:31]
	v_fma_f64 v[30:31], -v[8:9], v[26:27], 1.0
	v_fmac_f64_e32 v[26:27], v[26:27], v[30:31]
	v_mul_f64 v[30:31], v[28:29], v[26:27]
	v_fma_f64 v[8:9], -v[8:9], v[30:31], v[28:29]
	v_div_fmas_f64 v[8:9], v[8:9], v[26:27], v[30:31]
	v_div_fixup_f64 v[4:5], v[8:9], v[4:5], v[6:7]
	ds_write_b64 v11, v[4:5]
	s_waitcnt lgkmcnt(0)
	s_and_saveexec_b64 s[30:31], s[0:1]
	s_cbranch_execz .LBB30_56
; %bb.67:                               ;   in Loop: Header=BB30_57 Depth=2
	s_mov_b64 s[34:35], 0
	v_mov_b32_e32 v6, v10
	v_mov_b32_e32 v7, v22
	;; [unrolled: 1-line block ×3, first 2 shown]
.LBB30_68:                              ;   Parent Loop BB30_10 Depth=1
                                        ;     Parent Loop BB30_57 Depth=2
                                        ; =>    This Inner Loop Header: Depth=3
	ds_read_b64 v[26:27], v6
	ds_read_b64 v[28:29], v7
	v_add_u32_e32 v8, 2, v8
	v_cmp_le_i32_e32 vcc, s46, v8
	s_or_b64 s[34:35], vcc, s[34:35]
	v_add_u32_e32 v6, 0x210, v6
	s_waitcnt lgkmcnt(0)
	v_fmac_f64_e32 v[28:29], v[4:5], v[26:27]
	ds_write_b64 v7, v[28:29]
	v_add_u32_e32 v7, 16, v7
	s_andn2_b64 exec, exec, s[34:35]
	s_cbranch_execnz .LBB30_68
	s_branch .LBB30_56
.LBB30_69:                              ;   in Loop: Header=BB30_10 Depth=1
	s_and_saveexec_b64 s[30:31], s[0:1]
	s_cbranch_execz .LBB30_9
; %bb.70:                               ;   in Loop: Header=BB30_10 Depth=1
	s_mov_b64 s[34:35], 0
	v_mov_b32_e32 v8, v24
	v_mov_b32_e32 v9, v1
	s_branch .LBB30_73
.LBB30_71:                              ;   in Loop: Header=BB30_73 Depth=2
	v_ashrrev_i32_e32 v7, 31, v6
	v_lshl_add_u64 v[6:7], v[6:7], 3, s[20:21]
	s_waitcnt lgkmcnt(0)
	global_store_dwordx2 v[6:7], v[4:5], off
.LBB30_72:                              ;   in Loop: Header=BB30_73 Depth=2
	s_or_b64 exec, exec, s[36:37]
	v_add_u32_e32 v9, 2, v9
	v_cmp_le_i32_e32 vcc, s46, v9
	s_or_b64 s[34:35], vcc, s[34:35]
	v_add_u32_e32 v8, 16, v8
	s_andn2_b64 exec, exec, s[34:35]
	s_cbranch_execz .LBB30_9
.LBB30_73:                              ;   Parent Loop BB30_10 Depth=1
                                        ; =>  This Inner Loop Header: Depth=2
	s_and_saveexec_b64 s[36:37], s[2:3]
	s_cbranch_execz .LBB30_72
; %bb.74:                               ;   in Loop: Header=BB30_73 Depth=2
	ds_read_b64 v[4:5], v8
	s_mov_b64 s[38:39], -1
	s_and_b64 vcc, exec, s[24:25]
                                        ; implicit-def: $vgpr6
	s_cbranch_vccz .LBB30_76
; %bb.75:                               ;   in Loop: Header=BB30_73 Depth=2
	v_add_u32_e32 v6, s29, v9
	v_mad_u64_u32 v[6:7], s[38:39], v6, s46, v[0:1]
	s_mov_b64 s[38:39], 0
.LBB30_76:                              ;   in Loop: Header=BB30_73 Depth=2
	s_andn2_b64 vcc, exec, s[38:39]
	s_cbranch_vccnz .LBB30_71
; %bb.77:                               ;   in Loop: Header=BB30_73 Depth=2
	v_add_u32_e32 v6, v21, v9
	s_branch .LBB30_71
.LBB30_78:                              ;   in Loop: Header=BB30_10 Depth=1
                                        ; implicit-def: $sgpr28
                                        ; implicit-def: $vgpr21
	s_cbranch_execz .LBB30_10
.LBB30_79:
	v_cmp_gt_i32_e64 s[0:1], s46, v1
	s_and_saveexec_b64 s[4:5], s[0:1]
	s_cbranch_execz .LBB30_92
; %bb.80:
	s_mul_i32 s26, s33, s46
	v_add_u32_e32 v2, s26, v0
	s_cmp_lg_u32 s47, 0
	v_mul_lo_u32 v4, v2, s46
	v_mul_u32_u24_e32 v2, 0x108, v0
	s_movk_i32 s16, 0x2100
	s_cselect_b64 s[8:9], -1, 0
	v_cmp_gt_i32_e64 s[2:3], s46, v0
	v_add3_u32 v5, v2, v14, s16
	s_mov_b64 s[16:17], 0
	v_mov_b32_e32 v6, v1
	s_branch .LBB30_82
.LBB30_81:                              ;   in Loop: Header=BB30_82 Depth=1
	s_or_b64 exec, exec, s[22:23]
	v_add_u32_e32 v6, 2, v6
	v_cmp_le_i32_e32 vcc, s46, v6
	s_waitcnt vmcnt(0)
	ds_write_b64 v5, v[8:9]
	s_or_b64 s[16:17], vcc, s[16:17]
	v_add_u32_e32 v5, 16, v5
	s_andn2_b64 exec, exec, s[16:17]
	s_cbranch_execz .LBB30_92
.LBB30_82:                              ; =>This Inner Loop Header: Depth=1
	s_and_b64 vcc, exec, s[8:9]
	s_cbranch_vccz .LBB30_89
; %bb.83:                               ;   in Loop: Header=BB30_82 Depth=1
	s_mov_b64 s[22:23], 0
	s_mov_b64 s[18:19], 0
                                        ; implicit-def: $vgpr2
	s_and_saveexec_b64 s[24:25], s[2:3]
	s_xor_b64 s[24:25], exec, s[24:25]
; %bb.84:                               ;   in Loop: Header=BB30_82 Depth=1
	v_add_u32_e32 v2, s26, v6
	s_mov_b64 s[18:19], exec
	v_mad_u64_u32 v[2:3], s[28:29], v2, s46, v[0:1]
; %bb.85:                               ;   in Loop: Header=BB30_82 Depth=1
	s_or_b64 exec, exec, s[24:25]
	s_and_b64 vcc, exec, s[22:23]
	s_cbranch_vccz .LBB30_90
.LBB30_86:                              ;   in Loop: Header=BB30_82 Depth=1
                                        ; implicit-def: $vgpr2
	s_and_saveexec_b64 s[22:23], s[2:3]
; %bb.87:                               ;   in Loop: Header=BB30_82 Depth=1
	v_add_u32_e32 v2, v4, v6
	s_or_b64 s[18:19], s[18:19], exec
; %bb.88:                               ;   in Loop: Header=BB30_82 Depth=1
	s_or_b64 exec, exec, s[22:23]
	v_mov_b64_e32 v[8:9], 0
	s_and_saveexec_b64 s[22:23], s[18:19]
	s_cbranch_execz .LBB30_81
	s_branch .LBB30_91
.LBB30_89:                              ;   in Loop: Header=BB30_82 Depth=1
	s_mov_b64 s[18:19], 0
                                        ; implicit-def: $vgpr2
	s_cbranch_execnz .LBB30_86
.LBB30_90:                              ;   in Loop: Header=BB30_82 Depth=1
	v_mov_b64_e32 v[8:9], 0
	s_and_saveexec_b64 s[22:23], s[18:19]
	s_cbranch_execz .LBB30_81
.LBB30_91:                              ;   in Loop: Header=BB30_82 Depth=1
	v_ashrrev_i32_e32 v3, 31, v2
	v_lshl_add_u64 v[2:3], v[2:3], 3, s[20:21]
	global_load_dwordx2 v[8:9], v[2:3], off
	s_branch .LBB30_81
.LBB30_92:
	s_or_b64 exec, exec, s[4:5]
	s_cmp_lt_i32 s46, 1
	s_waitcnt lgkmcnt(0)
	s_cbranch_scc1 .LBB30_105
; %bb.93:
	v_or_b32_e32 v4, v1, v0
	s_movk_i32 s4, 0x108
	v_mov_b32_e32 v2, 0x2100
	v_mul_u32_u24_e32 v3, 0x108, v0
	v_cmp_ne_u32_e64 s[2:3], 0, v4
	s_movk_i32 s5, 0x4200
	v_mov_b32_e32 v4, 0x4200
	v_mad_u32_u24 v6, v0, s4, v2
	s_add_i32 s8, s12, s13
	v_mad_u32_u24 v7, v0, s4, v4
	v_add3_u32 v10, v3, v14, s5
	v_mad_u32_u24 v11, v1, s4, v2
	s_mov_b32 s4, 0
	s_mov_b32 s18, 0
	v_add_u32_e32 v8, v6, v15
	v_add_u32_e32 v9, v7, v15
	s_brev_b32 s5, 8
	v_mov_b32_e32 v12, 0x260
	v_mov_b32_e32 v13, 0x3ff00000
	;; [unrolled: 1-line block ×6, first 2 shown]
	s_branch .LBB30_95
.LBB30_94:                              ;   in Loop: Header=BB30_95 Depth=1
	s_or_b64 exec, exec, s[8:9]
	s_add_i32 s18, s18, 1
	s_cmp_eq_u32 s18, s46
	v_add_u32_e32 v11, 8, v11
	s_waitcnt lgkmcnt(0)
	s_cbranch_scc1 .LBB30_105
.LBB30_95:                              ; =>This Loop Header: Depth=1
                                        ;     Child Loop BB30_104 Depth 2
	v_cmp_eq_u32_e32 vcc, s18, v0
	s_and_saveexec_b64 s[8:9], vcc
	s_cbranch_execz .LBB30_97
; %bb.96:                               ;   in Loop: Header=BB30_95 Depth=1
	ds_read_b64 v[2:3], v8
	ds_read_b64 v[4:5], v9
	s_waitcnt lgkmcnt(0)
	v_add_f64 v[2:3], v[2:3], -v[4:5]
	v_xor_b32_e32 v4, 0x80000000, v3
	v_cmp_gt_f64_e32 vcc, 0, v[2:3]
	s_nop 1
	v_cndmask_b32_e32 v3, v3, v4, vcc
	v_cmp_gt_f64_e32 vcc, s[4:5], v[2:3]
	s_nop 1
	v_cndmask_b32_e32 v4, 0, v16, vcc
	v_ldexp_f64 v[2:3], v[2:3], v4
	v_rsq_f64_e32 v[4:5], v[2:3]
	v_cndmask_b32_e32 v18, 0, v17, vcc
	v_cmp_class_f64_e32 vcc, v[2:3], v12
	v_mul_f64 v[20:21], v[2:3], v[4:5]
	v_mul_f64 v[4:5], v[4:5], 0.5
	v_fma_f64 v[22:23], -v[4:5], v[20:21], 0.5
	v_fmac_f64_e32 v[20:21], v[20:21], v[22:23]
	v_fmac_f64_e32 v[4:5], v[4:5], v[22:23]
	v_fma_f64 v[22:23], -v[20:21], v[20:21], v[2:3]
	v_fmac_f64_e32 v[20:21], v[22:23], v[4:5]
	v_fma_f64 v[22:23], -v[20:21], v[20:21], v[2:3]
	v_fmac_f64_e32 v[20:21], v[22:23], v[4:5]
	v_ldexp_f64 v[4:5], v[20:21], v18
	v_cndmask_b32_e32 v3, v5, v3, vcc
	v_cndmask_b32_e32 v2, v4, v2, vcc
	ds_write_b64 v8, v[2:3]
.LBB30_97:                              ;   in Loop: Header=BB30_95 Depth=1
	s_or_b64 exec, exec, s[8:9]
	s_lshl_b32 s8, s18, 3
	s_mul_i32 s9, s18, 0x108
	s_add_i32 s9, s9, s8
	v_mov_b32_e32 v2, s9
	s_waitcnt lgkmcnt(0)
	ds_read_b64 v[2:3], v2 offset:8448
	v_add_u32_e32 v18, s8, v6
	ds_read_b64 v[4:5], v18
	s_waitcnt lgkmcnt(1)
	v_cmp_neq_f64_e32 vcc, 0, v[2:3]
	s_nop 1
	v_cndmask_b32_e32 v3, v13, v3, vcc
	s_nor_b64 s[16:17], vcc, s[2:3]
	v_cndmask_b32_e32 v2, 0, v2, vcc
	s_and_saveexec_b64 s[8:9], s[16:17]
	s_cbranch_execz .LBB30_101
; %bb.98:                               ;   in Loop: Header=BB30_95 Depth=1
	v_mbcnt_lo_u32_b32 v2, exec_lo, 0
	v_mbcnt_hi_u32_b32 v2, exec_hi, v2
	v_cmp_eq_u32_e32 vcc, 0, v2
	s_and_saveexec_b64 s[16:17], vcc
	s_cbranch_execz .LBB30_100
; %bb.99:                               ;   in Loop: Header=BB30_95 Depth=1
	global_atomic_smin v15, v19, s[14:15]
.LBB30_100:                             ;   in Loop: Header=BB30_95 Depth=1
	s_or_b64 exec, exec, s[16:17]
	v_mov_b64_e32 v[2:3], 1.0
.LBB30_101:                             ;   in Loop: Header=BB30_95 Depth=1
	s_or_b64 exec, exec, s[8:9]
	v_cmp_lt_u32_e32 vcc, s18, v0
	s_and_saveexec_b64 s[8:9], vcc
	s_cbranch_execz .LBB30_94
; %bb.102:                              ;   in Loop: Header=BB30_95 Depth=1
	v_lshl_add_u32 v20, s18, 3, v7
	ds_read_b64 v[20:21], v20
	s_waitcnt lgkmcnt(0)
	v_add_f64 v[4:5], v[4:5], -v[20:21]
	v_div_scale_f64 v[20:21], s[16:17], v[2:3], v[2:3], v[4:5]
	v_rcp_f64_e32 v[22:23], v[20:21]
	v_div_scale_f64 v[24:25], vcc, v[4:5], v[2:3], v[4:5]
	v_fma_f64 v[26:27], -v[20:21], v[22:23], 1.0
	v_fmac_f64_e32 v[22:23], v[22:23], v[26:27]
	v_fma_f64 v[26:27], -v[20:21], v[22:23], 1.0
	v_fmac_f64_e32 v[22:23], v[22:23], v[26:27]
	v_mul_f64 v[26:27], v[24:25], v[22:23]
	v_fma_f64 v[20:21], -v[20:21], v[26:27], v[24:25]
	v_div_fmas_f64 v[20:21], v[20:21], v[22:23], v[26:27]
	v_div_fixup_f64 v[2:3], v[20:21], v[2:3], v[4:5]
	ds_write_b64 v18, v[2:3]
	s_waitcnt lgkmcnt(0)
	s_and_b64 exec, exec, s[0:1]
	s_cbranch_execz .LBB30_94
; %bb.103:                              ;   in Loop: Header=BB30_95 Depth=1
	s_mov_b64 s[16:17], 0
	v_mov_b32_e32 v4, v11
	v_mov_b32_e32 v5, v10
	;; [unrolled: 1-line block ×3, first 2 shown]
.LBB30_104:                             ;   Parent Loop BB30_95 Depth=1
                                        ; =>  This Inner Loop Header: Depth=2
	ds_read_b64 v[20:21], v4
	ds_read_b64 v[22:23], v5
	v_add_u32_e32 v18, 2, v18
	v_cmp_le_i32_e32 vcc, s46, v18
	s_or_b64 s[16:17], vcc, s[16:17]
	v_add_u32_e32 v4, 0x210, v4
	s_waitcnt lgkmcnt(0)
	v_fmac_f64_e32 v[22:23], v[2:3], v[20:21]
	ds_write_b64 v5, v[22:23]
	v_add_u32_e32 v5, 16, v5
	s_andn2_b64 exec, exec, s[16:17]
	s_cbranch_execnz .LBB30_104
	s_branch .LBB30_94
.LBB30_105:
	s_and_saveexec_b64 s[2:3], s[0:1]
	s_cbranch_execz .LBB30_114
; %bb.106:
	s_mul_i32 s33, s33, s46
	v_add_u32_e32 v2, s33, v0
	s_cmp_lg_u32 s47, 0
	v_mul_lo_u32 v6, v2, s46
	v_mul_u32_u24_e32 v2, 0x108, v0
	s_movk_i32 s8, 0x2100
	v_cmp_gt_i32_e64 s[0:1], s46, v0
	s_cselect_b64 s[4:5], -1, 0
	v_add3_u32 v7, v2, v14, s8
	s_mov_b64 s[8:9], 0
	v_mov_b32_e32 v8, v1
	s_branch .LBB30_110
.LBB30_107:                             ;   in Loop: Header=BB30_110 Depth=1
	v_add_u32_e32 v4, v6, v8
.LBB30_108:                             ;   in Loop: Header=BB30_110 Depth=1
	v_ashrrev_i32_e32 v5, 31, v4
	v_lshl_add_u64 v[4:5], v[4:5], 3, s[20:21]
	s_waitcnt lgkmcnt(0)
	global_store_dwordx2 v[4:5], v[2:3], off
.LBB30_109:                             ;   in Loop: Header=BB30_110 Depth=1
	s_or_b64 exec, exec, s[16:17]
	v_add_u32_e32 v8, 2, v8
	v_cmp_le_i32_e32 vcc, s46, v8
	s_or_b64 s[8:9], vcc, s[8:9]
	v_add_u32_e32 v7, 16, v7
	s_andn2_b64 exec, exec, s[8:9]
	s_cbranch_execz .LBB30_114
.LBB30_110:                             ; =>This Inner Loop Header: Depth=1
	s_and_saveexec_b64 s[16:17], s[0:1]
	s_cbranch_execz .LBB30_109
; %bb.111:                              ;   in Loop: Header=BB30_110 Depth=1
	ds_read_b64 v[2:3], v7
	s_and_b64 vcc, exec, s[4:5]
	s_cbranch_vccz .LBB30_113
; %bb.112:                              ;   in Loop: Header=BB30_110 Depth=1
	v_add_u32_e32 v4, s33, v8
	v_mad_u64_u32 v[4:5], s[18:19], v4, s46, v[0:1]
	s_cbranch_execnz .LBB30_108
	s_branch .LBB30_107
.LBB30_113:                             ;   in Loop: Header=BB30_110 Depth=1
                                        ; implicit-def: $vgpr4
	s_branch .LBB30_107
.LBB30_114:
	s_or_b64 exec, exec, s[2:3]
	v_or_b32_e32 v2, v1, v0
	v_cmp_eq_u32_e32 vcc, 0, v2
	s_and_saveexec_b64 s[0:1], vcc
	s_cbranch_execz .LBB30_116
; %bb.115:
	s_add_u32 s2, s10, s6
	s_addc_u32 s3, s11, s7
	v_mov_b32_e32 v2, 0
	v_mov_b32_e32 v3, 1
	buffer_wbl2 sc1
	s_waitcnt vmcnt(0)
	global_store_dword v2, v3, s[2:3] sc1
.LBB30_116:
	s_or_b64 exec, exec, s[0:1]
.LBB30_117:
	s_endpgm
.LBB30_118:
	s_cbranch_execz .LBB30_117
; %bb.119:
	v_or_b32_e32 v0, v1, v0
	v_cmp_eq_u32_e32 vcc, 0, v0
	s_and_saveexec_b64 s[0:1], vcc
	s_cbranch_execz .LBB30_117
; %bb.120:
	v_mbcnt_lo_u32_b32 v0, exec_lo, 0
	v_mbcnt_hi_u32_b32 v0, exec_hi, v0
	v_cmp_eq_u32_e32 vcc, 0, v0
	s_and_saveexec_b64 s[0:1], vcc
	s_cbranch_execz .LBB30_122
; %bb.121:
	s_add_i32 s2, s12, s13
	v_mov_b32_e32 v0, 0
	v_mov_b32_e32 v1, s2
	global_atomic_smin v0, v1, s[14:15]
.LBB30_122:
	s_or_b64 exec, exec, s[0:1]
	s_add_u32 s0, s10, s6
	s_addc_u32 s1, s11, s7
	v_mov_b32_e32 v0, 0
	v_mov_b32_e32 v1, 1
	buffer_wbl2 sc1
	s_waitcnt vmcnt(0)
	global_store_dword v0, v1, s[0:1] sc1
	s_endpgm
	.section	.rodata,"a",@progbits
	.p2align	6, 0x0
	.amdhsa_kernel _ZN9rocsparseL19bsric0_17_32_kernelILi64ELi32ELi32EdEEv20rocsparse_direction_iiPKiS3_PT2_S3_PiS3_S6_21rocsparse_index_base_
		.amdhsa_group_segment_fixed_size 25728
		.amdhsa_private_segment_fixed_size 0
		.amdhsa_kernarg_size 76
		.amdhsa_user_sgpr_count 2
		.amdhsa_user_sgpr_dispatch_ptr 0
		.amdhsa_user_sgpr_queue_ptr 0
		.amdhsa_user_sgpr_kernarg_segment_ptr 1
		.amdhsa_user_sgpr_dispatch_id 0
		.amdhsa_user_sgpr_kernarg_preload_length 0
		.amdhsa_user_sgpr_kernarg_preload_offset 0
		.amdhsa_user_sgpr_private_segment_size 0
		.amdhsa_uses_dynamic_stack 0
		.amdhsa_enable_private_segment 0
		.amdhsa_system_sgpr_workgroup_id_x 1
		.amdhsa_system_sgpr_workgroup_id_y 0
		.amdhsa_system_sgpr_workgroup_id_z 0
		.amdhsa_system_sgpr_workgroup_info 0
		.amdhsa_system_vgpr_workitem_id 1
		.amdhsa_next_free_vgpr 169
		.amdhsa_next_free_sgpr 96
		.amdhsa_accum_offset 32
		.amdhsa_reserve_vcc 1
		.amdhsa_float_round_mode_32 0
		.amdhsa_float_round_mode_16_64 0
		.amdhsa_float_denorm_mode_32 3
		.amdhsa_float_denorm_mode_16_64 3
		.amdhsa_dx10_clamp 1
		.amdhsa_ieee_mode 1
		.amdhsa_fp16_overflow 0
		.amdhsa_tg_split 0
		.amdhsa_exception_fp_ieee_invalid_op 0
		.amdhsa_exception_fp_denorm_src 0
		.amdhsa_exception_fp_ieee_div_zero 0
		.amdhsa_exception_fp_ieee_overflow 0
		.amdhsa_exception_fp_ieee_underflow 0
		.amdhsa_exception_fp_ieee_inexact 0
		.amdhsa_exception_int_div_zero 0
	.end_amdhsa_kernel
	.section	.text._ZN9rocsparseL19bsric0_17_32_kernelILi64ELi32ELi32EdEEv20rocsparse_direction_iiPKiS3_PT2_S3_PiS3_S6_21rocsparse_index_base_,"axG",@progbits,_ZN9rocsparseL19bsric0_17_32_kernelILi64ELi32ELi32EdEEv20rocsparse_direction_iiPKiS3_PT2_S3_PiS3_S6_21rocsparse_index_base_,comdat
.Lfunc_end30:
	.size	_ZN9rocsparseL19bsric0_17_32_kernelILi64ELi32ELi32EdEEv20rocsparse_direction_iiPKiS3_PT2_S3_PiS3_S6_21rocsparse_index_base_, .Lfunc_end30-_ZN9rocsparseL19bsric0_17_32_kernelILi64ELi32ELi32EdEEv20rocsparse_direction_iiPKiS3_PT2_S3_PiS3_S6_21rocsparse_index_base_
                                        ; -- End function
	.set _ZN9rocsparseL19bsric0_17_32_kernelILi64ELi32ELi32EdEEv20rocsparse_direction_iiPKiS3_PT2_S3_PiS3_S6_21rocsparse_index_base_.num_vgpr, 32
	.set _ZN9rocsparseL19bsric0_17_32_kernelILi64ELi32ELi32EdEEv20rocsparse_direction_iiPKiS3_PT2_S3_PiS3_S6_21rocsparse_index_base_.num_agpr, 0
	.set _ZN9rocsparseL19bsric0_17_32_kernelILi64ELi32ELi32EdEEv20rocsparse_direction_iiPKiS3_PT2_S3_PiS3_S6_21rocsparse_index_base_.numbered_sgpr, 56
	.set _ZN9rocsparseL19bsric0_17_32_kernelILi64ELi32ELi32EdEEv20rocsparse_direction_iiPKiS3_PT2_S3_PiS3_S6_21rocsparse_index_base_.num_named_barrier, 0
	.set _ZN9rocsparseL19bsric0_17_32_kernelILi64ELi32ELi32EdEEv20rocsparse_direction_iiPKiS3_PT2_S3_PiS3_S6_21rocsparse_index_base_.private_seg_size, 0
	.set _ZN9rocsparseL19bsric0_17_32_kernelILi64ELi32ELi32EdEEv20rocsparse_direction_iiPKiS3_PT2_S3_PiS3_S6_21rocsparse_index_base_.uses_vcc, 1
	.set _ZN9rocsparseL19bsric0_17_32_kernelILi64ELi32ELi32EdEEv20rocsparse_direction_iiPKiS3_PT2_S3_PiS3_S6_21rocsparse_index_base_.uses_flat_scratch, 0
	.set _ZN9rocsparseL19bsric0_17_32_kernelILi64ELi32ELi32EdEEv20rocsparse_direction_iiPKiS3_PT2_S3_PiS3_S6_21rocsparse_index_base_.has_dyn_sized_stack, 0
	.set _ZN9rocsparseL19bsric0_17_32_kernelILi64ELi32ELi32EdEEv20rocsparse_direction_iiPKiS3_PT2_S3_PiS3_S6_21rocsparse_index_base_.has_recursion, 0
	.set _ZN9rocsparseL19bsric0_17_32_kernelILi64ELi32ELi32EdEEv20rocsparse_direction_iiPKiS3_PT2_S3_PiS3_S6_21rocsparse_index_base_.has_indirect_call, 0
	.section	.AMDGPU.csdata,"",@progbits
; Kernel info:
; codeLenInByte = 3560
; TotalNumSgprs: 62
; NumVgprs: 32
; NumAgprs: 0
; TotalNumVgprs: 32
; ScratchSize: 0
; MemoryBound: 0
; FloatMode: 240
; IeeeMode: 1
; LDSByteSize: 25728 bytes/workgroup (compile time only)
; SGPRBlocks: 12
; VGPRBlocks: 21
; NumSGPRsForWavesPerEU: 102
; NumVGPRsForWavesPerEU: 169
; AccumOffset: 32
; Occupancy: 2
; WaveLimiterHint : 1
; COMPUTE_PGM_RSRC2:SCRATCH_EN: 0
; COMPUTE_PGM_RSRC2:USER_SGPR: 2
; COMPUTE_PGM_RSRC2:TRAP_HANDLER: 0
; COMPUTE_PGM_RSRC2:TGID_X_EN: 1
; COMPUTE_PGM_RSRC2:TGID_Y_EN: 0
; COMPUTE_PGM_RSRC2:TGID_Z_EN: 0
; COMPUTE_PGM_RSRC2:TIDIG_COMP_CNT: 1
; COMPUTE_PGM_RSRC3_GFX90A:ACCUM_OFFSET: 7
; COMPUTE_PGM_RSRC3_GFX90A:TG_SPLIT: 0
	.section	.text._ZN9rocsparseL23bsric0_binsearch_kernelILj64ELj64ELb0EdEEv20rocsparse_direction_iiPKiS3_PT2_S3_PiS3_S6_21rocsparse_index_base_,"axG",@progbits,_ZN9rocsparseL23bsric0_binsearch_kernelILj64ELj64ELb0EdEEv20rocsparse_direction_iiPKiS3_PT2_S3_PiS3_S6_21rocsparse_index_base_,comdat
	.globl	_ZN9rocsparseL23bsric0_binsearch_kernelILj64ELj64ELb0EdEEv20rocsparse_direction_iiPKiS3_PT2_S3_PiS3_S6_21rocsparse_index_base_ ; -- Begin function _ZN9rocsparseL23bsric0_binsearch_kernelILj64ELj64ELb0EdEEv20rocsparse_direction_iiPKiS3_PT2_S3_PiS3_S6_21rocsparse_index_base_
	.p2align	8
	.type	_ZN9rocsparseL23bsric0_binsearch_kernelILj64ELj64ELb0EdEEv20rocsparse_direction_iiPKiS3_PT2_S3_PiS3_S6_21rocsparse_index_base_,@function
_ZN9rocsparseL23bsric0_binsearch_kernelILj64ELj64ELb0EdEEv20rocsparse_direction_iiPKiS3_PT2_S3_PiS3_S6_21rocsparse_index_base_: ; @_ZN9rocsparseL23bsric0_binsearch_kernelILj64ELj64ELb0EdEEv20rocsparse_direction_iiPKiS3_PT2_S3_PiS3_S6_21rocsparse_index_base_
; %bb.0:
	s_load_dwordx8 s[16:23], s[0:1], 0x28
	s_ashr_i32 s3, s2, 31
	s_lshl_b64 s[2:3], s[2:3], 2
	v_mov_b32_e32 v1, 0
	s_load_dword s33, s[0:1], 0x48
	s_waitcnt lgkmcnt(0)
	s_add_u32 s2, s20, s2
	s_addc_u32 s3, s21, s3
	global_load_dword v2, v1, s[2:3]
	s_waitcnt vmcnt(0)
	v_ashrrev_i32_e32 v3, 31, v2
	v_lshlrev_b64 v[4:5], 2, v[2:3]
	v_lshl_add_u64 v[4:5], s[16:17], 0, v[4:5]
	global_load_dword v1, v[4:5], off
	s_waitcnt vmcnt(0)
	v_readfirstlane_b32 s2, v1
	s_cmp_lg_u32 s2, -1
	s_cselect_b64 s[2:3], -1, 0
	s_and_saveexec_b64 s[4:5], s[2:3]
	s_xor_b64 s[14:15], exec, s[4:5]
	s_cbranch_execz .LBB31_69
; %bb.1:
	s_load_dword s52, s[0:1], 0x8
	s_waitcnt lgkmcnt(0)
	v_cmp_gt_i32_e32 vcc, s52, v0
	s_and_saveexec_b64 s[20:21], vcc
	s_cbranch_execz .LBB31_66
; %bb.2:
	s_load_dwordx4 s[24:27], s[0:1], 0x10
	s_load_dword s4, s[0:1], 0x0
	s_load_dwordx2 s[28:29], s[0:1], 0x20
	s_mul_i32 s53, s52, s52
	s_mov_b32 s34, 0
	s_waitcnt lgkmcnt(0)
	v_lshl_add_u64 v[4:5], v[2:3], 2, s[24:25]
	global_load_dwordx2 v[4:5], v[4:5], off
	s_cmp_eq_u32 s4, 0
	s_cselect_b64 s[2:3], -1, 0
	s_cmp_lg_u32 s4, 0
	v_cmp_ne_u32_e64 s[0:1], 0, v0
	v_add_u32_e32 v26, s33, v2
	s_mov_b64 s[30:31], 0
	v_mov_b32_e32 v27, 0
	s_brev_b32 s35, 8
	v_mov_b32_e32 v28, 0x260
	v_mov_b32_e32 v29, 0x3ff00000
	;; [unrolled: 1-line block ×4, first 2 shown]
	v_mul_lo_u32 v32, v1, s53
	s_cselect_b64 s[36:37], -1, 0
	s_waitcnt vmcnt(0)
	v_subrev_u32_e32 v33, s33, v4
	v_xad_u32 v34, s33, -1, v5
	v_add_u32_e32 v4, v34, v33
	v_ashrrev_i32_e32 v4, 1, v4
	v_mul_lo_u32 v35, s53, v33
	v_ashrrev_i32_e32 v5, 31, v4
	v_cmp_lt_i32_e64 s[4:5], v33, v1
	v_cmp_ge_i32_e64 s[6:7], v33, v1
	v_cmp_lt_i32_e64 s[8:9], v33, v34
	v_add_u32_e32 v36, v35, v0
	v_lshl_add_u64 v[6:7], v[4:5], 2, s[26:27]
	v_mov_b32_e32 v5, v0
	s_branch .LBB31_4
.LBB31_3:                               ;   in Loop: Header=BB31_4 Depth=1
	v_add_u32_e32 v5, 64, v5
	v_cmp_le_i32_e32 vcc, s52, v5
	s_or_b64 s[30:31], vcc, s[30:31]
	v_add_u32_e32 v36, 64, v36
	s_andn2_b64 exec, exec, s[30:31]
	s_cbranch_execz .LBB31_66
.LBB31_4:                               ; =>This Loop Header: Depth=1
                                        ;     Child Loop BB31_9 Depth 2
                                        ;       Child Loop BB31_12 Depth 3
                                        ;       Child Loop BB31_16 Depth 3
                                        ;         Child Loop BB31_18 Depth 4
                                        ;         Child Loop BB31_25 Depth 4
                                        ;           Child Loop BB31_27 Depth 5
                                        ;           Child Loop BB31_33 Depth 5
                                        ;     Child Loop BB31_40 Depth 2
                                        ;       Child Loop BB31_44 Depth 3
                                        ;       Child Loop BB31_52 Depth 3
                                        ;         Child Loop BB31_54 Depth 4
                                        ;       Child Loop BB31_62 Depth 3
	v_mul_lo_u32 v37, v5, s52
	s_and_saveexec_b64 s[10:11], s[6:7]
	s_xor_b64 s[10:11], exec, s[10:11]
; %bb.5:                                ;   in Loop: Header=BB31_4 Depth=1
	v_mul_lo_u32 v37, v5, s52
; %bb.6:                                ;   in Loop: Header=BB31_4 Depth=1
	s_or_saveexec_b64 s[38:39], s[10:11]
	v_mov_b64_e32 v[8:9], 0
	s_xor_b64 exec, exec, s[38:39]
	s_cbranch_execz .LBB31_37
; %bb.7:                                ;   in Loop: Header=BB31_4 Depth=1
	v_mov_b64_e32 v[8:9], 0
	s_mov_b64 s[40:41], 0
	v_mov_b32_e32 v10, v33
	s_branch .LBB31_9
.LBB31_8:                               ;   in Loop: Header=BB31_9 Depth=2
	s_or_b64 exec, exec, s[42:43]
	v_add_u32_e32 v10, 1, v10
	v_cmp_ge_i32_e32 vcc, v10, v1
	s_xor_b64 s[10:11], s[10:11], -1
	s_or_b64 s[10:11], s[10:11], vcc
	s_and_b64 s[10:11], exec, s[10:11]
	s_or_b64 s[40:41], s[10:11], s[40:41]
	s_andn2_b64 exec, exec, s[40:41]
	s_cbranch_execz .LBB31_36
.LBB31_9:                               ;   Parent Loop BB31_4 Depth=1
                                        ; =>  This Loop Header: Depth=2
                                        ;       Child Loop BB31_12 Depth 3
                                        ;       Child Loop BB31_16 Depth 3
                                        ;         Child Loop BB31_18 Depth 4
                                        ;         Child Loop BB31_25 Depth 4
                                        ;           Child Loop BB31_27 Depth 5
                                        ;           Child Loop BB31_33 Depth 5
	v_ashrrev_i32_e32 v11, 31, v10
	v_lshl_add_u64 v[12:13], v[10:11], 2, s[26:27]
	global_load_dword v11, v[12:13], off
	s_waitcnt vmcnt(0)
	v_subrev_u32_e32 v12, s33, v11
	v_ashrrev_i32_e32 v13, 31, v12
	v_lshl_add_u64 v[14:15], v[12:13], 2, s[16:17]
	global_load_dword v38, v[14:15], off
	s_waitcnt vmcnt(0)
	v_cmp_ne_u32_e64 s[10:11], -1, v38
	s_and_saveexec_b64 s[42:43], s[10:11]
	s_cbranch_execz .LBB31_8
; %bb.10:                               ;   in Loop: Header=BB31_9 Depth=2
	v_lshlrev_b64 v[14:15], 2, v[12:13]
	v_lshl_add_u64 v[16:17], s[24:25], 0, v[14:15]
	v_lshl_add_u64 v[14:15], s[18:19], 0, v[14:15]
	global_load_dword v13, v[16:17], off
	s_nop 0
	global_load_dword v16, v[14:15], off sc1
	s_waitcnt vmcnt(0)
	v_cmp_eq_u32_e32 vcc, 0, v16
	s_and_saveexec_b64 s[12:13], vcc
	s_cbranch_execz .LBB31_13
; %bb.11:                               ;   in Loop: Header=BB31_9 Depth=2
	s_mov_b64 s[44:45], 0
.LBB31_12:                              ;   Parent Loop BB31_4 Depth=1
                                        ;     Parent Loop BB31_9 Depth=2
                                        ; =>    This Inner Loop Header: Depth=3
	global_load_dword v16, v[14:15], off sc1
	s_waitcnt vmcnt(0)
	v_cmp_ne_u32_e32 vcc, 0, v16
	s_or_b64 s[44:45], vcc, s[44:45]
	s_andn2_b64 exec, exec, s[44:45]
	s_cbranch_execnz .LBB31_12
.LBB31_13:                              ;   in Loop: Header=BB31_9 Depth=2
	s_or_b64 exec, exec, s[12:13]
	v_subrev_u32_e32 v39, s33, v13
	v_mul_lo_u32 v40, v12, s52
	v_mul_lo_u32 v12, v10, s53
	;; [unrolled: 1-line block ×3, first 2 shown]
	v_add_u32_e32 v42, v12, v5
	v_add_u32_e32 v43, v12, v37
	v_cmp_le_i32_e64 s[12:13], v39, v38
	v_mul_lo_u32 v44, s53, v39
	s_mov_b32 s54, 0
	buffer_inv sc1
	s_branch .LBB31_16
.LBB31_14:                              ;   in Loop: Header=BB31_16 Depth=3
	s_or_b64 exec, exec, s[46:47]
.LBB31_15:                              ;   in Loop: Header=BB31_16 Depth=3
	s_or_b64 exec, exec, s[44:45]
	s_waitcnt vmcnt(0)
	v_add_f64 v[16:17], v[16:17], -v[18:19]
	v_div_scale_f64 v[18:19], s[44:45], v[12:13], v[12:13], v[16:17]
	v_rcp_f64_e32 v[20:21], v[18:19]
	v_div_scale_f64 v[22:23], vcc, v[16:17], v[12:13], v[16:17]
	s_add_i32 s54, s54, 1
	v_fma_f64 v[24:25], -v[18:19], v[20:21], 1.0
	v_fmac_f64_e32 v[20:21], v[20:21], v[24:25]
	v_fma_f64 v[24:25], -v[18:19], v[20:21], 1.0
	v_fmac_f64_e32 v[20:21], v[20:21], v[24:25]
	v_mul_f64 v[24:25], v[22:23], v[20:21]
	v_fma_f64 v[18:19], -v[18:19], v[24:25], v[22:23]
	v_div_fmas_f64 v[18:19], v[18:19], v[20:21], v[24:25]
	v_div_fixup_f64 v[12:13], v[18:19], v[12:13], v[16:17]
	v_fmac_f64_e32 v[8:9], v[12:13], v[12:13]
	s_cmp_eq_u32 s54, s52
	v_add_u32_e32 v44, 1, v44
	global_store_dwordx2 v[14:15], v[12:13], off
	s_cbranch_scc1 .LBB31_8
.LBB31_16:                              ;   Parent Loop BB31_4 Depth=1
                                        ;     Parent Loop BB31_9 Depth=2
                                        ; =>    This Loop Header: Depth=3
                                        ;         Child Loop BB31_18 Depth 4
                                        ;         Child Loop BB31_25 Depth 4
                                        ;           Child Loop BB31_27 Depth 5
                                        ;           Child Loop BB31_33 Depth 5
	s_mul_i32 s55, s54, s52
	s_add_i32 s44, s55, s54
	v_add_u32_e32 v12, s44, v41
	v_ashrrev_i32_e32 v13, 31, v12
	v_lshl_add_u64 v[12:13], v[12:13], 3, s[28:29]
	global_load_dwordx2 v[12:13], v[12:13], off
	s_waitcnt vmcnt(0)
	v_cmp_neq_f64_e32 vcc, 0, v[12:13]
	s_nop 1
	v_cndmask_b32_e32 v13, v29, v13, vcc
	s_nor_b64 s[46:47], vcc, s[0:1]
	v_cndmask_b32_e32 v12, 0, v12, vcc
	s_and_saveexec_b64 s[44:45], s[46:47]
	s_cbranch_execz .LBB31_22
; %bb.17:                               ;   in Loop: Header=BB31_16 Depth=3
	s_mov_b64 s[46:47], exec
	s_brev_b32 s48, -2
.LBB31_18:                              ;   Parent Loop BB31_4 Depth=1
                                        ;     Parent Loop BB31_9 Depth=2
                                        ;       Parent Loop BB31_16 Depth=3
                                        ; =>      This Inner Loop Header: Depth=4
	s_ff1_i32_b64 s49, s[46:47]
	v_readlane_b32 s56, v11, s49
	s_lshl_b64 s[50:51], 1, s49
	s_min_i32 s48, s48, s56
	s_andn2_b64 s[46:47], s[46:47], s[50:51]
	s_cmp_lg_u64 s[46:47], 0
	s_cbranch_scc1 .LBB31_18
; %bb.19:                               ;   in Loop: Header=BB31_16 Depth=3
	v_mbcnt_lo_u32_b32 v12, exec_lo, 0
	v_mbcnt_hi_u32_b32 v12, exec_hi, v12
	v_cmp_eq_u32_e32 vcc, 0, v12
	s_and_saveexec_b64 s[46:47], vcc
	s_xor_b64 s[46:47], exec, s[46:47]
	s_cbranch_execz .LBB31_21
; %bb.20:                               ;   in Loop: Header=BB31_16 Depth=3
	v_mov_b32_e32 v12, s48
	global_atomic_smin v27, v12, s[22:23]
.LBB31_21:                              ;   in Loop: Header=BB31_16 Depth=3
	s_or_b64 exec, exec, s[46:47]
	v_mov_b64_e32 v[12:13], 1.0
.LBB31_22:                              ;   in Loop: Header=BB31_16 Depth=3
	s_or_b64 exec, exec, s[44:45]
	v_add_u32_e32 v14, s55, v42
	v_add_u32_e32 v15, s54, v43
	v_cndmask_b32_e64 v14, v14, v15, s[2:3]
	v_ashrrev_i32_e32 v15, 31, v14
	v_lshl_add_u64 v[14:15], v[14:15], 3, s[28:29]
	global_load_dwordx2 v[16:17], v[14:15], off
	v_mov_b64_e32 v[18:19], 0
	s_and_saveexec_b64 s[44:45], s[12:13]
	s_cbranch_execz .LBB31_15
; %bb.23:                               ;   in Loop: Header=BB31_16 Depth=3
	global_load_dword v45, v[6:7], off
	v_add_u32_e32 v46, s54, v40
	v_mov_b64_e32 v[18:19], 0
	s_mov_b64 s[46:47], 0
	v_mov_b32_e32 v47, v44
	v_mov_b32_e32 v20, v39
	s_branch .LBB31_25
.LBB31_24:                              ;   in Loop: Header=BB31_25 Depth=4
	s_or_b64 exec, exec, s[48:49]
	v_add_u32_e32 v21, 1, v20
	v_cmp_ge_i32_e32 vcc, v20, v38
	v_add_u32_e32 v47, s53, v47
	s_or_b64 s[46:47], vcc, s[46:47]
	v_mov_b32_e32 v20, v21
	s_andn2_b64 exec, exec, s[46:47]
	s_cbranch_execz .LBB31_14
.LBB31_25:                              ;   Parent Loop BB31_4 Depth=1
                                        ;     Parent Loop BB31_9 Depth=2
                                        ;       Parent Loop BB31_16 Depth=3
                                        ; =>      This Loop Header: Depth=4
                                        ;           Child Loop BB31_27 Depth 5
                                        ;           Child Loop BB31_33 Depth 5
	v_ashrrev_i32_e32 v21, 31, v20
	v_lshl_add_u64 v[22:23], v[20:21], 2, s[26:27]
	global_load_dword v21, v[22:23], off
	s_waitcnt vmcnt(1)
	v_mov_b32_e32 v23, v45
	v_mov_b32_e32 v22, v4
	s_and_saveexec_b64 s[48:49], s[8:9]
	s_cbranch_execz .LBB31_29
; %bb.26:                               ;   in Loop: Header=BB31_25 Depth=4
	s_mov_b64 s[50:51], 0
	v_mov_b32_e32 v23, v45
	v_mov_b32_e32 v22, v4
	;; [unrolled: 1-line block ×4, first 2 shown]
.LBB31_27:                              ;   Parent Loop BB31_4 Depth=1
                                        ;     Parent Loop BB31_9 Depth=2
                                        ;       Parent Loop BB31_16 Depth=3
                                        ;         Parent Loop BB31_25 Depth=4
                                        ; =>        This Inner Loop Header: Depth=5
	v_add_u32_e32 v48, 1, v22
	s_waitcnt vmcnt(0)
	v_cmp_lt_i32_e32 vcc, v23, v21
	s_nop 1
	v_cndmask_b32_e32 v25, v25, v48, vcc
	v_cndmask_b32_e32 v24, v22, v24, vcc
	v_add_u32_e32 v22, v24, v25
	v_ashrrev_i32_e32 v22, 1, v22
	v_ashrrev_i32_e32 v23, 31, v22
	v_lshl_add_u64 v[48:49], v[22:23], 2, s[26:27]
	global_load_dword v23, v[48:49], off
	v_cmp_ge_i32_e32 vcc, v25, v24
	s_or_b64 s[50:51], vcc, s[50:51]
	s_andn2_b64 exec, exec, s[50:51]
	s_cbranch_execnz .LBB31_27
; %bb.28:                               ;   in Loop: Header=BB31_25 Depth=4
	s_or_b64 exec, exec, s[50:51]
.LBB31_29:                              ;   in Loop: Header=BB31_25 Depth=4
	s_or_b64 exec, exec, s[48:49]
	s_waitcnt vmcnt(0)
	v_cmp_eq_u32_e32 vcc, v23, v21
	s_and_saveexec_b64 s[48:49], vcc
	s_cbranch_execz .LBB31_24
; %bb.30:                               ;   in Loop: Header=BB31_25 Depth=4
	v_subrev_u32_e32 v21, s33, v21
	v_mul_lo_u32 v23, v20, s53
	v_mul_lo_u32 v22, v22, s53
	v_mul_lo_u32 v21, v21, s52
	v_add_u32_e32 v48, s55, v23
	v_add_u32_e32 v49, v22, v37
	;; [unrolled: 1-line block ×3, first 2 shown]
	s_mov_b32 s56, 0
	v_mov_b32_e32 v51, v47
	s_branch .LBB31_33
.LBB31_31:                              ;   in Loop: Header=BB31_33 Depth=5
	v_ashrrev_i32_e32 v25, 31, v24
	v_ashrrev_i32_e32 v23, 31, v22
	v_lshl_add_u64 v[24:25], v[24:25], 3, s[28:29]
	v_lshl_add_u64 v[22:23], v[22:23], 3, s[28:29]
	global_load_dwordx2 v[24:25], v[24:25], off
	s_nop 0
	global_load_dwordx2 v[22:23], v[22:23], off
	s_waitcnt vmcnt(0)
	v_fmac_f64_e32 v[18:19], v[24:25], v[22:23]
.LBB31_32:                              ;   in Loop: Header=BB31_33 Depth=5
	s_or_b64 exec, exec, s[50:51]
	s_add_i32 s56, s56, 1
	v_add_u32_e32 v50, s52, v50
	s_cmp_lg_u32 s52, s56
	v_add_u32_e32 v51, s52, v51
	s_cbranch_scc0 .LBB31_24
.LBB31_33:                              ;   Parent Loop BB31_4 Depth=1
                                        ;     Parent Loop BB31_9 Depth=2
                                        ;       Parent Loop BB31_16 Depth=3
                                        ;         Parent Loop BB31_25 Depth=4
                                        ; =>        This Inner Loop Header: Depth=5
	v_add_u32_e32 v22, s56, v21
	v_cmp_lt_i32_e32 vcc, v22, v46
	s_and_saveexec_b64 s[50:51], vcc
	s_cbranch_execz .LBB31_32
; %bb.34:                               ;   in Loop: Header=BB31_33 Depth=5
	s_andn2_b64 vcc, exec, s[2:3]
	v_mov_b32_e32 v22, v50
	v_mov_b32_e32 v24, v51
	s_cbranch_vccnz .LBB31_31
; %bb.35:                               ;   in Loop: Header=BB31_33 Depth=5
	v_add_u32_e32 v24, s56, v48
	v_add_u32_e32 v22, s56, v49
	s_branch .LBB31_31
.LBB31_36:                              ;   in Loop: Header=BB31_4 Depth=1
	s_or_b64 exec, exec, s[40:41]
.LBB31_37:                              ;   in Loop: Header=BB31_4 Depth=1
	s_or_b64 exec, exec, s[38:39]
	v_add_u32_e32 v22, v37, v32
	s_mov_b32 s42, 0
	v_mov_b32_e32 v23, v35
	s_branch .LBB31_40
.LBB31_38:                              ;   in Loop: Header=BB31_40 Depth=2
	s_waitcnt vmcnt(0)
	v_add_f64 v[14:15], v[14:15], -v[16:17]
	v_div_scale_f64 v[16:17], s[12:13], v[10:11], v[10:11], v[14:15]
	v_rcp_f64_e32 v[18:19], v[16:17]
	v_div_scale_f64 v[20:21], vcc, v[14:15], v[10:11], v[14:15]
	v_fma_f64 v[24:25], -v[16:17], v[18:19], 1.0
	v_fmac_f64_e32 v[18:19], v[18:19], v[24:25]
	v_fma_f64 v[24:25], -v[16:17], v[18:19], 1.0
	v_fmac_f64_e32 v[18:19], v[18:19], v[24:25]
	v_mul_f64 v[24:25], v[20:21], v[18:19]
	v_fma_f64 v[16:17], -v[16:17], v[24:25], v[20:21]
	v_div_fmas_f64 v[16:17], v[16:17], v[18:19], v[24:25]
	v_div_fixup_f64 v[10:11], v[16:17], v[10:11], v[14:15]
	v_fmac_f64_e32 v[8:9], v[10:11], v[10:11]
	global_store_dwordx2 v[12:13], v[10:11], off
.LBB31_39:                              ;   in Loop: Header=BB31_40 Depth=2
	s_or_b64 exec, exec, s[10:11]
	s_add_i32 s42, s42, 1
	s_cmp_eq_u32 s42, s52
	v_add_u32_e32 v23, 1, v23
	buffer_wbl2 sc1
	s_waitcnt vmcnt(0)
	buffer_inv sc1
	s_cbranch_scc1 .LBB31_3
.LBB31_40:                              ;   Parent Loop BB31_4 Depth=1
                                        ; =>  This Loop Header: Depth=2
                                        ;       Child Loop BB31_44 Depth 3
                                        ;       Child Loop BB31_52 Depth 3
                                        ;         Child Loop BB31_54 Depth 4
                                        ;       Child Loop BB31_62 Depth 3
	s_mul_i32 s43, s42, s52
	v_add_u32_e32 v24, s43, v32
	v_add_u32_e32 v10, s42, v24
	v_ashrrev_i32_e32 v11, 31, v10
	v_cmp_eq_u32_e32 vcc, s42, v5
	v_lshl_add_u64 v[10:11], v[10:11], 3, s[28:29]
	s_and_saveexec_b64 s[10:11], vcc
	s_cbranch_execz .LBB31_42
; %bb.41:                               ;   in Loop: Header=BB31_40 Depth=2
	global_load_dwordx2 v[12:13], v[10:11], off
	s_waitcnt vmcnt(0)
	v_add_f64 v[12:13], v[12:13], -v[8:9]
	v_xor_b32_e32 v14, 0x80000000, v13
	v_cmp_gt_f64_e32 vcc, 0, v[12:13]
	s_nop 1
	v_cndmask_b32_e32 v13, v13, v14, vcc
	v_cmp_gt_f64_e32 vcc, s[34:35], v[12:13]
	s_nop 1
	v_cndmask_b32_e32 v14, 0, v30, vcc
	v_ldexp_f64 v[12:13], v[12:13], v14
	v_rsq_f64_e32 v[14:15], v[12:13]
	v_cndmask_b32_e32 v20, 0, v31, vcc
	v_cmp_class_f64_e32 vcc, v[12:13], v28
	v_mul_f64 v[16:17], v[12:13], v[14:15]
	v_mul_f64 v[14:15], v[14:15], 0.5
	v_fma_f64 v[18:19], -v[14:15], v[16:17], 0.5
	v_fmac_f64_e32 v[16:17], v[16:17], v[18:19]
	v_fmac_f64_e32 v[14:15], v[14:15], v[18:19]
	v_fma_f64 v[18:19], -v[16:17], v[16:17], v[12:13]
	v_fmac_f64_e32 v[16:17], v[18:19], v[14:15]
	v_fma_f64 v[18:19], -v[16:17], v[16:17], v[12:13]
	v_fmac_f64_e32 v[16:17], v[18:19], v[14:15]
	v_ldexp_f64 v[14:15], v[16:17], v20
	v_cndmask_b32_e32 v13, v15, v13, vcc
	v_cndmask_b32_e32 v12, v14, v12, vcc
	global_store_dwordx2 v[10:11], v[12:13], off
.LBB31_42:                              ;   in Loop: Header=BB31_40 Depth=2
	s_or_b64 exec, exec, s[10:11]
	buffer_wbl2 sc1
	s_waitcnt vmcnt(0)
	buffer_inv sc1
	global_load_dwordx2 v[10:11], v[10:11], off
	s_waitcnt vmcnt(0)
	v_cmp_neq_f64_e32 vcc, 0, v[10:11]
	s_nop 1
	v_cndmask_b32_e32 v11, v29, v11, vcc
	s_nor_b64 s[12:13], vcc, s[0:1]
	v_cndmask_b32_e32 v10, 0, v10, vcc
	s_and_saveexec_b64 s[10:11], s[12:13]
	s_cbranch_execz .LBB31_48
; %bb.43:                               ;   in Loop: Header=BB31_40 Depth=2
	s_mov_b64 s[12:13], exec
	s_brev_b32 s38, -2
.LBB31_44:                              ;   Parent Loop BB31_4 Depth=1
                                        ;     Parent Loop BB31_40 Depth=2
                                        ; =>    This Inner Loop Header: Depth=3
	s_ff1_i32_b64 s39, s[12:13]
	v_readlane_b32 s44, v26, s39
	s_lshl_b64 s[40:41], 1, s39
	s_min_i32 s38, s38, s44
	s_andn2_b64 s[12:13], s[12:13], s[40:41]
	s_cmp_lg_u64 s[12:13], 0
	s_cbranch_scc1 .LBB31_44
; %bb.45:                               ;   in Loop: Header=BB31_40 Depth=2
	v_mbcnt_lo_u32_b32 v10, exec_lo, 0
	v_mbcnt_hi_u32_b32 v10, exec_hi, v10
	v_cmp_eq_u32_e32 vcc, 0, v10
	s_and_saveexec_b64 s[12:13], vcc
	s_xor_b64 s[12:13], exec, s[12:13]
	s_cbranch_execz .LBB31_47
; %bb.46:                               ;   in Loop: Header=BB31_40 Depth=2
	v_mov_b32_e32 v10, s38
	global_atomic_smin v27, v10, s[22:23]
.LBB31_47:                              ;   in Loop: Header=BB31_40 Depth=2
	s_or_b64 exec, exec, s[12:13]
	v_mov_b64_e32 v[10:11], 1.0
.LBB31_48:                              ;   in Loop: Header=BB31_40 Depth=2
	s_or_b64 exec, exec, s[10:11]
	v_cmp_lt_i32_e32 vcc, s42, v5
	s_and_saveexec_b64 s[10:11], vcc
	s_cbranch_execz .LBB31_39
; %bb.49:                               ;   in Loop: Header=BB31_40 Depth=2
	v_add_u32_e32 v12, v24, v5
	v_add_u32_e32 v13, s42, v22
	v_cndmask_b32_e64 v12, v12, v13, s[2:3]
	v_ashrrev_i32_e32 v13, 31, v12
	v_lshl_add_u64 v[12:13], v[12:13], 3, s[28:29]
	global_load_dwordx2 v[14:15], v[12:13], off
	v_mov_b64_e32 v[16:17], 0
	s_and_saveexec_b64 s[12:13], s[4:5]
	s_cbranch_execz .LBB31_59
; %bb.50:                               ;   in Loop: Header=BB31_40 Depth=2
	v_mov_b64_e32 v[16:17], 0
	s_mov_b64 s[38:39], 0
	v_mov_b32_e32 v25, v23
	v_mov_b32_e32 v38, v36
	;; [unrolled: 1-line block ×3, first 2 shown]
	s_branch .LBB31_52
.LBB31_51:                              ;   in Loop: Header=BB31_52 Depth=3
	v_add_u32_e32 v39, 1, v39
	v_cmp_ge_i32_e32 vcc, v39, v1
	v_add_u32_e32 v38, s53, v38
	s_or_b64 s[38:39], vcc, s[38:39]
	v_add_u32_e32 v25, s53, v25
	s_andn2_b64 exec, exec, s[38:39]
	s_cbranch_execz .LBB31_58
.LBB31_52:                              ;   Parent Loop BB31_4 Depth=1
                                        ;     Parent Loop BB31_40 Depth=2
                                        ; =>    This Loop Header: Depth=3
                                        ;         Child Loop BB31_54 Depth 4
	v_mul_lo_u32 v18, v39, s53
	v_add_u32_e32 v40, s43, v18
	v_add_u32_e32 v41, v18, v37
	s_mov_b32 s44, 0
	s_mov_b32 s45, s52
	;; [unrolled: 1-line block ×3, first 2 shown]
	s_branch .LBB31_54
.LBB31_53:                              ;   in Loop: Header=BB31_54 Depth=4
	v_ashrrev_i32_e32 v21, 31, v20
	v_lshl_add_u64 v[20:21], v[20:21], 3, s[28:29]
	v_ashrrev_i32_e32 v19, 31, v18
	v_lshl_add_u64 v[18:19], v[18:19], 3, s[28:29]
	global_load_dwordx2 v[42:43], v[20:21], off
	global_load_dwordx2 v[44:45], v[18:19], off
	s_add_i32 s46, s46, 1
	s_add_i32 s44, s44, s52
	s_add_i32 s45, s45, -1
	s_cmp_eq_u32 s45, 0
	s_waitcnt vmcnt(0)
	v_fmac_f64_e32 v[16:17], v[42:43], v[44:45]
	s_cbranch_scc1 .LBB31_51
.LBB31_54:                              ;   Parent Loop BB31_4 Depth=1
                                        ;     Parent Loop BB31_40 Depth=2
                                        ;       Parent Loop BB31_52 Depth=3
                                        ; =>      This Inner Loop Header: Depth=4
	s_mov_b64 s[40:41], -1
	s_and_b64 vcc, exec, s[36:37]
                                        ; implicit-def: $vgpr20
                                        ; implicit-def: $vgpr18
	s_cbranch_vccz .LBB31_56
; %bb.55:                               ;   in Loop: Header=BB31_54 Depth=4
	v_add_u32_e32 v20, s44, v25
	v_add_u32_e32 v18, s44, v38
	s_mov_b64 s[40:41], 0
.LBB31_56:                              ;   in Loop: Header=BB31_54 Depth=4
	s_andn2_b64 vcc, exec, s[40:41]
	s_cbranch_vccnz .LBB31_53
; %bb.57:                               ;   in Loop: Header=BB31_54 Depth=4
	v_add_u32_e32 v20, s46, v40
	v_add_u32_e32 v18, s46, v41
	s_branch .LBB31_53
.LBB31_58:                              ;   in Loop: Header=BB31_40 Depth=2
	s_or_b64 exec, exec, s[38:39]
.LBB31_59:                              ;   in Loop: Header=BB31_40 Depth=2
	s_or_b64 exec, exec, s[12:13]
	s_cmp_eq_u32 s42, 0
	s_cbranch_scc1 .LBB31_38
; %bb.60:                               ;   in Loop: Header=BB31_40 Depth=2
	s_mov_b32 s38, 0
	v_mov_b32_e32 v25, v32
	s_branch .LBB31_62
.LBB31_61:                              ;   in Loop: Header=BB31_62 Depth=3
	v_ashrrev_i32_e32 v21, 31, v20
	v_lshl_add_u64 v[20:21], v[20:21], 3, s[28:29]
	v_ashrrev_i32_e32 v19, 31, v18
	v_lshl_add_u64 v[18:19], v[18:19], 3, s[28:29]
	global_load_dwordx2 v[38:39], v[20:21], off
	global_load_dwordx2 v[40:41], v[18:19], off
	s_add_i32 s38, s38, 1
	s_cmp_eq_u32 s42, s38
	v_add_u32_e32 v25, s52, v25
	s_waitcnt vmcnt(0)
	v_fmac_f64_e32 v[16:17], v[38:39], v[40:41]
	s_cbranch_scc1 .LBB31_38
.LBB31_62:                              ;   Parent Loop BB31_4 Depth=1
                                        ;     Parent Loop BB31_40 Depth=2
                                        ; =>    This Inner Loop Header: Depth=3
	s_mov_b64 s[12:13], -1
	s_and_b64 vcc, exec, s[36:37]
                                        ; implicit-def: $vgpr20
                                        ; implicit-def: $vgpr18
	s_cbranch_vccz .LBB31_64
; %bb.63:                               ;   in Loop: Header=BB31_62 Depth=3
	v_add_u32_e32 v20, s42, v25
	v_add_u32_e32 v18, v5, v25
	s_mov_b64 s[12:13], 0
.LBB31_64:                              ;   in Loop: Header=BB31_62 Depth=3
	s_andn2_b64 vcc, exec, s[12:13]
	s_cbranch_vccnz .LBB31_61
; %bb.65:                               ;   in Loop: Header=BB31_62 Depth=3
	v_add_u32_e32 v20, s38, v24
	v_add_u32_e32 v18, s38, v22
	s_branch .LBB31_61
.LBB31_66:
	s_or_b64 exec, exec, s[20:21]
	v_cmp_eq_u32_e32 vcc, 63, v0
	s_and_saveexec_b64 s[0:1], vcc
	s_cbranch_execz .LBB31_68
; %bb.67:
	v_lshl_add_u64 v[0:1], v[2:3], 2, s[18:19]
	v_mov_b32_e32 v2, 1
	buffer_wbl2 sc1
	global_store_dword v[0:1], v2, off sc1
.LBB31_68:
	s_or_b64 exec, exec, s[0:1]
                                        ; implicit-def: $vgpr0
                                        ; implicit-def: $vgpr2_vgpr3
.LBB31_69:
	s_andn2_saveexec_b64 s[0:1], s[14:15]
	s_cbranch_execz .LBB31_76
; %bb.70:
	v_cmp_eq_u32_e32 vcc, 63, v0
	s_and_saveexec_b64 s[0:1], vcc
	s_cbranch_execz .LBB31_76
; %bb.71:
	s_mov_b64 s[0:1], exec
	v_add_u32_e32 v0, s33, v2
	s_brev_b32 s2, -2
.LBB31_72:                              ; =>This Inner Loop Header: Depth=1
	s_ff1_i32_b64 s3, s[0:1]
	v_readlane_b32 s6, v0, s3
	s_lshl_b64 s[4:5], 1, s3
	s_min_i32 s2, s2, s6
	s_andn2_b64 s[0:1], s[0:1], s[4:5]
	s_cmp_lg_u64 s[0:1], 0
	s_cbranch_scc1 .LBB31_72
; %bb.73:
	v_mbcnt_lo_u32_b32 v0, exec_lo, 0
	v_mbcnt_hi_u32_b32 v0, exec_hi, v0
	v_cmp_eq_u32_e32 vcc, 0, v0
	s_and_saveexec_b64 s[0:1], vcc
	s_xor_b64 s[0:1], exec, s[0:1]
	s_cbranch_execz .LBB31_75
; %bb.74:
	v_mov_b32_e32 v0, 0
	v_mov_b32_e32 v1, s2
	global_atomic_smin v0, v1, s[22:23]
.LBB31_75:
	s_or_b64 exec, exec, s[0:1]
	v_lshl_add_u64 v[0:1], v[2:3], 2, s[18:19]
	v_mov_b32_e32 v2, 1
	buffer_wbl2 sc1
	s_waitcnt vmcnt(0)
	global_store_dword v[0:1], v2, off sc1
.LBB31_76:
	s_endpgm
	.section	.rodata,"a",@progbits
	.p2align	6, 0x0
	.amdhsa_kernel _ZN9rocsparseL23bsric0_binsearch_kernelILj64ELj64ELb0EdEEv20rocsparse_direction_iiPKiS3_PT2_S3_PiS3_S6_21rocsparse_index_base_
		.amdhsa_group_segment_fixed_size 0
		.amdhsa_private_segment_fixed_size 0
		.amdhsa_kernarg_size 76
		.amdhsa_user_sgpr_count 2
		.amdhsa_user_sgpr_dispatch_ptr 0
		.amdhsa_user_sgpr_queue_ptr 0
		.amdhsa_user_sgpr_kernarg_segment_ptr 1
		.amdhsa_user_sgpr_dispatch_id 0
		.amdhsa_user_sgpr_kernarg_preload_length 0
		.amdhsa_user_sgpr_kernarg_preload_offset 0
		.amdhsa_user_sgpr_private_segment_size 0
		.amdhsa_uses_dynamic_stack 0
		.amdhsa_enable_private_segment 0
		.amdhsa_system_sgpr_workgroup_id_x 1
		.amdhsa_system_sgpr_workgroup_id_y 0
		.amdhsa_system_sgpr_workgroup_id_z 0
		.amdhsa_system_sgpr_workgroup_info 0
		.amdhsa_system_vgpr_workitem_id 0
		.amdhsa_next_free_vgpr 52
		.amdhsa_next_free_sgpr 57
		.amdhsa_accum_offset 52
		.amdhsa_reserve_vcc 1
		.amdhsa_float_round_mode_32 0
		.amdhsa_float_round_mode_16_64 0
		.amdhsa_float_denorm_mode_32 3
		.amdhsa_float_denorm_mode_16_64 3
		.amdhsa_dx10_clamp 1
		.amdhsa_ieee_mode 1
		.amdhsa_fp16_overflow 0
		.amdhsa_tg_split 0
		.amdhsa_exception_fp_ieee_invalid_op 0
		.amdhsa_exception_fp_denorm_src 0
		.amdhsa_exception_fp_ieee_div_zero 0
		.amdhsa_exception_fp_ieee_overflow 0
		.amdhsa_exception_fp_ieee_underflow 0
		.amdhsa_exception_fp_ieee_inexact 0
		.amdhsa_exception_int_div_zero 0
	.end_amdhsa_kernel
	.section	.text._ZN9rocsparseL23bsric0_binsearch_kernelILj64ELj64ELb0EdEEv20rocsparse_direction_iiPKiS3_PT2_S3_PiS3_S6_21rocsparse_index_base_,"axG",@progbits,_ZN9rocsparseL23bsric0_binsearch_kernelILj64ELj64ELb0EdEEv20rocsparse_direction_iiPKiS3_PT2_S3_PiS3_S6_21rocsparse_index_base_,comdat
.Lfunc_end31:
	.size	_ZN9rocsparseL23bsric0_binsearch_kernelILj64ELj64ELb0EdEEv20rocsparse_direction_iiPKiS3_PT2_S3_PiS3_S6_21rocsparse_index_base_, .Lfunc_end31-_ZN9rocsparseL23bsric0_binsearch_kernelILj64ELj64ELb0EdEEv20rocsparse_direction_iiPKiS3_PT2_S3_PiS3_S6_21rocsparse_index_base_
                                        ; -- End function
	.set _ZN9rocsparseL23bsric0_binsearch_kernelILj64ELj64ELb0EdEEv20rocsparse_direction_iiPKiS3_PT2_S3_PiS3_S6_21rocsparse_index_base_.num_vgpr, 52
	.set _ZN9rocsparseL23bsric0_binsearch_kernelILj64ELj64ELb0EdEEv20rocsparse_direction_iiPKiS3_PT2_S3_PiS3_S6_21rocsparse_index_base_.num_agpr, 0
	.set _ZN9rocsparseL23bsric0_binsearch_kernelILj64ELj64ELb0EdEEv20rocsparse_direction_iiPKiS3_PT2_S3_PiS3_S6_21rocsparse_index_base_.numbered_sgpr, 57
	.set _ZN9rocsparseL23bsric0_binsearch_kernelILj64ELj64ELb0EdEEv20rocsparse_direction_iiPKiS3_PT2_S3_PiS3_S6_21rocsparse_index_base_.num_named_barrier, 0
	.set _ZN9rocsparseL23bsric0_binsearch_kernelILj64ELj64ELb0EdEEv20rocsparse_direction_iiPKiS3_PT2_S3_PiS3_S6_21rocsparse_index_base_.private_seg_size, 0
	.set _ZN9rocsparseL23bsric0_binsearch_kernelILj64ELj64ELb0EdEEv20rocsparse_direction_iiPKiS3_PT2_S3_PiS3_S6_21rocsparse_index_base_.uses_vcc, 1
	.set _ZN9rocsparseL23bsric0_binsearch_kernelILj64ELj64ELb0EdEEv20rocsparse_direction_iiPKiS3_PT2_S3_PiS3_S6_21rocsparse_index_base_.uses_flat_scratch, 0
	.set _ZN9rocsparseL23bsric0_binsearch_kernelILj64ELj64ELb0EdEEv20rocsparse_direction_iiPKiS3_PT2_S3_PiS3_S6_21rocsparse_index_base_.has_dyn_sized_stack, 0
	.set _ZN9rocsparseL23bsric0_binsearch_kernelILj64ELj64ELb0EdEEv20rocsparse_direction_iiPKiS3_PT2_S3_PiS3_S6_21rocsparse_index_base_.has_recursion, 0
	.set _ZN9rocsparseL23bsric0_binsearch_kernelILj64ELj64ELb0EdEEv20rocsparse_direction_iiPKiS3_PT2_S3_PiS3_S6_21rocsparse_index_base_.has_indirect_call, 0
	.section	.AMDGPU.csdata,"",@progbits
; Kernel info:
; codeLenInByte = 2516
; TotalNumSgprs: 63
; NumVgprs: 52
; NumAgprs: 0
; TotalNumVgprs: 52
; ScratchSize: 0
; MemoryBound: 0
; FloatMode: 240
; IeeeMode: 1
; LDSByteSize: 0 bytes/workgroup (compile time only)
; SGPRBlocks: 7
; VGPRBlocks: 6
; NumSGPRsForWavesPerEU: 63
; NumVGPRsForWavesPerEU: 52
; AccumOffset: 52
; Occupancy: 8
; WaveLimiterHint : 1
; COMPUTE_PGM_RSRC2:SCRATCH_EN: 0
; COMPUTE_PGM_RSRC2:USER_SGPR: 2
; COMPUTE_PGM_RSRC2:TRAP_HANDLER: 0
; COMPUTE_PGM_RSRC2:TGID_X_EN: 1
; COMPUTE_PGM_RSRC2:TGID_Y_EN: 0
; COMPUTE_PGM_RSRC2:TGID_Z_EN: 0
; COMPUTE_PGM_RSRC2:TIDIG_COMP_CNT: 0
; COMPUTE_PGM_RSRC3_GFX90A:ACCUM_OFFSET: 12
; COMPUTE_PGM_RSRC3_GFX90A:TG_SPLIT: 0
	.section	.text._ZN9rocsparseL17bsric0_2_8_kernelILi64ELi64ELi8EdEEv20rocsparse_direction_iiPKiS3_PT2_S3_PiS3_S6_21rocsparse_index_base_,"axG",@progbits,_ZN9rocsparseL17bsric0_2_8_kernelILi64ELi64ELi8EdEEv20rocsparse_direction_iiPKiS3_PT2_S3_PiS3_S6_21rocsparse_index_base_,comdat
	.globl	_ZN9rocsparseL17bsric0_2_8_kernelILi64ELi64ELi8EdEEv20rocsparse_direction_iiPKiS3_PT2_S3_PiS3_S6_21rocsparse_index_base_ ; -- Begin function _ZN9rocsparseL17bsric0_2_8_kernelILi64ELi64ELi8EdEEv20rocsparse_direction_iiPKiS3_PT2_S3_PiS3_S6_21rocsparse_index_base_
	.p2align	8
	.type	_ZN9rocsparseL17bsric0_2_8_kernelILi64ELi64ELi8EdEEv20rocsparse_direction_iiPKiS3_PT2_S3_PiS3_S6_21rocsparse_index_base_,@function
_ZN9rocsparseL17bsric0_2_8_kernelILi64ELi64ELi8EdEEv20rocsparse_direction_iiPKiS3_PT2_S3_PiS3_S6_21rocsparse_index_base_: ; @_ZN9rocsparseL17bsric0_2_8_kernelILi64ELi64ELi8EdEEv20rocsparse_direction_iiPKiS3_PT2_S3_PiS3_S6_21rocsparse_index_base_
; %bb.0:
	s_load_dwordx8 s[8:15], s[0:1], 0x28
	s_mov_b32 s3, 0
	s_lshl_b64 s[2:3], s[2:3], 2
	v_and_b32_e32 v14, 0x3ff, v0
	v_bfe_u32 v15, v0, 10, 10
	s_waitcnt lgkmcnt(0)
	s_add_u32 s2, s12, s2
	s_addc_u32 s3, s13, s3
	s_load_dword s12, s[2:3], 0x0
	s_waitcnt lgkmcnt(0)
	s_ashr_i32 s13, s12, 31
	s_lshl_b64 s[6:7], s[12:13], 2
	s_add_u32 s2, s8, s6
	s_addc_u32 s3, s9, s7
	s_load_dword s33, s[2:3], 0x0
	s_load_dword s13, s[0:1], 0x48
	s_waitcnt lgkmcnt(0)
	s_cmp_lg_u32 s33, -1
	s_cbranch_scc0 .LBB32_89
; %bb.1:
	s_load_dwordx4 s[16:19], s[0:1], 0x10
	s_load_dwordx2 s[20:21], s[0:1], 0x20
	v_lshlrev_b32_e32 v16, 3, v15
	v_add_u32_e32 v1, v16, v14
	s_waitcnt lgkmcnt(0)
	s_add_u32 s2, s16, s6
	s_addc_u32 s3, s17, s7
	s_load_dword s26, s[2:3], 0x0
	s_waitcnt lgkmcnt(0)
	s_sub_i32 s41, s26, s13
	v_add_u32_e32 v0, s41, v1
	v_cmp_ge_i32_e32 vcc, s33, v0
	s_and_saveexec_b64 s[2:3], vcc
	s_cbranch_execz .LBB32_14
; %bb.2:
	v_add_u32_e32 v1, s26, v1
	v_subrev_u32_e32 v1, s13, v1
	v_add_u32_e32 v1, 64, v1
	s_add_i32 s4, s33, 1
	v_max_i32_e32 v1, s4, v1
	v_not_b32_e32 v2, v14
	v_add3_u32 v1, s13, v1, v2
	v_add_u32_e32 v2, s26, v16
	v_sub_u32_e32 v1, v1, v2
	v_cmp_lt_u32_e32 vcc, 63, v1
	s_mov_b64 s[22:23], -1
	s_and_saveexec_b64 s[4:5], vcc
	s_cbranch_execz .LBB32_11
; %bb.3:
	v_lshrrev_b32_e32 v4, 6, v1
	v_add_u32_e32 v2, -1, v4
	v_add_u32_e32 v1, 64, v0
	v_lshrrev_b32_e32 v3, 1, v2
	v_add_u32_e32 v5, 1, v3
	v_cmp_lt_u32_e32 vcc, 13, v2
	v_mov_b64_e32 v[2:3], v[0:1]
	s_and_saveexec_b64 s[22:23], vcc
	s_cbranch_execz .LBB32_7
; %bb.4:
	v_and_b32_e32 v6, -8, v5
	s_mov_b64 s[24:25], 0
	v_mov_b64_e32 v[2:3], v[0:1]
.LBB32_5:                               ; =>This Inner Loop Header: Depth=1
	v_ashrrev_i32_e32 v11, 31, v2
	v_mov_b32_e32 v10, v2
	v_ashrrev_i32_e32 v9, 31, v3
	v_mov_b32_e32 v8, v3
	v_add_u32_e32 v12, 0x80, v2
	v_add_u32_e32 v18, 0x80, v3
	v_lshl_add_u64 v[10:11], v[10:11], 2, s[18:19]
	v_add_u32_e32 v20, 0x100, v2
	v_add_u32_e32 v22, 0x100, v3
	;; [unrolled: 1-line block ×12, first 2 shown]
	v_lshl_add_u64 v[8:9], v[8:9], 2, s[18:19]
	v_ashrrev_i32_e32 v19, 31, v18
	v_ashrrev_i32_e32 v13, 31, v12
	global_load_dword v1, v[10:11], off
	global_load_dword v7, v[8:9], off
	v_ashrrev_i32_e32 v23, 31, v22
	v_ashrrev_i32_e32 v21, 31, v20
	;; [unrolled: 1-line block ×12, first 2 shown]
	v_lshl_add_u64 v[8:9], v[12:13], 2, s[18:19]
	v_lshl_add_u64 v[10:11], v[18:19], 2, s[18:19]
	;; [unrolled: 1-line block ×13, first 2 shown]
	global_load_dword v13, v[10:11], off
	v_lshl_add_u64 v[10:11], v[42:43], 2, s[18:19]
	global_load_dword v17, v[8:9], off
	global_load_dword v19, v[46:47], off
	;; [unrolled: 1-line block ×13, first 2 shown]
	v_subrev_u32_e32 v9, s41, v2
	v_add_u32_e32 v6, -8, v6
	v_subrev_u32_e32 v8, s41, v3
	v_lshlrev_b32_e32 v9, 2, v9
	v_subrev_u32_e32 v11, s41, v12
	v_cmp_eq_u32_e32 vcc, 0, v6
	v_add_u32_e32 v3, 0x400, v3
	v_add_u32_e32 v2, 0x400, v2
	v_lshlrev_b32_e32 v8, 2, v8
	v_subrev_u32_e32 v10, s41, v18
	v_subrev_u32_e32 v12, s41, v22
	;; [unrolled: 1-line block ×13, first 2 shown]
	v_lshlrev_b32_e32 v11, 2, v11
	s_or_b64 s[24:25], vcc, s[24:25]
	v_lshlrev_b32_e32 v10, 2, v10
	v_lshlrev_b32_e32 v18, 2, v18
	;; [unrolled: 1-line block ×13, first 2 shown]
	s_waitcnt vmcnt(15)
	v_subrev_u32_e32 v1, s13, v1
	s_waitcnt vmcnt(14)
	v_subrev_u32_e32 v7, s13, v7
	ds_write_b32 v9, v1 offset:2816
	ds_write_b32 v8, v7 offset:2816
	s_waitcnt vmcnt(12)
	v_subrev_u32_e32 v7, s13, v17
	s_waitcnt vmcnt(11)
	v_subrev_u32_e32 v8, s13, v19
	;; [unrolled: 2-line block ×8, first 2 shown]
	v_subrev_u32_e32 v1, s13, v13
	v_subrev_u32_e32 v13, s13, v23
	;; [unrolled: 1-line block ×3, first 2 shown]
	s_waitcnt vmcnt(2)
	v_subrev_u32_e32 v29, s13, v37
	s_waitcnt vmcnt(1)
	v_subrev_u32_e32 v31, s13, v39
	;; [unrolled: 2-line block ×3, first 2 shown]
	ds_write_b32 v11, v7 offset:2816
	ds_write_b32 v10, v1 offset:2816
	;; [unrolled: 1-line block ×14, first 2 shown]
	s_andn2_b64 exec, exec, s[24:25]
	s_cbranch_execnz .LBB32_5
; %bb.6:
	s_or_b64 exec, exec, s[24:25]
.LBB32_7:
	s_or_b64 exec, exec, s[22:23]
	v_and_b32_e32 v1, 7, v5
	v_cmp_ne_u32_e32 vcc, 0, v1
	s_and_saveexec_b64 s[22:23], vcc
	s_cbranch_execz .LBB32_10
; %bb.8:
	s_mov_b64 s[24:25], 0
.LBB32_9:                               ; =>This Inner Loop Header: Depth=1
	v_ashrrev_i32_e32 v7, 31, v3
	v_mov_b32_e32 v6, v3
	v_ashrrev_i32_e32 v9, 31, v2
	v_mov_b32_e32 v8, v2
	v_lshl_add_u64 v[6:7], v[6:7], 2, s[18:19]
	v_lshl_add_u64 v[8:9], v[8:9], 2, s[18:19]
	global_load_dword v5, v[6:7], off
	global_load_dword v10, v[8:9], off
	v_add_u32_e32 v1, -1, v1
	v_subrev_u32_e32 v7, s41, v2
	v_cmp_eq_u32_e32 vcc, 0, v1
	v_subrev_u32_e32 v6, s41, v3
	v_add_u32_e32 v3, 0x80, v3
	v_add_u32_e32 v2, 0x80, v2
	v_lshlrev_b32_e32 v7, 2, v7
	s_or_b64 s[24:25], vcc, s[24:25]
	v_lshlrev_b32_e32 v6, 2, v6
	s_waitcnt vmcnt(1)
	v_subrev_u32_e32 v5, s13, v5
	s_waitcnt vmcnt(0)
	v_subrev_u32_e32 v8, s13, v10
	ds_write_b32 v7, v8 offset:2816
	ds_write_b32 v6, v5 offset:2816
	s_andn2_b64 exec, exec, s[24:25]
	s_cbranch_execnz .LBB32_9
.LBB32_10:
	s_or_b64 exec, exec, s[22:23]
	v_add_u32_e32 v1, 1, v4
	v_and_b32_e32 v2, 0x7fffffe, v1
	v_cmp_ne_u32_e32 vcc, v1, v2
	v_lshl_add_u32 v0, v2, 6, v0
	s_orn2_b64 s[22:23], vcc, exec
.LBB32_11:
	s_or_b64 exec, exec, s[4:5]
	s_and_b64 exec, exec, s[22:23]
	s_cbranch_execz .LBB32_14
; %bb.12:
	v_add_u32_e32 v1, s13, v0
	v_subrev_u32_e32 v1, s26, v1
	v_mov_b32_e32 v2, 0xb00
	v_lshl_add_u32 v4, v1, 2, v2
	v_ashrrev_i32_e32 v1, 31, v0
	v_lshl_add_u64 v[2:3], v[0:1], 2, s[18:19]
	s_mov_b64 s[4:5], 0
	s_mov_b64 s[22:23], 0x100
.LBB32_13:                              ; =>This Inner Loop Header: Depth=1
	global_load_dword v1, v[2:3], off
	v_add_u32_e32 v0, 64, v0
	v_cmp_lt_i32_e32 vcc, s33, v0
	v_lshl_add_u64 v[2:3], v[2:3], 0, s[22:23]
	s_or_b64 s[4:5], vcc, s[4:5]
	s_waitcnt vmcnt(0)
	v_subrev_u32_e32 v1, s13, v1
	ds_write_b32 v4, v1
	v_add_u32_e32 v4, 0x100, v4
	s_andn2_b64 exec, exec, s[4:5]
	s_cbranch_execnz .LBB32_13
.LBB32_14:
	s_or_b64 exec, exec, s[2:3]
	s_load_dword s42, s[0:1], 0x0
	s_load_dword s40, s[0:1], 0x8
	s_movk_i32 s26, 0x48
	v_mov_b32_e32 v0, 0x6c0
	v_mad_u32_u24 v18, v15, s26, v0
	v_mov_b32_e32 v0, 0
	v_lshl_add_u32 v17, v14, 3, v18
	v_mov_b32_e32 v1, v0
	s_cmp_ge_i32 s41, s33
	ds_write_b64 v17, v[0:1]
	s_waitcnt lgkmcnt(0)
	s_cbranch_scc1 .LBB32_67
; %bb.15:
	s_cmp_lg_u32 s42, 0
	s_cselect_b64 s[22:23], -1, 0
	s_cmp_eq_u32 s42, 0
	v_cmp_gt_i32_e64 s[0:1], s40, v14
	v_cmp_gt_i32_e64 s[2:3], s40, v15
	v_mov_b32_e32 v2, 0x480
	v_mov_b32_e32 v5, 0x240
	s_cselect_b64 vcc, -1, 0
	s_and_b64 s[24:25], s[0:1], s[2:3]
	v_mad_u32_u24 v1, v15, s26, v2
	v_lshlrev_b32_e32 v4, 3, v14
	v_mad_u32_u24 v22, v15, s26, v5
	v_add_u32_e32 v3, v1, v4
	v_mad_u32_u24 v19, v15, s26, v4
	s_cmp_gt_i32 s40, 0
	v_add_u32_e32 v23, v22, v4
	v_or_b32_e32 v4, v14, v15
	s_mul_i32 s43, s40, s40
	v_mul_lo_u32 v20, s40, v14
	v_mul_lo_u32 v21, s40, v15
	v_cmp_ne_u32_e64 s[4:5], 0, v4
	v_mad_u32_u24 v24, v14, s26, v2
	v_cndmask_b32_e32 v2, v15, v14, vcc
	v_cndmask_b32_e32 v25, v14, v15, vcc
	s_cselect_b64 s[26:27], -1, 0
	v_mov_b32_e32 v26, 0x3ff00000
	s_mov_b32 s28, s41
	s_branch .LBB32_17
.LBB32_16:                              ;   in Loop: Header=BB32_17 Depth=1
	s_or_b64 exec, exec, s[30:31]
	s_add_i32 s28, s28, 1
	s_cmp_ge_i32 s28, s33
	s_cselect_b64 s[30:31], -1, 0
	buffer_wbl2 sc1
	s_waitcnt vmcnt(0)
	buffer_inv sc1
	s_and_b64 vcc, exec, s[30:31]
	s_cbranch_vccnz .LBB32_67
.LBB32_17:                              ; =>This Loop Header: Depth=1
                                        ;     Child Loop BB32_22 Depth 2
                                        ;     Child Loop BB32_33 Depth 2
	;; [unrolled: 1-line block ×4, first 2 shown]
                                        ;       Child Loop BB32_63 Depth 3
	s_ashr_i32 s29, s28, 31
	s_lshl_b64 s[30:31], s[28:29], 2
	s_add_u32 s30, s18, s30
	s_addc_u32 s31, s19, s31
	s_load_dword s29, s[30:31], 0x0
	s_waitcnt lgkmcnt(0)
	s_sub_i32 s34, s29, s13
	s_ashr_i32 s35, s34, 31
	s_lshl_b64 s[30:31], s[34:35], 2
	s_add_u32 s36, s8, s30
	s_addc_u32 s37, s9, s31
	s_load_dword s35, s[36:37], 0x0
	s_waitcnt lgkmcnt(0)
	s_cmp_eq_u32 s35, -1
	s_cbranch_scc1 .LBB32_66
; %bb.18:                               ;   in Loop: Header=BB32_17 Depth=1
	s_add_u32 s36, s16, s30
	s_mul_i32 s38, s28, s40
	s_addc_u32 s37, s17, s31
	v_mov_b64_e32 v[4:5], 0
	v_add_u32_e32 v27, s38, v25
	s_and_saveexec_b64 s[38:39], s[24:25]
	s_cbranch_execz .LBB32_20
; %bb.19:                               ;   in Loop: Header=BB32_17 Depth=1
	v_mad_u64_u32 v[4:5], s[44:45], v27, s40, v[2:3]
	v_ashrrev_i32_e32 v5, 31, v4
	v_lshl_add_u64 v[4:5], v[4:5], 3, s[20:21]
	global_load_dwordx2 v[4:5], v[4:5], off
.LBB32_20:                              ;   in Loop: Header=BB32_17 Depth=1
	s_or_b64 exec, exec, s[38:39]
	s_load_dword s36, s[36:37], 0x0
	ds_read_b32 v6, v0 offset:2816
	s_mov_b32 s37, 0
	s_waitcnt vmcnt(0)
	ds_write_b64 v3, v[4:5]
	s_waitcnt lgkmcnt(0)
	s_sub_i32 s36, s36, s13
	s_cmp_le_i32 s36, s35
	v_cmp_ge_i32_e32 vcc, s34, v6
	s_cselect_b64 s[38:39], -1, 0
	s_and_b64 s[38:39], s[38:39], vcc
	s_andn2_b64 vcc, exec, s[38:39]
	s_cbranch_vccnz .LBB32_32
; %bb.21:                               ;   in Loop: Header=BB32_17 Depth=1
	s_mov_b32 s44, 0
	s_mov_b32 s45, 0
.LBB32_22:                              ;   Parent Loop BB32_17 Depth=1
                                        ; =>  This Inner Loop Header: Depth=2
	s_ashr_i32 s37, s36, 31
	s_lshl_b64 s[38:39], s[36:37], 2
	s_add_u32 s38, s18, s38
	s_addc_u32 s39, s19, s39
	s_load_dword s37, s[38:39], 0x0
	s_lshl_b32 s38, s45, 2
	v_mov_b32_e32 v4, s38
	ds_read_b32 v4, v4 offset:2816
	s_mov_b64 s[38:39], -1
	s_waitcnt lgkmcnt(0)
	s_sub_i32 s49, s37, s13
                                        ; implicit-def: $sgpr37
                                        ; implicit-def: $sgpr48
                                        ; implicit-def: $sgpr47
	v_cmp_ge_i32_e32 vcc, s49, v4
	v_readfirstlane_b32 s46, v4
	s_cbranch_vccz .LBB32_28
; %bb.23:                               ;   in Loop: Header=BB32_22 Depth=2
	s_cmp_le_i32 s49, s46
                                        ; implicit-def: $sgpr37
                                        ; implicit-def: $sgpr48
                                        ; implicit-def: $sgpr47
	s_cbranch_scc0 .LBB32_25
; %bb.24:                               ;   in Loop: Header=BB32_22 Depth=2
	s_add_i32 s37, s45, s41
	s_mul_i32 s37, s37, s43
	s_lshl_b32 s38, s44, 2
	v_mov_b32_e32 v5, s37
	s_mul_i32 s37, s36, s43
	v_mov_b32_e32 v4, s38
	v_mov_b32_e32 v6, s37
	ds_write2st64_b32 v4, v6, v5 offset0:9 offset1:10
	s_add_i32 s47, s45, 1
	s_add_i32 s48, s36, 1
	;; [unrolled: 1-line block ×3, first 2 shown]
	s_mov_b64 s[38:39], 0
.LBB32_25:                              ;   in Loop: Header=BB32_22 Depth=2
	s_andn2_b64 vcc, exec, s[38:39]
	s_cbranch_vccnz .LBB32_27
; %bb.26:                               ;   in Loop: Header=BB32_22 Depth=2
	s_add_i32 s47, s45, 1
	s_mov_b32 s37, s44
	s_mov_b32 s48, s36
.LBB32_27:                              ;   in Loop: Header=BB32_22 Depth=2
	s_mov_b64 s[38:39], 0
.LBB32_28:                              ;   in Loop: Header=BB32_22 Depth=2
	s_andn2_b64 vcc, exec, s[38:39]
	s_cbranch_vccnz .LBB32_30
; %bb.29:                               ;   in Loop: Header=BB32_22 Depth=2
	s_add_i32 s48, s36, 1
	s_mov_b32 s47, s45
	s_mov_b32 s37, s44
.LBB32_30:                              ;   in Loop: Header=BB32_22 Depth=2
	s_cmp_le_i32 s48, s35
	s_cselect_b64 s[38:39], -1, 0
	s_cmp_le_i32 s46, s34
	s_cselect_b64 s[44:45], -1, 0
	s_and_b64 s[38:39], s[38:39], s[44:45]
	s_and_b64 vcc, exec, s[38:39]
	s_cbranch_vccz .LBB32_32
; %bb.31:                               ;   in Loop: Header=BB32_22 Depth=2
	s_mov_b32 s44, s37
	s_mov_b32 s36, s48
	;; [unrolled: 1-line block ×3, first 2 shown]
	s_branch .LBB32_22
.LBB32_32:                              ;   in Loop: Header=BB32_17 Depth=1
	s_add_u32 s30, s10, s30
	s_addc_u32 s31, s11, s31
	s_waitcnt lgkmcnt(0)
.LBB32_33:                              ;   Parent Loop BB32_17 Depth=1
                                        ; =>  This Inner Loop Header: Depth=2
	global_load_dword v4, v0, s[30:31] sc1
	s_waitcnt vmcnt(0)
	v_cmp_eq_u32_e32 vcc, 0, v4
	s_cbranch_vccnz .LBB32_33
; %bb.34:                               ;   in Loop: Header=BB32_17 Depth=1
	v_mov_b64_e32 v[10:11], 0
	v_mov_b64_e32 v[4:5], 0
	buffer_inv sc1
	s_and_saveexec_b64 s[30:31], s[24:25]
	s_cbranch_execz .LBB32_36
; %bb.35:                               ;   in Loop: Header=BB32_17 Depth=1
	s_mul_i32 s35, s35, s40
	v_add_u32_e32 v4, s35, v25
	v_mad_u64_u32 v[4:5], s[34:35], v4, s40, v[2:3]
	v_ashrrev_i32_e32 v5, 31, v4
	v_lshl_add_u64 v[4:5], v[4:5], 3, s[20:21]
	global_load_dwordx2 v[4:5], v[4:5], off
.LBB32_36:                              ;   in Loop: Header=BB32_17 Depth=1
	s_or_b64 exec, exec, s[30:31]
	s_cmp_lt_i32 s37, 2
	s_waitcnt vmcnt(0)
	ds_write_b64 v19, v[4:5]
	s_waitcnt lgkmcnt(0)
	s_cbranch_scc1 .LBB32_55
; %bb.37:                               ;   in Loop: Header=BB32_17 Depth=1
	s_add_i32 s34, s37, -2
	s_mov_b32 s35, 0
	v_mov_b64_e32 v[4:5], 0
	s_andn2_b64 vcc, exec, s[26:27]
	s_cbranch_vccz .LBB32_40
	s_branch .LBB32_39
.LBB32_38:                              ;   in Loop: Header=BB32_17 Depth=1
	v_mov_b64_e32 v[4:5], v[10:11]
	s_mov_b32 s35, s30
	s_andn2_b64 vcc, exec, s[26:27]
	s_cbranch_vccz .LBB32_40
.LBB32_39:                              ;   in Loop: Header=BB32_17 Depth=1
	v_mov_b64_e32 v[10:11], v[4:5]
	s_branch .LBB32_54
.LBB32_40:                              ;   in Loop: Header=BB32_17 Depth=1
	s_lshl_b32 s30, s35, 2
	v_mov_b32_e32 v6, s30
	ds_read2st64_b32 v[8:9], v6 offset0:9 offset1:10
	s_mov_b32 s36, 0
	s_waitcnt lgkmcnt(0)
	v_add_u32_e32 v28, v8, v20
	v_add_u32_e32 v29, v9, v21
	;; [unrolled: 1-line block ×4, first 2 shown]
	s_mov_b64 s[30:31], -1
	s_and_b64 vcc, exec, s[22:23]
                                        ; implicit-def: $vgpr10_vgpr11
	s_cbranch_vccz .LBB32_47
	s_branch .LBB32_42
.LBB32_41:                              ;   in Loop: Header=BB32_47 Depth=2
	v_mov_b64_e32 v[4:5], v[10:11]
	s_mov_b64 s[30:31], -1
	s_and_b64 vcc, exec, s[22:23]
                                        ; implicit-def: $vgpr10_vgpr11
	s_cbranch_vccz .LBB32_47
.LBB32_42:                              ;   in Loop: Header=BB32_17 Depth=1
	v_mov_b64_e32 v[10:11], 0
	v_mov_b64_e32 v[12:13], 0
	s_and_saveexec_b64 s[30:31], s[0:1]
	s_cbranch_execz .LBB32_44
; %bb.43:                               ;   in Loop: Header=BB32_17 Depth=1
	v_ashrrev_i32_e32 v9, 31, v8
	v_lshl_add_u64 v[12:13], v[8:9], 3, s[20:21]
	global_load_dwordx2 v[12:13], v[12:13], off
.LBB32_44:                              ;   in Loop: Header=BB32_17 Depth=1
	s_or_b64 exec, exec, s[30:31]
	s_and_saveexec_b64 s[30:31], s[2:3]
	s_cbranch_execz .LBB32_46
; %bb.45:                               ;   in Loop: Header=BB32_17 Depth=1
	v_ashrrev_i32_e32 v7, 31, v6
	v_lshl_add_u64 v[10:11], v[6:7], 3, s[20:21]
	global_load_dwordx2 v[10:11], v[10:11], off
.LBB32_46:                              ;   in Loop: Header=BB32_17 Depth=1
	s_or_b64 exec, exec, s[30:31]
	s_waitcnt vmcnt(0)
	v_fma_f64 v[10:11], v[12:13], v[10:11], v[4:5]
	s_mov_b64 s[30:31], 0
.LBB32_47:                              ;   Parent Loop BB32_17 Depth=1
                                        ; =>  This Inner Loop Header: Depth=2
	s_and_b64 vcc, exec, s[30:31]
	s_cbranch_vccz .LBB32_53
; %bb.48:                               ;   in Loop: Header=BB32_47 Depth=2
	v_mov_b64_e32 v[10:11], 0
	v_mov_b64_e32 v[12:13], 0
	s_and_saveexec_b64 s[30:31], s[0:1]
	s_cbranch_execz .LBB32_50
; %bb.49:                               ;   in Loop: Header=BB32_47 Depth=2
	v_add_u32_e32 v12, s36, v28
	v_ashrrev_i32_e32 v13, 31, v12
	v_lshl_add_u64 v[12:13], v[12:13], 3, s[20:21]
	global_load_dwordx2 v[12:13], v[12:13], off
.LBB32_50:                              ;   in Loop: Header=BB32_47 Depth=2
	s_or_b64 exec, exec, s[30:31]
	s_and_saveexec_b64 s[30:31], s[2:3]
	s_cbranch_execz .LBB32_52
; %bb.51:                               ;   in Loop: Header=BB32_47 Depth=2
	v_add_u32_e32 v10, s36, v29
	v_ashrrev_i32_e32 v11, 31, v10
	v_lshl_add_u64 v[10:11], v[10:11], 3, s[20:21]
	global_load_dwordx2 v[10:11], v[10:11], off
.LBB32_52:                              ;   in Loop: Header=BB32_47 Depth=2
	s_or_b64 exec, exec, s[30:31]
	s_waitcnt vmcnt(0)
	v_fmac_f64_e32 v[4:5], v[12:13], v[10:11]
	v_mov_b64_e32 v[10:11], v[4:5]
.LBB32_53:                              ;   in Loop: Header=BB32_47 Depth=2
	s_add_i32 s36, s36, 1
	v_add_u32_e32 v6, s40, v6
	s_cmp_eq_u32 s40, s36
	v_add_u32_e32 v8, s40, v8
	s_cbranch_scc0 .LBB32_41
.LBB32_54:                              ;   in Loop: Header=BB32_17 Depth=1
	s_add_i32 s30, s35, 1
	s_cmp_eq_u32 s35, s34
	s_cbranch_scc0 .LBB32_38
.LBB32_55:                              ;   in Loop: Header=BB32_17 Depth=1
	s_andn2_b64 vcc, exec, s[26:27]
	ds_write_b64 v23, v[10:11]
	s_waitcnt lgkmcnt(0)
	s_cbranch_vccnz .LBB32_64
; %bb.56:                               ;   in Loop: Header=BB32_17 Depth=1
	s_mov_b32 s36, 0
	v_mov_b32_e32 v12, s29
	s_mov_b32 s29, 0
	s_branch .LBB32_58
.LBB32_57:                              ;   in Loop: Header=BB32_58 Depth=2
	s_waitcnt lgkmcnt(0)
	v_add_f64 v[6:7], v[6:7], -v[8:9]
	v_div_scale_f64 v[8:9], s[30:31], v[4:5], v[4:5], v[6:7]
	v_rcp_f64_e32 v[28:29], v[8:9]
	v_div_scale_f64 v[30:31], vcc, v[6:7], v[4:5], v[6:7]
	s_addk_i32 s36, 0x48
	v_fma_f64 v[32:33], -v[8:9], v[28:29], 1.0
	v_fmac_f64_e32 v[28:29], v[28:29], v[32:33]
	v_fma_f64 v[32:33], -v[8:9], v[28:29], 1.0
	v_fmac_f64_e32 v[28:29], v[28:29], v[32:33]
	v_mul_f64 v[32:33], v[30:31], v[28:29]
	v_fma_f64 v[8:9], -v[8:9], v[32:33], v[30:31]
	v_div_fmas_f64 v[8:9], v[8:9], v[28:29], v[32:33]
	v_div_fixup_f64 v[4:5], v[8:9], v[4:5], v[6:7]
	v_lshl_add_u32 v6, s29, 3, v24
	ds_write_b64 v10, v[4:5]
	s_waitcnt lgkmcnt(0)
	ds_read_b64 v[6:7], v6
	ds_read_b64 v[8:9], v17
	s_add_i32 s29, s29, 1
	s_cmp_eq_u32 s29, s40
	s_waitcnt lgkmcnt(0)
	v_fmac_f64_e32 v[8:9], v[4:5], v[6:7]
	ds_write_b64 v17, v[8:9]
	s_waitcnt lgkmcnt(0)
	s_cbranch_scc1 .LBB32_64
.LBB32_58:                              ;   Parent Loop BB32_17 Depth=1
                                        ; =>  This Loop Header: Depth=2
                                        ;       Child Loop BB32_63 Depth 3
	s_lshl_b32 s30, s29, 3
	s_mul_i32 s31, s29, 0x48
	s_add_i32 s31, s31, s30
	v_mov_b32_e32 v4, s31
	ds_read_b64 v[4:5], v4
	v_add_u32_e32 v10, s30, v1
	ds_read_b64 v[6:7], v10
	s_waitcnt lgkmcnt(1)
	v_cmp_neq_f64_e32 vcc, 0, v[4:5]
	s_nop 1
	v_cndmask_b32_e32 v5, v26, v5, vcc
	s_nor_b64 s[34:35], vcc, s[4:5]
	v_cndmask_b32_e32 v4, 0, v4, vcc
	s_and_saveexec_b64 s[30:31], s[34:35]
	s_cbranch_execz .LBB32_62
; %bb.59:                               ;   in Loop: Header=BB32_58 Depth=2
	v_mbcnt_lo_u32_b32 v4, exec_lo, 0
	v_mbcnt_hi_u32_b32 v4, exec_hi, v4
	v_cmp_eq_u32_e32 vcc, 0, v4
	s_and_saveexec_b64 s[34:35], vcc
	s_cbranch_execz .LBB32_61
; %bb.60:                               ;   in Loop: Header=BB32_58 Depth=2
	global_atomic_smin v0, v12, s[14:15]
.LBB32_61:                              ;   in Loop: Header=BB32_58 Depth=2
	s_or_b64 exec, exec, s[34:35]
	v_mov_b64_e32 v[4:5], 1.0
.LBB32_62:                              ;   in Loop: Header=BB32_58 Depth=2
	s_or_b64 exec, exec, s[30:31]
	v_lshl_add_u32 v8, s29, 3, v22
	ds_read_b64 v[8:9], v8
	s_cmp_eq_u32 s29, 0
	v_mov_b32_e32 v11, v1
	s_mov_b32 s30, s36
	s_mov_b32 s31, s29
	s_cbranch_scc1 .LBB32_57
.LBB32_63:                              ;   Parent Loop BB32_17 Depth=1
                                        ;     Parent Loop BB32_58 Depth=2
                                        ; =>    This Inner Loop Header: Depth=3
	v_mov_b32_e32 v13, s30
	ds_read_b64 v[28:29], v11
	ds_read_b64 v[30:31], v13
	s_add_i32 s31, s31, -1
	s_add_i32 s30, s30, 8
	v_add_u32_e32 v11, 8, v11
	s_cmp_eq_u32 s31, 0
	s_waitcnt lgkmcnt(0)
	v_fmac_f64_e32 v[8:9], v[30:31], v[28:29]
	s_cbranch_scc0 .LBB32_63
	s_branch .LBB32_57
.LBB32_64:                              ;   in Loop: Header=BB32_17 Depth=1
	s_and_saveexec_b64 s[30:31], s[24:25]
	s_cbranch_execz .LBB32_16
; %bb.65:                               ;   in Loop: Header=BB32_17 Depth=1
	ds_read_b64 v[4:5], v3
	v_mad_u64_u32 v[6:7], s[34:35], v27, s40, v[2:3]
	v_ashrrev_i32_e32 v7, 31, v6
	v_lshl_add_u64 v[6:7], v[6:7], 3, s[20:21]
	s_waitcnt lgkmcnt(0)
	global_store_dwordx2 v[6:7], v[4:5], off
	s_branch .LBB32_16
.LBB32_66:                              ;   in Loop: Header=BB32_17 Depth=1
                                        ; implicit-def: $sgpr28
	s_cbranch_execz .LBB32_17
.LBB32_67:
	s_cmp_eq_u32 s42, 0
	s_cselect_b64 vcc, -1, 0
	v_max_i32_e32 v0, v14, v15
	v_cndmask_b32_e32 v1, v14, v15, vcc
	s_mul_i32 s33, s33, s40
	v_cmp_gt_i32_e64 s[0:1], s40, v0
	v_mov_b64_e32 v[2:3], 0
	v_cndmask_b32_e32 v0, v15, v14, vcc
	v_add_u32_e32 v1, s33, v1
	s_and_saveexec_b64 s[2:3], s[0:1]
	s_cbranch_execz .LBB32_69
; %bb.68:
	v_mad_u64_u32 v[2:3], s[4:5], v1, s40, v[0:1]
	v_ashrrev_i32_e32 v3, 31, v2
	v_lshl_add_u64 v[2:3], v[2:3], 3, s[20:21]
	global_load_dwordx2 v[2:3], v[2:3], off
.LBB32_69:
	s_or_b64 exec, exec, s[2:3]
	s_movk_i32 s2, 0x48
	v_mov_b32_e32 v4, 0x480
	v_mad_u32_u24 v5, v15, s2, v4
	v_lshl_add_u32 v4, v14, 3, v5
	s_cmp_lt_i32 s40, 1
	s_waitcnt vmcnt(0)
	ds_write_b64 v4, v[2:3]
	s_waitcnt lgkmcnt(0)
	s_cbranch_scc1 .LBB32_102
; %bb.70:
	v_or_b32_e32 v2, v14, v15
	s_add_i32 s18, s12, s13
	s_mov_b32 s8, 0
	v_cmp_ne_u32_e64 s[2:3], 0, v2
	v_add_u32_e32 v6, v5, v16
	s_cmp_eq_u32 s40, 1
	v_add_u32_e32 v7, v18, v16
	s_cbranch_scc1 .LBB32_92
; %bb.71:
	s_movk_i32 s4, 0x48
	v_mov_b32_e32 v2, 0x480
	v_mad_u32_u24 v8, v14, s4, v2
	s_mov_b32 s4, 0
	s_and_b32 s19, s40, 0x7ffffffe
	s_movk_i32 s22, 0x480
	s_brev_b32 s5, 8
	v_mov_b32_e32 v9, 0x260
	v_mov_b32_e32 v10, 0x3ff00000
	;; [unrolled: 1-line block ×7, first 2 shown]
	s_branch .LBB32_73
.LBB32_72:                              ;   in Loop: Header=BB32_73 Depth=1
	s_or_b64 exec, exec, s[8:9]
	s_addk_i32 s22, 0xa0
	s_add_i32 s8, s24, 1
	v_add_u32_e32 v8, 16, v8
	s_cmp_eq_u32 s8, s19
	v_add_u32_e32 v16, 16, v16
	s_waitcnt lgkmcnt(0)
	s_cbranch_scc1 .LBB32_91
.LBB32_73:                              ; =>This Inner Loop Header: Depth=1
	s_mov_b32 s23, s8
	v_cmp_eq_u32_e32 vcc, s23, v15
	s_and_saveexec_b64 s[8:9], vcc
	s_cbranch_execz .LBB32_75
; %bb.74:                               ;   in Loop: Header=BB32_73 Depth=1
	ds_read_b64 v[2:3], v6
	ds_read_b64 v[20:21], v7
	s_waitcnt lgkmcnt(0)
	v_add_f64 v[2:3], v[2:3], -v[20:21]
	v_xor_b32_e32 v20, 0x80000000, v3
	v_cmp_gt_f64_e32 vcc, 0, v[2:3]
	s_nop 1
	v_cndmask_b32_e32 v3, v3, v20, vcc
	v_cmp_gt_f64_e32 vcc, s[4:5], v[2:3]
	s_nop 1
	v_cndmask_b32_e32 v20, 0, v12, vcc
	v_ldexp_f64 v[2:3], v[2:3], v20
	v_rsq_f64_e32 v[20:21], v[2:3]
	v_cndmask_b32_e32 v26, 0, v13, vcc
	v_cmp_class_f64_e32 vcc, v[2:3], v9
	v_mul_f64 v[22:23], v[2:3], v[20:21]
	v_mul_f64 v[20:21], v[20:21], 0.5
	v_fma_f64 v[24:25], -v[20:21], v[22:23], 0.5
	v_fmac_f64_e32 v[22:23], v[22:23], v[24:25]
	v_fmac_f64_e32 v[20:21], v[20:21], v[24:25]
	v_fma_f64 v[24:25], -v[22:23], v[22:23], v[2:3]
	v_fmac_f64_e32 v[22:23], v[24:25], v[20:21]
	v_fma_f64 v[24:25], -v[22:23], v[22:23], v[2:3]
	v_fmac_f64_e32 v[22:23], v[24:25], v[20:21]
	v_ldexp_f64 v[20:21], v[22:23], v26
	v_cndmask_b32_e32 v3, v21, v3, vcc
	v_cndmask_b32_e32 v2, v20, v2, vcc
	ds_write_b64 v6, v[2:3]
.LBB32_75:                              ;   in Loop: Header=BB32_73 Depth=1
	s_or_b64 exec, exec, s[8:9]
	v_mov_b32_e32 v2, s22
	s_waitcnt lgkmcnt(0)
	ds_read_b64 v[2:3], v2
	s_waitcnt lgkmcnt(0)
	v_cmp_neq_f64_e32 vcc, 0, v[2:3]
	s_nop 1
	v_cndmask_b32_e32 v3, v10, v3, vcc
	s_nor_b64 s[16:17], vcc, s[2:3]
	v_cndmask_b32_e32 v2, 0, v2, vcc
	s_and_saveexec_b64 s[8:9], s[16:17]
	s_cbranch_execz .LBB32_79
; %bb.76:                               ;   in Loop: Header=BB32_73 Depth=1
	v_mbcnt_lo_u32_b32 v2, exec_lo, 0
	v_mbcnt_hi_u32_b32 v2, exec_hi, v2
	v_cmp_eq_u32_e32 vcc, 0, v2
	s_and_saveexec_b64 s[16:17], vcc
	s_cbranch_execz .LBB32_78
; %bb.77:                               ;   in Loop: Header=BB32_73 Depth=1
	global_atomic_smin v11, v19, s[14:15]
.LBB32_78:                              ;   in Loop: Header=BB32_73 Depth=1
	s_or_b64 exec, exec, s[16:17]
	v_mov_b64_e32 v[2:3], 1.0
.LBB32_79:                              ;   in Loop: Header=BB32_73 Depth=1
	s_or_b64 exec, exec, s[8:9]
	v_cmp_lt_u32_e32 vcc, s23, v15
	s_and_saveexec_b64 s[8:9], vcc
	s_cbranch_execz .LBB32_81
; %bb.80:                               ;   in Loop: Header=BB32_73 Depth=1
	ds_read2_b64 v[20:23], v16 offset1:72
	s_waitcnt lgkmcnt(0)
	v_add_f64 v[20:21], v[20:21], -v[22:23]
	v_div_scale_f64 v[22:23], s[16:17], v[2:3], v[2:3], v[20:21]
	v_rcp_f64_e32 v[24:25], v[22:23]
	v_div_scale_f64 v[26:27], vcc, v[20:21], v[2:3], v[20:21]
	v_fma_f64 v[28:29], -v[22:23], v[24:25], 1.0
	v_fmac_f64_e32 v[24:25], v[24:25], v[28:29]
	v_fma_f64 v[28:29], -v[22:23], v[24:25], 1.0
	v_fmac_f64_e32 v[24:25], v[24:25], v[28:29]
	v_mul_f64 v[28:29], v[26:27], v[24:25]
	v_fma_f64 v[22:23], -v[22:23], v[28:29], v[26:27]
	v_div_fmas_f64 v[22:23], v[22:23], v[24:25], v[28:29]
	v_div_fixup_f64 v[2:3], v[22:23], v[2:3], v[20:21]
	ds_write_b64 v16, v[2:3]
	s_waitcnt lgkmcnt(0)
	ds_read_b64 v[20:21], v8
	ds_read_b64 v[22:23], v17
	s_waitcnt lgkmcnt(0)
	v_fmac_f64_e32 v[22:23], v[2:3], v[20:21]
	ds_write_b64 v17, v[22:23]
.LBB32_81:                              ;   in Loop: Header=BB32_73 Depth=1
	s_or_b64 exec, exec, s[8:9]
	s_add_i32 s24, s23, 1
	v_cmp_eq_u32_e32 vcc, s24, v15
	s_waitcnt lgkmcnt(0)
	s_and_saveexec_b64 s[8:9], vcc
	s_cbranch_execz .LBB32_83
; %bb.82:                               ;   in Loop: Header=BB32_73 Depth=1
	ds_read_b64 v[2:3], v6
	ds_read_b64 v[20:21], v7
	s_waitcnt lgkmcnt(0)
	v_add_f64 v[2:3], v[2:3], -v[20:21]
	v_xor_b32_e32 v20, 0x80000000, v3
	v_cmp_gt_f64_e32 vcc, 0, v[2:3]
	s_nop 1
	v_cndmask_b32_e32 v3, v3, v20, vcc
	v_cmp_gt_f64_e32 vcc, s[4:5], v[2:3]
	s_nop 1
	v_cndmask_b32_e32 v20, 0, v12, vcc
	v_ldexp_f64 v[2:3], v[2:3], v20
	v_rsq_f64_e32 v[20:21], v[2:3]
	v_cndmask_b32_e32 v26, 0, v13, vcc
	v_cmp_class_f64_e32 vcc, v[2:3], v9
	v_mul_f64 v[22:23], v[2:3], v[20:21]
	v_mul_f64 v[20:21], v[20:21], 0.5
	v_fma_f64 v[24:25], -v[20:21], v[22:23], 0.5
	v_fmac_f64_e32 v[22:23], v[22:23], v[24:25]
	v_fmac_f64_e32 v[20:21], v[20:21], v[24:25]
	v_fma_f64 v[24:25], -v[22:23], v[22:23], v[2:3]
	v_fmac_f64_e32 v[22:23], v[24:25], v[20:21]
	v_fma_f64 v[24:25], -v[22:23], v[22:23], v[2:3]
	v_fmac_f64_e32 v[22:23], v[24:25], v[20:21]
	v_ldexp_f64 v[20:21], v[22:23], v26
	v_cndmask_b32_e32 v3, v21, v3, vcc
	v_cndmask_b32_e32 v2, v20, v2, vcc
	ds_write_b64 v6, v[2:3]
.LBB32_83:                              ;   in Loop: Header=BB32_73 Depth=1
	s_or_b64 exec, exec, s[8:9]
	v_mov_b32_e32 v2, s22
	s_waitcnt lgkmcnt(0)
	ds_read_b64 v[2:3], v2 offset:80
	s_waitcnt lgkmcnt(0)
	v_cmp_neq_f64_e32 vcc, 0, v[2:3]
	s_nop 1
	v_cndmask_b32_e32 v3, v10, v3, vcc
	s_nor_b64 s[16:17], vcc, s[2:3]
	v_cndmask_b32_e32 v2, 0, v2, vcc
	s_and_saveexec_b64 s[8:9], s[16:17]
	s_cbranch_execz .LBB32_87
; %bb.84:                               ;   in Loop: Header=BB32_73 Depth=1
	v_mbcnt_lo_u32_b32 v2, exec_lo, 0
	v_mbcnt_hi_u32_b32 v2, exec_hi, v2
	v_cmp_eq_u32_e32 vcc, 0, v2
	s_and_saveexec_b64 s[16:17], vcc
	s_cbranch_execz .LBB32_86
; %bb.85:                               ;   in Loop: Header=BB32_73 Depth=1
	global_atomic_smin v11, v19, s[14:15]
.LBB32_86:                              ;   in Loop: Header=BB32_73 Depth=1
	s_or_b64 exec, exec, s[16:17]
	v_mov_b64_e32 v[2:3], 1.0
.LBB32_87:                              ;   in Loop: Header=BB32_73 Depth=1
	s_or_b64 exec, exec, s[8:9]
	v_cmp_lt_u32_e32 vcc, s24, v15
	s_and_saveexec_b64 s[8:9], vcc
	s_cbranch_execz .LBB32_72
; %bb.88:                               ;   in Loop: Header=BB32_73 Depth=1
	ds_read2_b64 v[20:23], v16 offset0:1 offset1:73
	s_waitcnt lgkmcnt(0)
	v_add_f64 v[20:21], v[20:21], -v[22:23]
	v_div_scale_f64 v[22:23], s[16:17], v[2:3], v[2:3], v[20:21]
	v_rcp_f64_e32 v[24:25], v[22:23]
	v_div_scale_f64 v[26:27], vcc, v[20:21], v[2:3], v[20:21]
	v_fma_f64 v[28:29], -v[22:23], v[24:25], 1.0
	v_fmac_f64_e32 v[24:25], v[24:25], v[28:29]
	v_fma_f64 v[28:29], -v[22:23], v[24:25], 1.0
	v_fmac_f64_e32 v[24:25], v[24:25], v[28:29]
	v_mul_f64 v[28:29], v[26:27], v[24:25]
	v_fma_f64 v[22:23], -v[22:23], v[28:29], v[26:27]
	v_div_fmas_f64 v[22:23], v[22:23], v[24:25], v[28:29]
	v_div_fixup_f64 v[2:3], v[22:23], v[2:3], v[20:21]
	ds_write_b64 v16, v[2:3] offset:8
	s_waitcnt lgkmcnt(0)
	ds_read_b64 v[20:21], v8 offset:8
	ds_read_b64 v[22:23], v17
	s_waitcnt lgkmcnt(0)
	v_fmac_f64_e32 v[22:23], v[2:3], v[20:21]
	ds_write_b64 v17, v[22:23]
	s_branch .LBB32_72
.LBB32_89:
	s_cbranch_execnz .LBB32_107
.LBB32_90:
	s_endpgm
.LBB32_91:
	s_add_i32 s8, s23, 2
.LBB32_92:
	s_bitcmp0_b32 s40, 0
	s_cbranch_scc1 .LBB32_102
; %bb.93:
	v_cmp_eq_u32_e32 vcc, s8, v15
	s_and_saveexec_b64 s[4:5], vcc
	s_cbranch_execz .LBB32_95
; %bb.94:
	ds_read_b64 v[2:3], v6
	ds_read_b64 v[8:9], v7
	s_mov_b32 s16, 0
	s_brev_b32 s17, 8
	s_waitcnt lgkmcnt(0)
	v_add_f64 v[2:3], v[2:3], -v[8:9]
	v_xor_b32_e32 v7, 0x80000000, v3
	v_cmp_gt_f64_e32 vcc, 0, v[2:3]
	s_nop 1
	v_cndmask_b32_e32 v3, v3, v7, vcc
	v_mov_b32_e32 v7, 0x100
	v_cmp_gt_f64_e32 vcc, s[16:17], v[2:3]
	s_nop 1
	v_cndmask_b32_e32 v7, 0, v7, vcc
	v_ldexp_f64 v[2:3], v[2:3], v7
	v_rsq_f64_e32 v[8:9], v[2:3]
	v_mov_b32_e32 v7, 0xffffff80
	v_cndmask_b32_e32 v7, 0, v7, vcc
	v_mul_f64 v[10:11], v[2:3], v[8:9]
	v_mul_f64 v[8:9], v[8:9], 0.5
	v_fma_f64 v[12:13], -v[8:9], v[10:11], 0.5
	v_fmac_f64_e32 v[10:11], v[10:11], v[12:13]
	v_fma_f64 v[20:21], -v[10:11], v[10:11], v[2:3]
	v_fmac_f64_e32 v[8:9], v[8:9], v[12:13]
	v_fmac_f64_e32 v[10:11], v[20:21], v[8:9]
	v_fma_f64 v[12:13], -v[10:11], v[10:11], v[2:3]
	v_fmac_f64_e32 v[10:11], v[12:13], v[8:9]
	v_ldexp_f64 v[8:9], v[10:11], v7
	v_mov_b32_e32 v7, 0x260
	v_cmp_class_f64_e32 vcc, v[2:3], v7
	s_nop 1
	v_cndmask_b32_e32 v3, v9, v3, vcc
	v_cndmask_b32_e32 v2, v8, v2, vcc
	ds_write_b64 v6, v[2:3]
.LBB32_95:
	s_or_b64 exec, exec, s[4:5]
	s_mul_i32 s4, s8, 0x48
	s_lshl_b32 s9, s8, 3
	s_add_i32 s4, s4, s9
	v_mov_b32_e32 v2, s4
	s_waitcnt lgkmcnt(0)
	ds_read_b64 v[2:3], v2 offset:1152
	v_mov_b32_e32 v6, 0x3ff00000
	s_waitcnt lgkmcnt(0)
	v_cmp_neq_f64_e32 vcc, 0, v[2:3]
	s_nop 1
	v_cndmask_b32_e32 v3, v6, v3, vcc
	s_nor_b64 s[4:5], vcc, s[2:3]
	v_cndmask_b32_e32 v2, 0, v2, vcc
	s_and_saveexec_b64 s[2:3], s[4:5]
	s_cbranch_execz .LBB32_99
; %bb.96:
	v_mbcnt_lo_u32_b32 v2, exec_lo, 0
	v_mbcnt_hi_u32_b32 v2, exec_hi, v2
	v_cmp_eq_u32_e32 vcc, 0, v2
	s_and_saveexec_b64 s[4:5], vcc
	s_cbranch_execz .LBB32_98
; %bb.97:
	v_mov_b32_e32 v2, 0
	v_mov_b32_e32 v3, s18
	global_atomic_smin v2, v3, s[14:15]
.LBB32_98:
	s_or_b64 exec, exec, s[4:5]
	v_mov_b64_e32 v[2:3], 1.0
.LBB32_99:
	s_or_b64 exec, exec, s[2:3]
	v_cmp_lt_u32_e32 vcc, s8, v15
	s_and_saveexec_b64 s[2:3], vcc
	s_cbranch_execz .LBB32_101
; %bb.100:
	v_add_u32_e32 v5, s9, v5
	v_add_u32_e32 v8, s9, v18
	ds_read_b64 v[6:7], v5
	ds_read_b64 v[8:9], v8
	s_waitcnt lgkmcnt(0)
	v_add_f64 v[6:7], v[6:7], -v[8:9]
	v_div_scale_f64 v[8:9], s[4:5], v[2:3], v[2:3], v[6:7]
	v_rcp_f64_e32 v[10:11], v[8:9]
	v_div_scale_f64 v[12:13], vcc, v[6:7], v[2:3], v[6:7]
	s_movk_i32 s4, 0x48
	v_fma_f64 v[18:19], -v[8:9], v[10:11], 1.0
	v_fmac_f64_e32 v[10:11], v[10:11], v[18:19]
	v_fma_f64 v[18:19], -v[8:9], v[10:11], 1.0
	v_fmac_f64_e32 v[10:11], v[10:11], v[18:19]
	v_mul_f64 v[18:19], v[12:13], v[10:11]
	v_fma_f64 v[8:9], -v[8:9], v[18:19], v[12:13]
	v_div_fmas_f64 v[8:9], v[8:9], v[10:11], v[18:19]
	v_div_fixup_f64 v[2:3], v[8:9], v[2:3], v[6:7]
	ds_write_b64 v5, v[2:3]
	v_mov_b32_e32 v5, s9
	v_mad_u32_u24 v5, v14, s4, v5
	s_waitcnt lgkmcnt(0)
	ds_read_b64 v[6:7], v5 offset:1152
	ds_read_b64 v[8:9], v17
	s_waitcnt lgkmcnt(0)
	v_fmac_f64_e32 v[8:9], v[2:3], v[6:7]
	ds_write_b64 v17, v[8:9]
.LBB32_101:
	s_or_b64 exec, exec, s[2:3]
	s_waitcnt lgkmcnt(0)
.LBB32_102:
	s_and_saveexec_b64 s[2:3], s[0:1]
	s_cbranch_execz .LBB32_104
; %bb.103:
	ds_read_b64 v[2:3], v4
	v_mad_u64_u32 v[0:1], s[0:1], v1, s40, v[0:1]
	v_ashrrev_i32_e32 v1, 31, v0
	v_lshl_add_u64 v[0:1], v[0:1], 3, s[20:21]
	s_waitcnt lgkmcnt(0)
	global_store_dwordx2 v[0:1], v[2:3], off
.LBB32_104:
	s_or_b64 exec, exec, s[2:3]
	v_or_b32_e32 v0, v14, v15
	v_cmp_eq_u32_e32 vcc, 0, v0
	s_and_saveexec_b64 s[0:1], vcc
	s_cbranch_execz .LBB32_106
; %bb.105:
	s_add_u32 s2, s10, s6
	s_addc_u32 s3, s11, s7
	v_mov_b32_e32 v0, 0
	v_mov_b32_e32 v1, 1
	buffer_wbl2 sc1
	s_waitcnt vmcnt(0)
	global_store_dword v0, v1, s[2:3] sc1
.LBB32_106:
	s_or_b64 exec, exec, s[0:1]
	s_branch .LBB32_90
.LBB32_107:
	v_or_b32_e32 v0, v14, v15
	v_cmp_eq_u32_e32 vcc, 0, v0
	s_and_saveexec_b64 s[0:1], vcc
	s_cbranch_execz .LBB32_90
; %bb.108:
	v_mbcnt_lo_u32_b32 v0, exec_lo, 0
	v_mbcnt_hi_u32_b32 v0, exec_hi, v0
	v_cmp_eq_u32_e32 vcc, 0, v0
	s_and_saveexec_b64 s[0:1], vcc
	s_cbranch_execz .LBB32_110
; %bb.109:
	s_add_i32 s2, s12, s13
	v_mov_b32_e32 v0, 0
	v_mov_b32_e32 v1, s2
	global_atomic_smin v0, v1, s[14:15]
.LBB32_110:
	s_or_b64 exec, exec, s[0:1]
	s_add_u32 s0, s10, s6
	s_addc_u32 s1, s11, s7
	v_mov_b32_e32 v0, 0
	v_mov_b32_e32 v1, 1
	buffer_wbl2 sc1
	s_waitcnt vmcnt(0)
	global_store_dword v0, v1, s[0:1] sc1
	s_endpgm
	.section	.rodata,"a",@progbits
	.p2align	6, 0x0
	.amdhsa_kernel _ZN9rocsparseL17bsric0_2_8_kernelILi64ELi64ELi8EdEEv20rocsparse_direction_iiPKiS3_PT2_S3_PiS3_S6_21rocsparse_index_base_
		.amdhsa_group_segment_fixed_size 3072
		.amdhsa_private_segment_fixed_size 0
		.amdhsa_kernarg_size 76
		.amdhsa_user_sgpr_count 2
		.amdhsa_user_sgpr_dispatch_ptr 0
		.amdhsa_user_sgpr_queue_ptr 0
		.amdhsa_user_sgpr_kernarg_segment_ptr 1
		.amdhsa_user_sgpr_dispatch_id 0
		.amdhsa_user_sgpr_kernarg_preload_length 0
		.amdhsa_user_sgpr_kernarg_preload_offset 0
		.amdhsa_user_sgpr_private_segment_size 0
		.amdhsa_uses_dynamic_stack 0
		.amdhsa_enable_private_segment 0
		.amdhsa_system_sgpr_workgroup_id_x 1
		.amdhsa_system_sgpr_workgroup_id_y 0
		.amdhsa_system_sgpr_workgroup_id_z 0
		.amdhsa_system_sgpr_workgroup_info 0
		.amdhsa_system_vgpr_workitem_id 1
		.amdhsa_next_free_vgpr 66
		.amdhsa_next_free_sgpr 50
		.amdhsa_accum_offset 68
		.amdhsa_reserve_vcc 1
		.amdhsa_float_round_mode_32 0
		.amdhsa_float_round_mode_16_64 0
		.amdhsa_float_denorm_mode_32 3
		.amdhsa_float_denorm_mode_16_64 3
		.amdhsa_dx10_clamp 1
		.amdhsa_ieee_mode 1
		.amdhsa_fp16_overflow 0
		.amdhsa_tg_split 0
		.amdhsa_exception_fp_ieee_invalid_op 0
		.amdhsa_exception_fp_denorm_src 0
		.amdhsa_exception_fp_ieee_div_zero 0
		.amdhsa_exception_fp_ieee_overflow 0
		.amdhsa_exception_fp_ieee_underflow 0
		.amdhsa_exception_fp_ieee_inexact 0
		.amdhsa_exception_int_div_zero 0
	.end_amdhsa_kernel
	.section	.text._ZN9rocsparseL17bsric0_2_8_kernelILi64ELi64ELi8EdEEv20rocsparse_direction_iiPKiS3_PT2_S3_PiS3_S6_21rocsparse_index_base_,"axG",@progbits,_ZN9rocsparseL17bsric0_2_8_kernelILi64ELi64ELi8EdEEv20rocsparse_direction_iiPKiS3_PT2_S3_PiS3_S6_21rocsparse_index_base_,comdat
.Lfunc_end32:
	.size	_ZN9rocsparseL17bsric0_2_8_kernelILi64ELi64ELi8EdEEv20rocsparse_direction_iiPKiS3_PT2_S3_PiS3_S6_21rocsparse_index_base_, .Lfunc_end32-_ZN9rocsparseL17bsric0_2_8_kernelILi64ELi64ELi8EdEEv20rocsparse_direction_iiPKiS3_PT2_S3_PiS3_S6_21rocsparse_index_base_
                                        ; -- End function
	.set _ZN9rocsparseL17bsric0_2_8_kernelILi64ELi64ELi8EdEEv20rocsparse_direction_iiPKiS3_PT2_S3_PiS3_S6_21rocsparse_index_base_.num_vgpr, 66
	.set _ZN9rocsparseL17bsric0_2_8_kernelILi64ELi64ELi8EdEEv20rocsparse_direction_iiPKiS3_PT2_S3_PiS3_S6_21rocsparse_index_base_.num_agpr, 0
	.set _ZN9rocsparseL17bsric0_2_8_kernelILi64ELi64ELi8EdEEv20rocsparse_direction_iiPKiS3_PT2_S3_PiS3_S6_21rocsparse_index_base_.numbered_sgpr, 50
	.set _ZN9rocsparseL17bsric0_2_8_kernelILi64ELi64ELi8EdEEv20rocsparse_direction_iiPKiS3_PT2_S3_PiS3_S6_21rocsparse_index_base_.num_named_barrier, 0
	.set _ZN9rocsparseL17bsric0_2_8_kernelILi64ELi64ELi8EdEEv20rocsparse_direction_iiPKiS3_PT2_S3_PiS3_S6_21rocsparse_index_base_.private_seg_size, 0
	.set _ZN9rocsparseL17bsric0_2_8_kernelILi64ELi64ELi8EdEEv20rocsparse_direction_iiPKiS3_PT2_S3_PiS3_S6_21rocsparse_index_base_.uses_vcc, 1
	.set _ZN9rocsparseL17bsric0_2_8_kernelILi64ELi64ELi8EdEEv20rocsparse_direction_iiPKiS3_PT2_S3_PiS3_S6_21rocsparse_index_base_.uses_flat_scratch, 0
	.set _ZN9rocsparseL17bsric0_2_8_kernelILi64ELi64ELi8EdEEv20rocsparse_direction_iiPKiS3_PT2_S3_PiS3_S6_21rocsparse_index_base_.has_dyn_sized_stack, 0
	.set _ZN9rocsparseL17bsric0_2_8_kernelILi64ELi64ELi8EdEEv20rocsparse_direction_iiPKiS3_PT2_S3_PiS3_S6_21rocsparse_index_base_.has_recursion, 0
	.set _ZN9rocsparseL17bsric0_2_8_kernelILi64ELi64ELi8EdEEv20rocsparse_direction_iiPKiS3_PT2_S3_PiS3_S6_21rocsparse_index_base_.has_indirect_call, 0
	.section	.AMDGPU.csdata,"",@progbits
; Kernel info:
; codeLenInByte = 4972
; TotalNumSgprs: 56
; NumVgprs: 66
; NumAgprs: 0
; TotalNumVgprs: 66
; ScratchSize: 0
; MemoryBound: 0
; FloatMode: 240
; IeeeMode: 1
; LDSByteSize: 3072 bytes/workgroup (compile time only)
; SGPRBlocks: 6
; VGPRBlocks: 8
; NumSGPRsForWavesPerEU: 56
; NumVGPRsForWavesPerEU: 66
; AccumOffset: 68
; Occupancy: 7
; WaveLimiterHint : 1
; COMPUTE_PGM_RSRC2:SCRATCH_EN: 0
; COMPUTE_PGM_RSRC2:USER_SGPR: 2
; COMPUTE_PGM_RSRC2:TRAP_HANDLER: 0
; COMPUTE_PGM_RSRC2:TGID_X_EN: 1
; COMPUTE_PGM_RSRC2:TGID_Y_EN: 0
; COMPUTE_PGM_RSRC2:TGID_Z_EN: 0
; COMPUTE_PGM_RSRC2:TIDIG_COMP_CNT: 1
; COMPUTE_PGM_RSRC3_GFX90A:ACCUM_OFFSET: 16
; COMPUTE_PGM_RSRC3_GFX90A:TG_SPLIT: 0
	.section	.text._ZN9rocsparseL18bsric0_9_16_kernelILi64ELi64ELi16EdEEv20rocsparse_direction_iiPKiS3_PT2_S3_PiS3_S6_21rocsparse_index_base_,"axG",@progbits,_ZN9rocsparseL18bsric0_9_16_kernelILi64ELi64ELi16EdEEv20rocsparse_direction_iiPKiS3_PT2_S3_PiS3_S6_21rocsparse_index_base_,comdat
	.globl	_ZN9rocsparseL18bsric0_9_16_kernelILi64ELi64ELi16EdEEv20rocsparse_direction_iiPKiS3_PT2_S3_PiS3_S6_21rocsparse_index_base_ ; -- Begin function _ZN9rocsparseL18bsric0_9_16_kernelILi64ELi64ELi16EdEEv20rocsparse_direction_iiPKiS3_PT2_S3_PiS3_S6_21rocsparse_index_base_
	.p2align	8
	.type	_ZN9rocsparseL18bsric0_9_16_kernelILi64ELi64ELi16EdEEv20rocsparse_direction_iiPKiS3_PT2_S3_PiS3_S6_21rocsparse_index_base_,@function
_ZN9rocsparseL18bsric0_9_16_kernelILi64ELi64ELi16EdEEv20rocsparse_direction_iiPKiS3_PT2_S3_PiS3_S6_21rocsparse_index_base_: ; @_ZN9rocsparseL18bsric0_9_16_kernelILi64ELi64ELi16EdEEv20rocsparse_direction_iiPKiS3_PT2_S3_PiS3_S6_21rocsparse_index_base_
; %bb.0:
	s_load_dwordx8 s[8:15], s[0:1], 0x28
	s_mov_b32 s3, 0
	s_lshl_b64 s[2:3], s[2:3], 2
	v_and_b32_e32 v1, 0x3ff, v0
	v_bfe_u32 v0, v0, 10, 10
	s_waitcnt lgkmcnt(0)
	s_add_u32 s2, s12, s2
	s_addc_u32 s3, s13, s3
	s_load_dword s12, s[2:3], 0x0
	s_waitcnt lgkmcnt(0)
	s_ashr_i32 s13, s12, 31
	s_lshl_b64 s[6:7], s[12:13], 2
	s_add_u32 s2, s8, s6
	s_addc_u32 s3, s9, s7
	s_load_dword s33, s[2:3], 0x0
	s_load_dword s13, s[0:1], 0x48
	s_waitcnt lgkmcnt(0)
	s_cmp_lg_u32 s33, -1
	s_cbranch_scc0 .LBB33_128
; %bb.1:
	s_load_dwordx4 s[16:19], s[0:1], 0x10
	s_load_dwordx2 s[20:21], s[0:1], 0x20
	v_lshlrev_b32_e32 v2, 2, v0
	s_waitcnt lgkmcnt(0)
	s_add_u32 s2, s16, s6
	s_addc_u32 s3, s17, s7
	s_load_dword s2, s[2:3], 0x0
	s_waitcnt lgkmcnt(0)
	s_sub_i32 s46, s2, s13
	v_add3_u32 v2, v2, v1, s46
	v_cmp_ge_i32_e32 vcc, s33, v2
	s_and_saveexec_b64 s[2:3], vcc
	s_cbranch_execz .LBB33_4
; %bb.2:
	v_lshlrev_b32_e32 v3, 4, v0
	v_lshlrev_b32_e32 v4, 2, v1
	s_movk_i32 s4, 0x2400
	v_add3_u32 v4, v3, v4, s4
	s_mov_b64 s[4:5], 0
.LBB33_3:                               ; =>This Inner Loop Header: Depth=1
	v_ashrrev_i32_e32 v3, 31, v2
	v_lshl_add_u64 v[6:7], v[2:3], 2, s[18:19]
	global_load_dword v3, v[6:7], off
	v_add_u32_e32 v2, 64, v2
	v_cmp_lt_i32_e32 vcc, s33, v2
	s_or_b64 s[4:5], vcc, s[4:5]
	s_waitcnt vmcnt(0)
	v_subrev_u32_e32 v3, s13, v3
	ds_write_b32 v4, v3
	v_add_u32_e32 v4, 0x100, v4
	s_andn2_b64 exec, exec, s[4:5]
	s_cbranch_execnz .LBB33_3
.LBB33_4:
	s_or_b64 exec, exec, s[2:3]
	v_cmp_gt_u32_e32 vcc, 16, v1
	v_lshlrev_b32_e32 v14, 3, v1
	s_and_saveexec_b64 s[2:3], vcc
	s_cbranch_execz .LBB33_7
; %bb.5:
	v_mul_u32_u24_e32 v3, 0x88, v0
	s_movk_i32 s4, 0x1980
	v_mov_b32_e32 v4, 0
	v_add_u32_e32 v2, -4, v1
	v_add3_u32 v3, v3, v14, s4
	s_mov_b64 s[4:5], 0
	v_mov_b32_e32 v5, v4
.LBB33_6:                               ; =>This Inner Loop Header: Depth=1
	v_add_u32_e32 v2, 4, v2
	v_cmp_lt_u32_e32 vcc, 11, v2
	ds_write_b64 v3, v[4:5]
	s_or_b64 s[4:5], vcc, s[4:5]
	v_add_u32_e32 v3, 32, v3
	s_andn2_b64 exec, exec, s[4:5]
	s_cbranch_execnz .LBB33_6
.LBB33_7:
	s_or_b64 exec, exec, s[2:3]
	s_load_dword s44, s[0:1], 0x8
	s_load_dword s45, s[0:1], 0x0
	s_cmp_ge_i32 s46, s33
	s_waitcnt lgkmcnt(0)
	v_cmp_gt_i32_e64 s[0:1], s44, v1
	s_cbranch_scc1 .LBB33_89
; %bb.8:
	s_movk_i32 s26, 0x88
	v_mov_b32_e32 v3, 0x880
	s_cmp_lg_u32 s45, 0
	v_mov_b32_e32 v2, 0x1100
	v_mad_u32_u24 v16, v0, s26, v3
	v_or_b32_e32 v3, v1, v0
	s_mul_i32 s27, s44, s46
	s_cselect_b64 s[22:23], -1, 0
	v_mad_u32_u24 v15, v0, s26, v2
	s_cmp_gt_i32 s44, 0
	v_cmp_ne_u32_e64 s[4:5], 0, v3
	v_mad_u32_u24 v18, v0, s26, v14
	v_add_u32_e32 v3, s27, v0
	v_mad_u32_u24 v23, v1, s26, v2
	v_mov_b32_e32 v2, 0
	v_cmp_gt_i32_e64 s[2:3], s44, v0
	s_mul_i32 s47, s44, s44
	v_mul_lo_u32 v17, s44, v0
	s_cselect_b64 s[24:25], -1, 0
	v_add_u32_e32 v19, 0x880, v18
	v_mul_lo_u32 v21, s44, v3
	v_mul_lo_u32 v20, v1, s44
	s_lshl_b32 s48, s44, 2
	v_add_u32_e32 v22, 0x1980, v18
	v_add_u32_e32 v24, 0x1100, v18
	v_mov_b32_e32 v3, v2
	v_mov_b32_e32 v25, 0x3ff00000
	s_mov_b32 s26, s46
	s_branch .LBB33_10
.LBB33_9:                               ;   in Loop: Header=BB33_10 Depth=1
	s_or_b64 exec, exec, s[28:29]
	s_add_i32 s26, s26, 1
	s_cmp_ge_i32 s26, s33
	buffer_wbl2 sc1
	s_waitcnt vmcnt(0)
	buffer_inv sc1
	v_add_u32_e32 v21, s47, v21
	s_cselect_b64 s[28:29], -1, 0
	s_and_b64 vcc, exec, s[28:29]
	s_cbranch_vccnz .LBB33_89
.LBB33_10:                              ; =>This Loop Header: Depth=1
                                        ;     Child Loop BB33_14 Depth 2
                                        ;     Child Loop BB33_26 Depth 2
	;; [unrolled: 1-line block ×5, first 2 shown]
                                        ;       Child Loop BB33_56 Depth 3
                                        ;     Child Loop BB33_70 Depth 2
                                        ;       Child Loop BB33_75 Depth 3
                                        ;       Child Loop BB33_78 Depth 3
                                        ;     Child Loop BB33_84 Depth 2
	s_ashr_i32 s27, s26, 31
	s_lshl_b64 s[28:29], s[26:27], 2
	s_add_u32 s28, s18, s28
	s_addc_u32 s29, s19, s29
	s_load_dword s49, s[28:29], 0x0
	s_waitcnt lgkmcnt(0)
	s_sub_i32 s30, s49, s13
	s_ashr_i32 s31, s30, 31
	s_lshl_b64 s[28:29], s[30:31], 2
	s_add_u32 s34, s8, s28
	s_addc_u32 s35, s9, s29
	s_load_dword s31, s[34:35], 0x0
	s_waitcnt lgkmcnt(0)
	s_cmp_eq_u32 s31, -1
	s_cbranch_scc1 .LBB33_88
; %bb.11:                               ;   in Loop: Header=BB33_10 Depth=1
	s_add_u32 s34, s16, s28
	s_addc_u32 s35, s17, s29
	s_load_dword s50, s[34:35], 0x0
	s_mul_i32 s27, s26, s44
	s_and_saveexec_b64 s[34:35], s[0:1]
	s_cbranch_execz .LBB33_24
; %bb.12:                               ;   in Loop: Header=BB33_10 Depth=1
	s_mov_b64 s[36:37], 0
	v_mov_b32_e32 v6, v19
	v_mov_b32_e32 v7, v1
	s_branch .LBB33_14
.LBB33_13:                              ;   in Loop: Header=BB33_14 Depth=2
	s_or_b64 exec, exec, s[40:41]
	v_add_u32_e32 v7, 4, v7
	v_cmp_le_i32_e32 vcc, s44, v7
	s_waitcnt vmcnt(0)
	ds_write_b64 v6, v[8:9] offset:2176
	ds_write_b64 v6, v[2:3]
	s_or_b64 s[36:37], vcc, s[36:37]
	v_add_u32_e32 v6, 32, v6
	s_andn2_b64 exec, exec, s[36:37]
	s_cbranch_execz .LBB33_24
.LBB33_14:                              ;   Parent Loop BB33_10 Depth=1
                                        ; =>  This Inner Loop Header: Depth=2
	s_and_b64 vcc, exec, s[22:23]
	s_cbranch_vccz .LBB33_21
; %bb.15:                               ;   in Loop: Header=BB33_14 Depth=2
	s_mov_b64 s[40:41], 0
	s_mov_b64 s[38:39], 0
                                        ; implicit-def: $vgpr4
	s_and_saveexec_b64 s[42:43], s[2:3]
	s_xor_b64 s[42:43], exec, s[42:43]
; %bb.16:                               ;   in Loop: Header=BB33_14 Depth=2
	v_add_u32_e32 v4, s27, v7
	s_mov_b64 s[38:39], exec
	v_mad_u64_u32 v[4:5], s[52:53], v4, s44, v[0:1]
; %bb.17:                               ;   in Loop: Header=BB33_14 Depth=2
	s_or_b64 exec, exec, s[42:43]
	s_and_b64 vcc, exec, s[40:41]
	s_cbranch_vccz .LBB33_22
.LBB33_18:                              ;   in Loop: Header=BB33_14 Depth=2
                                        ; implicit-def: $vgpr4
	s_and_saveexec_b64 s[40:41], s[2:3]
; %bb.19:                               ;   in Loop: Header=BB33_14 Depth=2
	v_add_u32_e32 v4, v21, v7
	s_or_b64 s[38:39], s[38:39], exec
; %bb.20:                               ;   in Loop: Header=BB33_14 Depth=2
	s_or_b64 exec, exec, s[40:41]
	v_mov_b64_e32 v[8:9], 0
	s_and_saveexec_b64 s[40:41], s[38:39]
	s_cbranch_execz .LBB33_13
	s_branch .LBB33_23
.LBB33_21:                              ;   in Loop: Header=BB33_14 Depth=2
	s_mov_b64 s[38:39], 0
                                        ; implicit-def: $vgpr4
	s_cbranch_execnz .LBB33_18
.LBB33_22:                              ;   in Loop: Header=BB33_14 Depth=2
	v_mov_b64_e32 v[8:9], 0
	s_and_saveexec_b64 s[40:41], s[38:39]
	s_cbranch_execz .LBB33_13
.LBB33_23:                              ;   in Loop: Header=BB33_14 Depth=2
	v_ashrrev_i32_e32 v5, 31, v4
	v_lshl_add_u64 v[4:5], v[4:5], 3, s[20:21]
	global_load_dwordx2 v[8:9], v[4:5], off
	s_branch .LBB33_13
.LBB33_24:                              ;   in Loop: Header=BB33_10 Depth=1
	s_or_b64 exec, exec, s[34:35]
	ds_read_b32 v4, v2 offset:9216
	s_waitcnt lgkmcnt(0)
	s_sub_i32 s34, s50, s13
	s_cmp_le_i32 s34, s31
	s_cselect_b64 s[36:37], -1, 0
	s_mov_b32 s40, 0
	v_cmp_ge_i32_e32 vcc, s30, v4
	s_and_b64 s[36:37], s[36:37], vcc
	s_andn2_b64 vcc, exec, s[36:37]
	s_cbranch_vccnz .LBB33_36
; %bb.25:                               ;   in Loop: Header=BB33_10 Depth=1
	s_mov_b32 s38, 0
	s_mov_b32 s39, 0
.LBB33_26:                              ;   Parent Loop BB33_10 Depth=1
                                        ; =>  This Inner Loop Header: Depth=2
	s_ashr_i32 s35, s34, 31
	s_lshl_b64 s[36:37], s[34:35], 2
	s_add_u32 s36, s18, s36
	s_addc_u32 s37, s19, s37
	s_load_dword s35, s[36:37], 0x0
	s_lshl_b32 s36, s39, 2
	v_mov_b32_e32 v4, s36
	ds_read_b32 v4, v4 offset:9216
	s_mov_b64 s[36:37], -1
	s_waitcnt lgkmcnt(0)
	s_sub_i32 s43, s35, s13
                                        ; implicit-def: $sgpr40
                                        ; implicit-def: $sgpr42
                                        ; implicit-def: $sgpr41
	v_cmp_ge_i32_e32 vcc, s43, v4
	v_readfirstlane_b32 s35, v4
	s_cbranch_vccz .LBB33_32
; %bb.27:                               ;   in Loop: Header=BB33_26 Depth=2
	s_cmp_le_i32 s43, s35
                                        ; implicit-def: $sgpr40
                                        ; implicit-def: $sgpr42
                                        ; implicit-def: $sgpr41
	s_cbranch_scc0 .LBB33_29
; %bb.28:                               ;   in Loop: Header=BB33_26 Depth=2
	s_add_i32 s36, s39, s46
	s_mul_i32 s36, s36, s47
	s_lshl_b32 s37, s38, 2
	v_mov_b32_e32 v5, s36
	s_mul_i32 s36, s34, s47
	v_mov_b32_e32 v4, s37
	v_mov_b32_e32 v6, s36
	ds_write2st64_b32 v4, v6, v5 offset0:34 offset1:35
	s_add_i32 s41, s39, 1
	s_add_i32 s42, s34, 1
	;; [unrolled: 1-line block ×3, first 2 shown]
	s_mov_b64 s[36:37], 0
.LBB33_29:                              ;   in Loop: Header=BB33_26 Depth=2
	s_andn2_b64 vcc, exec, s[36:37]
	s_cbranch_vccnz .LBB33_31
; %bb.30:                               ;   in Loop: Header=BB33_26 Depth=2
	s_add_i32 s41, s39, 1
	s_mov_b32 s40, s38
	s_mov_b32 s42, s34
.LBB33_31:                              ;   in Loop: Header=BB33_26 Depth=2
	s_mov_b64 s[36:37], 0
.LBB33_32:                              ;   in Loop: Header=BB33_26 Depth=2
	s_andn2_b64 vcc, exec, s[36:37]
	s_cbranch_vccnz .LBB33_34
; %bb.33:                               ;   in Loop: Header=BB33_26 Depth=2
	s_add_i32 s42, s34, 1
	s_mov_b32 s41, s39
	s_mov_b32 s40, s38
.LBB33_34:                              ;   in Loop: Header=BB33_26 Depth=2
	s_cmp_le_i32 s42, s31
	s_cselect_b64 s[36:37], -1, 0
	s_cmp_le_i32 s35, s30
	s_cselect_b64 s[34:35], -1, 0
	s_and_b64 s[34:35], s[36:37], s[34:35]
	s_and_b64 vcc, exec, s[34:35]
	s_cbranch_vccz .LBB33_36
; %bb.35:                               ;   in Loop: Header=BB33_26 Depth=2
	s_mov_b32 s38, s40
	s_mov_b32 s34, s42
	;; [unrolled: 1-line block ×3, first 2 shown]
	s_branch .LBB33_26
.LBB33_36:                              ;   in Loop: Header=BB33_10 Depth=1
	s_add_u32 s28, s10, s28
	s_addc_u32 s29, s11, s29
	s_waitcnt lgkmcnt(0)
.LBB33_37:                              ;   Parent Loop BB33_10 Depth=1
                                        ; =>  This Inner Loop Header: Depth=2
	global_load_dword v4, v2, s[28:29] sc1
	s_waitcnt vmcnt(0)
	v_cmp_eq_u32_e32 vcc, 0, v4
	s_cbranch_vccnz .LBB33_37
; %bb.38:                               ;   in Loop: Header=BB33_10 Depth=1
	buffer_inv sc1
	s_and_saveexec_b64 s[28:29], s[0:1]
	s_cbranch_execz .LBB33_51
; %bb.39:                               ;   in Loop: Header=BB33_10 Depth=1
	s_mul_i32 s41, s31, s44
	v_add_u32_e32 v4, s41, v0
	v_mul_lo_u32 v6, v4, s44
	s_mov_b64 s[30:31], 0
	v_mov_b32_e32 v7, v18
	v_mov_b32_e32 v8, v1
	s_branch .LBB33_41
.LBB33_40:                              ;   in Loop: Header=BB33_41 Depth=2
	s_or_b64 exec, exec, s[36:37]
	v_add_u32_e32 v8, 4, v8
	v_cmp_le_i32_e32 vcc, s44, v8
	s_waitcnt vmcnt(0)
	ds_write_b64 v7, v[10:11]
	s_or_b64 s[30:31], vcc, s[30:31]
	v_add_u32_e32 v7, 32, v7
	s_andn2_b64 exec, exec, s[30:31]
	s_cbranch_execz .LBB33_51
.LBB33_41:                              ;   Parent Loop BB33_10 Depth=1
                                        ; =>  This Inner Loop Header: Depth=2
	s_and_b64 vcc, exec, s[22:23]
	s_cbranch_vccz .LBB33_48
; %bb.42:                               ;   in Loop: Header=BB33_41 Depth=2
	s_mov_b64 s[36:37], 0
	s_mov_b64 s[34:35], 0
                                        ; implicit-def: $vgpr4
	s_and_saveexec_b64 s[38:39], s[2:3]
	s_xor_b64 s[38:39], exec, s[38:39]
; %bb.43:                               ;   in Loop: Header=BB33_41 Depth=2
	v_add_u32_e32 v4, s41, v8
	s_mov_b64 s[34:35], exec
	v_mad_u64_u32 v[4:5], s[42:43], v4, s44, v[0:1]
; %bb.44:                               ;   in Loop: Header=BB33_41 Depth=2
	s_or_b64 exec, exec, s[38:39]
	s_and_b64 vcc, exec, s[36:37]
	s_cbranch_vccz .LBB33_49
.LBB33_45:                              ;   in Loop: Header=BB33_41 Depth=2
                                        ; implicit-def: $vgpr4
	s_and_saveexec_b64 s[36:37], s[2:3]
; %bb.46:                               ;   in Loop: Header=BB33_41 Depth=2
	v_add_u32_e32 v4, v6, v8
	s_or_b64 s[34:35], s[34:35], exec
; %bb.47:                               ;   in Loop: Header=BB33_41 Depth=2
	s_or_b64 exec, exec, s[36:37]
	v_mov_b64_e32 v[10:11], 0
	s_and_saveexec_b64 s[36:37], s[34:35]
	s_cbranch_execz .LBB33_40
	s_branch .LBB33_50
.LBB33_48:                              ;   in Loop: Header=BB33_41 Depth=2
	s_mov_b64 s[34:35], 0
                                        ; implicit-def: $vgpr4
	s_cbranch_execnz .LBB33_45
.LBB33_49:                              ;   in Loop: Header=BB33_41 Depth=2
	v_mov_b64_e32 v[10:11], 0
	s_and_saveexec_b64 s[36:37], s[34:35]
	s_cbranch_execz .LBB33_40
.LBB33_50:                              ;   in Loop: Header=BB33_41 Depth=2
	v_ashrrev_i32_e32 v5, 31, v4
	v_lshl_add_u64 v[4:5], v[4:5], 3, s[20:21]
	global_load_dwordx2 v[10:11], v[4:5], off
	s_branch .LBB33_40
.LBB33_51:                              ;   in Loop: Header=BB33_10 Depth=1
	s_or_b64 exec, exec, s[28:29]
	s_cmp_lt_i32 s40, 2
	s_cbranch_scc1 .LBB33_67
; %bb.52:                               ;   in Loop: Header=BB33_10 Depth=1
	s_add_i32 s36, s40, -2
	s_mov_b32 s37, 0
	s_branch .LBB33_54
.LBB33_53:                              ;   in Loop: Header=BB33_54 Depth=2
	s_or_b64 exec, exec, s[28:29]
	s_add_i32 s28, s37, 1
	s_cmp_eq_u32 s37, s36
	s_mov_b32 s37, s28
	s_cbranch_scc1 .LBB33_67
.LBB33_54:                              ;   Parent Loop BB33_10 Depth=1
                                        ; =>  This Loop Header: Depth=2
                                        ;       Child Loop BB33_56 Depth 3
	s_and_saveexec_b64 s[28:29], s[0:1]
	s_cbranch_execz .LBB33_53
; %bb.55:                               ;   in Loop: Header=BB33_54 Depth=2
	s_lshl_b32 s30, s37, 2
	v_mov_b32_e32 v4, s30
	ds_read2st64_b32 v[4:5], v4 offset0:34 offset1:35
	s_mov_b64 s[30:31], 0
	v_mov_b32_e32 v30, v1
	s_waitcnt lgkmcnt(0)
	v_add_u32_e32 v26, v5, v17
	v_add_u32_e32 v27, v0, v5
	;; [unrolled: 1-line block ×4, first 2 shown]
.LBB33_56:                              ;   Parent Loop BB33_10 Depth=1
                                        ;     Parent Loop BB33_54 Depth=2
                                        ; =>    This Inner Loop Header: Depth=3
	v_mov_b64_e32 v[8:9], 0
	s_mov_b32 s38, 0
	v_mov_b32_e32 v4, v28
	v_mov_b32_e32 v6, v27
	s_and_b64 vcc, exec, s[22:23]
	s_cbranch_vccnz .LBB33_59
	s_branch .LBB33_58
.LBB33_57:                              ;   in Loop: Header=BB33_56 Depth=3
	v_mov_b64_e32 v[8:9], v[10:11]
	s_and_b64 vcc, exec, s[22:23]
	s_cbranch_vccnz .LBB33_59
.LBB33_58:                              ;   in Loop: Header=BB33_56 Depth=3
                                        ; implicit-def: $vgpr10_vgpr11
	s_cbranch_execz .LBB33_65
	s_branch .LBB33_62
.LBB33_59:                              ;   in Loop: Header=BB33_56 Depth=3
	v_ashrrev_i32_e32 v5, 31, v4
	v_lshl_add_u64 v[10:11], v[4:5], 3, s[20:21]
	global_load_dwordx2 v[10:11], v[10:11], off
	v_mov_b64_e32 v[12:13], 0
	s_and_saveexec_b64 s[34:35], s[2:3]
	s_cbranch_execz .LBB33_61
; %bb.60:                               ;   in Loop: Header=BB33_56 Depth=3
	v_ashrrev_i32_e32 v7, 31, v6
	v_lshl_add_u64 v[12:13], v[6:7], 3, s[20:21]
	global_load_dwordx2 v[12:13], v[12:13], off
.LBB33_61:                              ;   in Loop: Header=BB33_56 Depth=3
	s_or_b64 exec, exec, s[34:35]
	s_waitcnt vmcnt(0)
	v_fma_f64 v[10:11], v[10:11], v[12:13], v[8:9]
	s_branch .LBB33_65
.LBB33_62:                              ;   in Loop: Header=BB33_56 Depth=3
	v_add_u32_e32 v10, s38, v29
	v_ashrrev_i32_e32 v11, 31, v10
	v_lshl_add_u64 v[10:11], v[10:11], 3, s[20:21]
	global_load_dwordx2 v[10:11], v[10:11], off
	v_mov_b64_e32 v[12:13], 0
	s_and_saveexec_b64 s[34:35], s[2:3]
	s_cbranch_execz .LBB33_64
; %bb.63:                               ;   in Loop: Header=BB33_56 Depth=3
	v_add_u32_e32 v12, s38, v26
	v_ashrrev_i32_e32 v13, 31, v12
	v_lshl_add_u64 v[12:13], v[12:13], 3, s[20:21]
	global_load_dwordx2 v[12:13], v[12:13], off
.LBB33_64:                              ;   in Loop: Header=BB33_56 Depth=3
	s_or_b64 exec, exec, s[34:35]
	s_waitcnt vmcnt(0)
	v_fmac_f64_e32 v[8:9], v[10:11], v[12:13]
	v_mov_b64_e32 v[10:11], v[8:9]
.LBB33_65:                              ;   in Loop: Header=BB33_56 Depth=3
	s_add_i32 s38, s38, 1
	v_add_u32_e32 v6, s44, v6
	s_cmp_eq_u32 s44, s38
	v_add_u32_e32 v4, s44, v4
	s_cbranch_scc0 .LBB33_57
; %bb.66:                               ;   in Loop: Header=BB33_56 Depth=3
	v_lshl_add_u32 v6, v30, 3, v16
	ds_read_b64 v[4:5], v6
	v_add_u32_e32 v30, 4, v30
	v_cmp_le_i32_e32 vcc, s44, v30
	v_add_u32_e32 v28, 4, v28
	s_or_b64 s[30:31], vcc, s[30:31]
	s_waitcnt lgkmcnt(0)
	v_add_f64 v[4:5], v[10:11], v[4:5]
	v_add_u32_e32 v29, s48, v29
	ds_write_b64 v6, v[4:5]
	s_andn2_b64 exec, exec, s[30:31]
	s_cbranch_execnz .LBB33_56
	s_branch .LBB33_53
.LBB33_67:                              ;   in Loop: Header=BB33_10 Depth=1
	s_andn2_b64 vcc, exec, s[24:25]
	s_waitcnt lgkmcnt(0)
	s_cbranch_vccnz .LBB33_79
; %bb.68:                               ;   in Loop: Header=BB33_10 Depth=1
	s_mov_b32 s34, 0
	v_mov_b32_e32 v13, s49
	v_mov_b32_e32 v10, v23
	s_mov_b32 s35, 0
	s_branch .LBB33_70
.LBB33_69:                              ;   in Loop: Header=BB33_70 Depth=2
	s_or_b64 exec, exec, s[28:29]
	s_add_i32 s35, s35, 1
	s_addk_i32 s34, 0x88
	s_cmp_eq_u32 s35, s44
	v_add_u32_e32 v10, 8, v10
	s_waitcnt lgkmcnt(0)
	s_cbranch_scc1 .LBB33_79
.LBB33_70:                              ;   Parent Loop BB33_10 Depth=1
                                        ; =>  This Loop Header: Depth=2
                                        ;       Child Loop BB33_75 Depth 3
                                        ;       Child Loop BB33_78 Depth 3
	s_lshl_b32 s28, s35, 3
	s_mul_i32 s29, s35, 0x88
	s_add_i32 s29, s29, s28
	v_mov_b32_e32 v4, s29
	ds_read_b64 v[4:5], v4
	v_add_u32_e32 v11, s28, v15
	ds_read_b64 v[6:7], v11
	s_waitcnt lgkmcnt(1)
	v_cmp_neq_f64_e32 vcc, 0, v[4:5]
	s_nop 1
	v_cndmask_b32_e32 v5, v25, v5, vcc
	s_nor_b64 s[30:31], vcc, s[4:5]
	v_cndmask_b32_e32 v4, 0, v4, vcc
	s_and_saveexec_b64 s[28:29], s[30:31]
	s_cbranch_execz .LBB33_74
; %bb.71:                               ;   in Loop: Header=BB33_70 Depth=2
	v_mbcnt_lo_u32_b32 v4, exec_lo, 0
	v_mbcnt_hi_u32_b32 v4, exec_hi, v4
	v_cmp_eq_u32_e32 vcc, 0, v4
	s_and_saveexec_b64 s[30:31], vcc
	s_cbranch_execz .LBB33_73
; %bb.72:                               ;   in Loop: Header=BB33_70 Depth=2
	global_atomic_smin v2, v13, s[14:15]
.LBB33_73:                              ;   in Loop: Header=BB33_70 Depth=2
	s_or_b64 exec, exec, s[30:31]
	v_mov_b64_e32 v[4:5], 1.0
.LBB33_74:                              ;   in Loop: Header=BB33_70 Depth=2
	s_or_b64 exec, exec, s[28:29]
	v_lshl_add_u32 v8, s35, 3, v16
	ds_read_b64 v[8:9], v8
	s_cmp_eq_u32 s35, 0
	v_mov_b32_e32 v12, v15
	s_mov_b32 s28, s34
	s_mov_b32 s29, s35
	s_cbranch_scc1 .LBB33_76
.LBB33_75:                              ;   Parent Loop BB33_10 Depth=1
                                        ;     Parent Loop BB33_70 Depth=2
                                        ; =>    This Inner Loop Header: Depth=3
	v_mov_b32_e32 v28, s28
	ds_read_b64 v[26:27], v12
	ds_read_b64 v[28:29], v28
	s_add_i32 s29, s29, -1
	s_add_i32 s28, s28, 8
	v_add_u32_e32 v12, 8, v12
	s_cmp_eq_u32 s29, 0
	s_waitcnt lgkmcnt(0)
	v_fmac_f64_e32 v[8:9], v[28:29], v[26:27]
	s_cbranch_scc0 .LBB33_75
.LBB33_76:                              ;   in Loop: Header=BB33_70 Depth=2
	s_waitcnt lgkmcnt(0)
	v_add_f64 v[6:7], v[6:7], -v[8:9]
	v_div_scale_f64 v[8:9], s[28:29], v[4:5], v[4:5], v[6:7]
	v_rcp_f64_e32 v[26:27], v[8:9]
	v_div_scale_f64 v[28:29], vcc, v[6:7], v[4:5], v[6:7]
	v_fma_f64 v[30:31], -v[8:9], v[26:27], 1.0
	v_fmac_f64_e32 v[26:27], v[26:27], v[30:31]
	v_fma_f64 v[30:31], -v[8:9], v[26:27], 1.0
	v_fmac_f64_e32 v[26:27], v[26:27], v[30:31]
	v_mul_f64 v[30:31], v[28:29], v[26:27]
	v_fma_f64 v[8:9], -v[8:9], v[30:31], v[28:29]
	v_div_fmas_f64 v[8:9], v[8:9], v[26:27], v[30:31]
	v_div_fixup_f64 v[4:5], v[8:9], v[4:5], v[6:7]
	ds_write_b64 v11, v[4:5]
	s_waitcnt lgkmcnt(0)
	s_and_saveexec_b64 s[28:29], s[0:1]
	s_cbranch_execz .LBB33_69
; %bb.77:                               ;   in Loop: Header=BB33_70 Depth=2
	s_mov_b64 s[30:31], 0
	v_mov_b32_e32 v6, v10
	v_mov_b32_e32 v7, v22
	;; [unrolled: 1-line block ×3, first 2 shown]
.LBB33_78:                              ;   Parent Loop BB33_10 Depth=1
                                        ;     Parent Loop BB33_70 Depth=2
                                        ; =>    This Inner Loop Header: Depth=3
	ds_read_b64 v[26:27], v6
	ds_read_b64 v[28:29], v7
	v_add_u32_e32 v8, 4, v8
	v_cmp_le_i32_e32 vcc, s44, v8
	s_or_b64 s[30:31], vcc, s[30:31]
	v_add_u32_e32 v6, 0x220, v6
	s_waitcnt lgkmcnt(0)
	v_fmac_f64_e32 v[28:29], v[4:5], v[26:27]
	ds_write_b64 v7, v[28:29]
	v_add_u32_e32 v7, 32, v7
	s_andn2_b64 exec, exec, s[30:31]
	s_cbranch_execnz .LBB33_78
	s_branch .LBB33_69
.LBB33_79:                              ;   in Loop: Header=BB33_10 Depth=1
	s_and_saveexec_b64 s[28:29], s[0:1]
	s_cbranch_execz .LBB33_9
; %bb.80:                               ;   in Loop: Header=BB33_10 Depth=1
	s_mov_b64 s[30:31], 0
	v_mov_b32_e32 v8, v24
	v_mov_b32_e32 v9, v1
	s_branch .LBB33_84
.LBB33_81:                              ;   in Loop: Header=BB33_84 Depth=2
	v_add_u32_e32 v6, v21, v9
.LBB33_82:                              ;   in Loop: Header=BB33_84 Depth=2
	v_ashrrev_i32_e32 v7, 31, v6
	v_lshl_add_u64 v[6:7], v[6:7], 3, s[20:21]
	s_waitcnt lgkmcnt(0)
	global_store_dwordx2 v[6:7], v[4:5], off
.LBB33_83:                              ;   in Loop: Header=BB33_84 Depth=2
	s_or_b64 exec, exec, s[34:35]
	v_add_u32_e32 v9, 4, v9
	v_cmp_le_i32_e32 vcc, s44, v9
	s_or_b64 s[30:31], vcc, s[30:31]
	v_add_u32_e32 v8, 32, v8
	s_andn2_b64 exec, exec, s[30:31]
	s_cbranch_execz .LBB33_9
.LBB33_84:                              ;   Parent Loop BB33_10 Depth=1
                                        ; =>  This Inner Loop Header: Depth=2
	s_and_saveexec_b64 s[34:35], s[2:3]
	s_cbranch_execz .LBB33_83
; %bb.85:                               ;   in Loop: Header=BB33_84 Depth=2
	ds_read_b64 v[4:5], v8
	s_and_b64 vcc, exec, s[22:23]
	s_cbranch_vccz .LBB33_87
; %bb.86:                               ;   in Loop: Header=BB33_84 Depth=2
	v_add_u32_e32 v6, s27, v9
	v_mad_u64_u32 v[6:7], s[36:37], v6, s44, v[0:1]
	s_cbranch_execnz .LBB33_82
	s_branch .LBB33_81
.LBB33_87:                              ;   in Loop: Header=BB33_84 Depth=2
                                        ; implicit-def: $vgpr6
	s_branch .LBB33_81
.LBB33_88:                              ;   in Loop: Header=BB33_10 Depth=1
                                        ; implicit-def: $sgpr26
                                        ; implicit-def: $vgpr21
	s_cbranch_execz .LBB33_10
.LBB33_89:
	v_cmp_gt_i32_e64 s[0:1], s44, v1
	s_and_saveexec_b64 s[4:5], s[0:1]
	s_cbranch_execz .LBB33_102
; %bb.90:
	s_mul_i32 s26, s33, s44
	v_add_u32_e32 v2, s26, v0
	s_cmp_lg_u32 s45, 0
	v_mul_lo_u32 v4, v2, s44
	v_mul_u32_u24_e32 v2, 0x88, v0
	s_movk_i32 s16, 0x1100
	s_cselect_b64 s[8:9], -1, 0
	v_cmp_gt_i32_e64 s[2:3], s44, v0
	v_add3_u32 v5, v2, v14, s16
	s_mov_b64 s[16:17], 0
	v_mov_b32_e32 v6, v1
	s_branch .LBB33_92
.LBB33_91:                              ;   in Loop: Header=BB33_92 Depth=1
	s_or_b64 exec, exec, s[22:23]
	v_add_u32_e32 v6, 4, v6
	v_cmp_le_i32_e32 vcc, s44, v6
	s_waitcnt vmcnt(0)
	ds_write_b64 v5, v[8:9]
	s_or_b64 s[16:17], vcc, s[16:17]
	v_add_u32_e32 v5, 32, v5
	s_andn2_b64 exec, exec, s[16:17]
	s_cbranch_execz .LBB33_102
.LBB33_92:                              ; =>This Inner Loop Header: Depth=1
	s_and_b64 vcc, exec, s[8:9]
	s_cbranch_vccz .LBB33_99
; %bb.93:                               ;   in Loop: Header=BB33_92 Depth=1
	s_mov_b64 s[22:23], 0
	s_mov_b64 s[18:19], 0
                                        ; implicit-def: $vgpr2
	s_and_saveexec_b64 s[24:25], s[2:3]
	s_xor_b64 s[24:25], exec, s[24:25]
; %bb.94:                               ;   in Loop: Header=BB33_92 Depth=1
	v_add_u32_e32 v2, s26, v6
	s_mov_b64 s[18:19], exec
	v_mad_u64_u32 v[2:3], s[28:29], v2, s44, v[0:1]
; %bb.95:                               ;   in Loop: Header=BB33_92 Depth=1
	s_or_b64 exec, exec, s[24:25]
	s_and_b64 vcc, exec, s[22:23]
	s_cbranch_vccz .LBB33_100
.LBB33_96:                              ;   in Loop: Header=BB33_92 Depth=1
                                        ; implicit-def: $vgpr2
	s_and_saveexec_b64 s[22:23], s[2:3]
; %bb.97:                               ;   in Loop: Header=BB33_92 Depth=1
	v_add_u32_e32 v2, v4, v6
	s_or_b64 s[18:19], s[18:19], exec
; %bb.98:                               ;   in Loop: Header=BB33_92 Depth=1
	s_or_b64 exec, exec, s[22:23]
	v_mov_b64_e32 v[8:9], 0
	s_and_saveexec_b64 s[22:23], s[18:19]
	s_cbranch_execz .LBB33_91
	s_branch .LBB33_101
.LBB33_99:                              ;   in Loop: Header=BB33_92 Depth=1
	s_mov_b64 s[18:19], 0
                                        ; implicit-def: $vgpr2
	s_cbranch_execnz .LBB33_96
.LBB33_100:                             ;   in Loop: Header=BB33_92 Depth=1
	v_mov_b64_e32 v[8:9], 0
	s_and_saveexec_b64 s[22:23], s[18:19]
	s_cbranch_execz .LBB33_91
.LBB33_101:                             ;   in Loop: Header=BB33_92 Depth=1
	v_ashrrev_i32_e32 v3, 31, v2
	v_lshl_add_u64 v[2:3], v[2:3], 3, s[20:21]
	global_load_dwordx2 v[8:9], v[2:3], off
	s_branch .LBB33_91
.LBB33_102:
	s_or_b64 exec, exec, s[4:5]
	s_cmp_lt_i32 s44, 1
	s_waitcnt lgkmcnt(0)
	s_cbranch_scc1 .LBB33_115
; %bb.103:
	v_or_b32_e32 v4, v1, v0
	s_movk_i32 s4, 0x88
	v_mov_b32_e32 v2, 0x1100
	v_mul_u32_u24_e32 v3, 0x88, v0
	v_cmp_ne_u32_e64 s[2:3], 0, v4
	s_movk_i32 s5, 0x1980
	v_mov_b32_e32 v4, 0x1980
	v_mad_u32_u24 v6, v0, s4, v2
	s_add_i32 s8, s12, s13
	v_mad_u32_u24 v7, v0, s4, v4
	v_lshlrev_b32_e32 v4, 3, v0
	v_add3_u32 v10, v3, v14, s5
	v_mad_u32_u24 v11, v1, s4, v2
	s_mov_b32 s4, 0
	s_mov_b32 s18, 0
	v_add_u32_e32 v8, v6, v4
	v_add_u32_e32 v9, v7, v4
	s_brev_b32 s5, 8
	v_mov_b32_e32 v12, 0x260
	v_mov_b32_e32 v13, 0x3ff00000
	;; [unrolled: 1-line block ×6, first 2 shown]
	s_branch .LBB33_105
.LBB33_104:                             ;   in Loop: Header=BB33_105 Depth=1
	s_or_b64 exec, exec, s[8:9]
	s_add_i32 s18, s18, 1
	s_cmp_eq_u32 s18, s44
	v_add_u32_e32 v11, 8, v11
	s_waitcnt lgkmcnt(0)
	s_cbranch_scc1 .LBB33_115
.LBB33_105:                             ; =>This Loop Header: Depth=1
                                        ;     Child Loop BB33_114 Depth 2
	v_cmp_eq_u32_e32 vcc, s18, v0
	s_and_saveexec_b64 s[8:9], vcc
	s_cbranch_execz .LBB33_107
; %bb.106:                              ;   in Loop: Header=BB33_105 Depth=1
	ds_read_b64 v[2:3], v8
	ds_read_b64 v[4:5], v9
	s_waitcnt lgkmcnt(0)
	v_add_f64 v[2:3], v[2:3], -v[4:5]
	v_xor_b32_e32 v4, 0x80000000, v3
	v_cmp_gt_f64_e32 vcc, 0, v[2:3]
	s_nop 1
	v_cndmask_b32_e32 v3, v3, v4, vcc
	v_cmp_gt_f64_e32 vcc, s[4:5], v[2:3]
	s_nop 1
	v_cndmask_b32_e32 v4, 0, v16, vcc
	v_ldexp_f64 v[2:3], v[2:3], v4
	v_rsq_f64_e32 v[4:5], v[2:3]
	v_cndmask_b32_e32 v18, 0, v17, vcc
	v_cmp_class_f64_e32 vcc, v[2:3], v12
	v_mul_f64 v[20:21], v[2:3], v[4:5]
	v_mul_f64 v[4:5], v[4:5], 0.5
	v_fma_f64 v[22:23], -v[4:5], v[20:21], 0.5
	v_fmac_f64_e32 v[20:21], v[20:21], v[22:23]
	v_fmac_f64_e32 v[4:5], v[4:5], v[22:23]
	v_fma_f64 v[22:23], -v[20:21], v[20:21], v[2:3]
	v_fmac_f64_e32 v[20:21], v[22:23], v[4:5]
	v_fma_f64 v[22:23], -v[20:21], v[20:21], v[2:3]
	v_fmac_f64_e32 v[20:21], v[22:23], v[4:5]
	v_ldexp_f64 v[4:5], v[20:21], v18
	v_cndmask_b32_e32 v3, v5, v3, vcc
	v_cndmask_b32_e32 v2, v4, v2, vcc
	ds_write_b64 v8, v[2:3]
.LBB33_107:                             ;   in Loop: Header=BB33_105 Depth=1
	s_or_b64 exec, exec, s[8:9]
	s_lshl_b32 s8, s18, 3
	s_mul_i32 s9, s18, 0x88
	s_add_i32 s9, s9, s8
	v_mov_b32_e32 v2, s9
	s_waitcnt lgkmcnt(0)
	ds_read_b64 v[2:3], v2 offset:4352
	v_add_u32_e32 v18, s8, v6
	ds_read_b64 v[4:5], v18
	s_waitcnt lgkmcnt(1)
	v_cmp_neq_f64_e32 vcc, 0, v[2:3]
	s_nop 1
	v_cndmask_b32_e32 v3, v13, v3, vcc
	s_nor_b64 s[16:17], vcc, s[2:3]
	v_cndmask_b32_e32 v2, 0, v2, vcc
	s_and_saveexec_b64 s[8:9], s[16:17]
	s_cbranch_execz .LBB33_111
; %bb.108:                              ;   in Loop: Header=BB33_105 Depth=1
	v_mbcnt_lo_u32_b32 v2, exec_lo, 0
	v_mbcnt_hi_u32_b32 v2, exec_hi, v2
	v_cmp_eq_u32_e32 vcc, 0, v2
	s_and_saveexec_b64 s[16:17], vcc
	s_cbranch_execz .LBB33_110
; %bb.109:                              ;   in Loop: Header=BB33_105 Depth=1
	global_atomic_smin v15, v19, s[14:15]
.LBB33_110:                             ;   in Loop: Header=BB33_105 Depth=1
	s_or_b64 exec, exec, s[16:17]
	v_mov_b64_e32 v[2:3], 1.0
.LBB33_111:                             ;   in Loop: Header=BB33_105 Depth=1
	s_or_b64 exec, exec, s[8:9]
	v_cmp_lt_u32_e32 vcc, s18, v0
	s_and_saveexec_b64 s[8:9], vcc
	s_cbranch_execz .LBB33_104
; %bb.112:                              ;   in Loop: Header=BB33_105 Depth=1
	v_lshl_add_u32 v20, s18, 3, v7
	ds_read_b64 v[20:21], v20
	s_waitcnt lgkmcnt(0)
	v_add_f64 v[4:5], v[4:5], -v[20:21]
	v_div_scale_f64 v[20:21], s[16:17], v[2:3], v[2:3], v[4:5]
	v_rcp_f64_e32 v[22:23], v[20:21]
	v_div_scale_f64 v[24:25], vcc, v[4:5], v[2:3], v[4:5]
	v_fma_f64 v[26:27], -v[20:21], v[22:23], 1.0
	v_fmac_f64_e32 v[22:23], v[22:23], v[26:27]
	v_fma_f64 v[26:27], -v[20:21], v[22:23], 1.0
	v_fmac_f64_e32 v[22:23], v[22:23], v[26:27]
	v_mul_f64 v[26:27], v[24:25], v[22:23]
	v_fma_f64 v[20:21], -v[20:21], v[26:27], v[24:25]
	v_div_fmas_f64 v[20:21], v[20:21], v[22:23], v[26:27]
	v_div_fixup_f64 v[2:3], v[20:21], v[2:3], v[4:5]
	ds_write_b64 v18, v[2:3]
	s_waitcnt lgkmcnt(0)
	s_and_b64 exec, exec, s[0:1]
	s_cbranch_execz .LBB33_104
; %bb.113:                              ;   in Loop: Header=BB33_105 Depth=1
	s_mov_b64 s[16:17], 0
	v_mov_b32_e32 v4, v11
	v_mov_b32_e32 v5, v10
	;; [unrolled: 1-line block ×3, first 2 shown]
.LBB33_114:                             ;   Parent Loop BB33_105 Depth=1
                                        ; =>  This Inner Loop Header: Depth=2
	ds_read_b64 v[20:21], v4
	ds_read_b64 v[22:23], v5
	v_add_u32_e32 v18, 4, v18
	v_cmp_le_i32_e32 vcc, s44, v18
	s_or_b64 s[16:17], vcc, s[16:17]
	v_add_u32_e32 v4, 0x220, v4
	s_waitcnt lgkmcnt(0)
	v_fmac_f64_e32 v[22:23], v[2:3], v[20:21]
	ds_write_b64 v5, v[22:23]
	v_add_u32_e32 v5, 32, v5
	s_andn2_b64 exec, exec, s[16:17]
	s_cbranch_execnz .LBB33_114
	s_branch .LBB33_104
.LBB33_115:
	s_and_saveexec_b64 s[2:3], s[0:1]
	s_cbranch_execz .LBB33_124
; %bb.116:
	s_mul_i32 s33, s33, s44
	v_add_u32_e32 v2, s33, v0
	s_cmp_lg_u32 s45, 0
	v_mul_lo_u32 v6, v2, s44
	v_mul_u32_u24_e32 v2, 0x88, v0
	s_movk_i32 s8, 0x1100
	v_cmp_gt_i32_e64 s[0:1], s44, v0
	s_cselect_b64 s[4:5], -1, 0
	v_add3_u32 v7, v2, v14, s8
	s_mov_b64 s[8:9], 0
	v_mov_b32_e32 v8, v1
	s_branch .LBB33_120
.LBB33_117:                             ;   in Loop: Header=BB33_120 Depth=1
	v_add_u32_e32 v4, v6, v8
.LBB33_118:                             ;   in Loop: Header=BB33_120 Depth=1
	v_ashrrev_i32_e32 v5, 31, v4
	v_lshl_add_u64 v[4:5], v[4:5], 3, s[20:21]
	s_waitcnt lgkmcnt(0)
	global_store_dwordx2 v[4:5], v[2:3], off
.LBB33_119:                             ;   in Loop: Header=BB33_120 Depth=1
	s_or_b64 exec, exec, s[16:17]
	v_add_u32_e32 v8, 4, v8
	v_cmp_le_i32_e32 vcc, s44, v8
	s_or_b64 s[8:9], vcc, s[8:9]
	v_add_u32_e32 v7, 32, v7
	s_andn2_b64 exec, exec, s[8:9]
	s_cbranch_execz .LBB33_124
.LBB33_120:                             ; =>This Inner Loop Header: Depth=1
	s_and_saveexec_b64 s[16:17], s[0:1]
	s_cbranch_execz .LBB33_119
; %bb.121:                              ;   in Loop: Header=BB33_120 Depth=1
	ds_read_b64 v[2:3], v7
	s_and_b64 vcc, exec, s[4:5]
	s_cbranch_vccz .LBB33_123
; %bb.122:                              ;   in Loop: Header=BB33_120 Depth=1
	v_add_u32_e32 v4, s33, v8
	v_mad_u64_u32 v[4:5], s[18:19], v4, s44, v[0:1]
	s_cbranch_execnz .LBB33_118
	s_branch .LBB33_117
.LBB33_123:                             ;   in Loop: Header=BB33_120 Depth=1
                                        ; implicit-def: $vgpr4
	s_branch .LBB33_117
.LBB33_124:
	s_or_b64 exec, exec, s[2:3]
	v_or_b32_e32 v2, v1, v0
	v_cmp_eq_u32_e32 vcc, 0, v2
	s_and_saveexec_b64 s[0:1], vcc
	s_cbranch_execz .LBB33_126
; %bb.125:
	s_add_u32 s2, s10, s6
	s_addc_u32 s3, s11, s7
	v_mov_b32_e32 v2, 0
	v_mov_b32_e32 v3, 1
	buffer_wbl2 sc1
	s_waitcnt vmcnt(0)
	global_store_dword v2, v3, s[2:3] sc1
.LBB33_126:
	s_or_b64 exec, exec, s[0:1]
.LBB33_127:
	s_endpgm
.LBB33_128:
	s_cbranch_execz .LBB33_127
; %bb.129:
	v_or_b32_e32 v0, v1, v0
	v_cmp_eq_u32_e32 vcc, 0, v0
	s_and_saveexec_b64 s[0:1], vcc
	s_cbranch_execz .LBB33_127
; %bb.130:
	v_mbcnt_lo_u32_b32 v0, exec_lo, 0
	v_mbcnt_hi_u32_b32 v0, exec_hi, v0
	v_cmp_eq_u32_e32 vcc, 0, v0
	s_and_saveexec_b64 s[0:1], vcc
	s_cbranch_execz .LBB33_132
; %bb.131:
	s_add_i32 s2, s12, s13
	v_mov_b32_e32 v0, 0
	v_mov_b32_e32 v1, s2
	global_atomic_smin v0, v1, s[14:15]
.LBB33_132:
	s_or_b64 exec, exec, s[0:1]
	s_add_u32 s0, s10, s6
	s_addc_u32 s1, s11, s7
	v_mov_b32_e32 v0, 0
	v_mov_b32_e32 v1, 1
	buffer_wbl2 sc1
	s_waitcnt vmcnt(0)
	global_store_dword v0, v1, s[0:1] sc1
	s_endpgm
	.section	.rodata,"a",@progbits
	.p2align	6, 0x0
	.amdhsa_kernel _ZN9rocsparseL18bsric0_9_16_kernelILi64ELi64ELi16EdEEv20rocsparse_direction_iiPKiS3_PT2_S3_PiS3_S6_21rocsparse_index_base_
		.amdhsa_group_segment_fixed_size 9472
		.amdhsa_private_segment_fixed_size 0
		.amdhsa_kernarg_size 76
		.amdhsa_user_sgpr_count 2
		.amdhsa_user_sgpr_dispatch_ptr 0
		.amdhsa_user_sgpr_queue_ptr 0
		.amdhsa_user_sgpr_kernarg_segment_ptr 1
		.amdhsa_user_sgpr_dispatch_id 0
		.amdhsa_user_sgpr_kernarg_preload_length 0
		.amdhsa_user_sgpr_kernarg_preload_offset 0
		.amdhsa_user_sgpr_private_segment_size 0
		.amdhsa_uses_dynamic_stack 0
		.amdhsa_enable_private_segment 0
		.amdhsa_system_sgpr_workgroup_id_x 1
		.amdhsa_system_sgpr_workgroup_id_y 0
		.amdhsa_system_sgpr_workgroup_id_z 0
		.amdhsa_system_sgpr_workgroup_info 0
		.amdhsa_system_vgpr_workitem_id 1
		.amdhsa_next_free_vgpr 81
		.amdhsa_next_free_sgpr 96
		.amdhsa_accum_offset 32
		.amdhsa_reserve_vcc 1
		.amdhsa_float_round_mode_32 0
		.amdhsa_float_round_mode_16_64 0
		.amdhsa_float_denorm_mode_32 3
		.amdhsa_float_denorm_mode_16_64 3
		.amdhsa_dx10_clamp 1
		.amdhsa_ieee_mode 1
		.amdhsa_fp16_overflow 0
		.amdhsa_tg_split 0
		.amdhsa_exception_fp_ieee_invalid_op 0
		.amdhsa_exception_fp_denorm_src 0
		.amdhsa_exception_fp_ieee_div_zero 0
		.amdhsa_exception_fp_ieee_overflow 0
		.amdhsa_exception_fp_ieee_underflow 0
		.amdhsa_exception_fp_ieee_inexact 0
		.amdhsa_exception_int_div_zero 0
	.end_amdhsa_kernel
	.section	.text._ZN9rocsparseL18bsric0_9_16_kernelILi64ELi64ELi16EdEEv20rocsparse_direction_iiPKiS3_PT2_S3_PiS3_S6_21rocsparse_index_base_,"axG",@progbits,_ZN9rocsparseL18bsric0_9_16_kernelILi64ELi64ELi16EdEEv20rocsparse_direction_iiPKiS3_PT2_S3_PiS3_S6_21rocsparse_index_base_,comdat
.Lfunc_end33:
	.size	_ZN9rocsparseL18bsric0_9_16_kernelILi64ELi64ELi16EdEEv20rocsparse_direction_iiPKiS3_PT2_S3_PiS3_S6_21rocsparse_index_base_, .Lfunc_end33-_ZN9rocsparseL18bsric0_9_16_kernelILi64ELi64ELi16EdEEv20rocsparse_direction_iiPKiS3_PT2_S3_PiS3_S6_21rocsparse_index_base_
                                        ; -- End function
	.set _ZN9rocsparseL18bsric0_9_16_kernelILi64ELi64ELi16EdEEv20rocsparse_direction_iiPKiS3_PT2_S3_PiS3_S6_21rocsparse_index_base_.num_vgpr, 32
	.set _ZN9rocsparseL18bsric0_9_16_kernelILi64ELi64ELi16EdEEv20rocsparse_direction_iiPKiS3_PT2_S3_PiS3_S6_21rocsparse_index_base_.num_agpr, 0
	.set _ZN9rocsparseL18bsric0_9_16_kernelILi64ELi64ELi16EdEEv20rocsparse_direction_iiPKiS3_PT2_S3_PiS3_S6_21rocsparse_index_base_.numbered_sgpr, 54
	.set _ZN9rocsparseL18bsric0_9_16_kernelILi64ELi64ELi16EdEEv20rocsparse_direction_iiPKiS3_PT2_S3_PiS3_S6_21rocsparse_index_base_.num_named_barrier, 0
	.set _ZN9rocsparseL18bsric0_9_16_kernelILi64ELi64ELi16EdEEv20rocsparse_direction_iiPKiS3_PT2_S3_PiS3_S6_21rocsparse_index_base_.private_seg_size, 0
	.set _ZN9rocsparseL18bsric0_9_16_kernelILi64ELi64ELi16EdEEv20rocsparse_direction_iiPKiS3_PT2_S3_PiS3_S6_21rocsparse_index_base_.uses_vcc, 1
	.set _ZN9rocsparseL18bsric0_9_16_kernelILi64ELi64ELi16EdEEv20rocsparse_direction_iiPKiS3_PT2_S3_PiS3_S6_21rocsparse_index_base_.uses_flat_scratch, 0
	.set _ZN9rocsparseL18bsric0_9_16_kernelILi64ELi64ELi16EdEEv20rocsparse_direction_iiPKiS3_PT2_S3_PiS3_S6_21rocsparse_index_base_.has_dyn_sized_stack, 0
	.set _ZN9rocsparseL18bsric0_9_16_kernelILi64ELi64ELi16EdEEv20rocsparse_direction_iiPKiS3_PT2_S3_PiS3_S6_21rocsparse_index_base_.has_recursion, 0
	.set _ZN9rocsparseL18bsric0_9_16_kernelILi64ELi64ELi16EdEEv20rocsparse_direction_iiPKiS3_PT2_S3_PiS3_S6_21rocsparse_index_base_.has_indirect_call, 0
	.section	.AMDGPU.csdata,"",@progbits
; Kernel info:
; codeLenInByte = 3688
; TotalNumSgprs: 60
; NumVgprs: 32
; NumAgprs: 0
; TotalNumVgprs: 32
; ScratchSize: 0
; MemoryBound: 0
; FloatMode: 240
; IeeeMode: 1
; LDSByteSize: 9472 bytes/workgroup (compile time only)
; SGPRBlocks: 12
; VGPRBlocks: 10
; NumSGPRsForWavesPerEU: 102
; NumVGPRsForWavesPerEU: 81
; AccumOffset: 32
; Occupancy: 5
; WaveLimiterHint : 1
; COMPUTE_PGM_RSRC2:SCRATCH_EN: 0
; COMPUTE_PGM_RSRC2:USER_SGPR: 2
; COMPUTE_PGM_RSRC2:TRAP_HANDLER: 0
; COMPUTE_PGM_RSRC2:TGID_X_EN: 1
; COMPUTE_PGM_RSRC2:TGID_Y_EN: 0
; COMPUTE_PGM_RSRC2:TGID_Z_EN: 0
; COMPUTE_PGM_RSRC2:TIDIG_COMP_CNT: 1
; COMPUTE_PGM_RSRC3_GFX90A:ACCUM_OFFSET: 7
; COMPUTE_PGM_RSRC3_GFX90A:TG_SPLIT: 0
	.section	.text._ZN9rocsparseL19bsric0_17_32_kernelILi64ELi64ELi32EdEEv20rocsparse_direction_iiPKiS3_PT2_S3_PiS3_S6_21rocsparse_index_base_,"axG",@progbits,_ZN9rocsparseL19bsric0_17_32_kernelILi64ELi64ELi32EdEEv20rocsparse_direction_iiPKiS3_PT2_S3_PiS3_S6_21rocsparse_index_base_,comdat
	.globl	_ZN9rocsparseL19bsric0_17_32_kernelILi64ELi64ELi32EdEEv20rocsparse_direction_iiPKiS3_PT2_S3_PiS3_S6_21rocsparse_index_base_ ; -- Begin function _ZN9rocsparseL19bsric0_17_32_kernelILi64ELi64ELi32EdEEv20rocsparse_direction_iiPKiS3_PT2_S3_PiS3_S6_21rocsparse_index_base_
	.p2align	8
	.type	_ZN9rocsparseL19bsric0_17_32_kernelILi64ELi64ELi32EdEEv20rocsparse_direction_iiPKiS3_PT2_S3_PiS3_S6_21rocsparse_index_base_,@function
_ZN9rocsparseL19bsric0_17_32_kernelILi64ELi64ELi32EdEEv20rocsparse_direction_iiPKiS3_PT2_S3_PiS3_S6_21rocsparse_index_base_: ; @_ZN9rocsparseL19bsric0_17_32_kernelILi64ELi64ELi32EdEEv20rocsparse_direction_iiPKiS3_PT2_S3_PiS3_S6_21rocsparse_index_base_
; %bb.0:
	s_load_dwordx8 s[8:15], s[0:1], 0x28
	s_mov_b32 s3, 0
	s_lshl_b64 s[2:3], s[2:3], 2
	v_and_b32_e32 v1, 0x3ff, v0
	v_bfe_u32 v0, v0, 10, 10
	s_waitcnt lgkmcnt(0)
	s_add_u32 s2, s12, s2
	s_addc_u32 s3, s13, s3
	s_load_dword s12, s[2:3], 0x0
	s_waitcnt lgkmcnt(0)
	s_ashr_i32 s13, s12, 31
	s_lshl_b64 s[6:7], s[12:13], 2
	s_add_u32 s2, s8, s6
	s_addc_u32 s3, s9, s7
	s_load_dword s33, s[2:3], 0x0
	s_load_dword s13, s[0:1], 0x48
	s_waitcnt lgkmcnt(0)
	s_cmp_lg_u32 s33, -1
	s_cbranch_scc0 .LBB34_118
; %bb.1:
	s_load_dwordx4 s[16:19], s[0:1], 0x10
	s_load_dwordx2 s[20:21], s[0:1], 0x20
	v_lshlrev_b32_e32 v2, 1, v0
	v_lshlrev_b32_e32 v15, 3, v0
	s_waitcnt lgkmcnt(0)
	s_add_u32 s2, s16, s6
	s_addc_u32 s3, s17, s7
	s_load_dword s2, s[2:3], 0x0
	s_waitcnt lgkmcnt(0)
	s_sub_i32 s48, s2, s13
	v_add3_u32 v2, v2, v1, s48
	v_cmp_ge_i32_e32 vcc, s33, v2
	s_and_saveexec_b64 s[2:3], vcc
	s_cbranch_execz .LBB34_4
; %bb.2:
	v_lshlrev_b32_e32 v3, 2, v1
	s_movk_i32 s4, 0x6500
	v_add3_u32 v4, v15, v3, s4
	s_mov_b64 s[4:5], 0
.LBB34_3:                               ; =>This Inner Loop Header: Depth=1
	v_ashrrev_i32_e32 v3, 31, v2
	v_lshl_add_u64 v[6:7], v[2:3], 2, s[18:19]
	global_load_dword v3, v[6:7], off
	v_add_u32_e32 v2, 64, v2
	v_cmp_lt_i32_e32 vcc, s33, v2
	s_or_b64 s[4:5], vcc, s[4:5]
	s_waitcnt vmcnt(0)
	v_subrev_u32_e32 v3, s13, v3
	ds_write_b32 v4, v3
	v_add_u32_e32 v4, 0x100, v4
	s_andn2_b64 exec, exec, s[4:5]
	s_cbranch_execnz .LBB34_3
.LBB34_4:
	s_or_b64 exec, exec, s[2:3]
	v_cmp_gt_u32_e32 vcc, 32, v1
	v_lshlrev_b32_e32 v14, 3, v1
	s_and_saveexec_b64 s[2:3], vcc
	s_cbranch_execz .LBB34_7
; %bb.5:
	v_mul_u32_u24_e32 v3, 0x108, v0
	s_movk_i32 s4, 0x4200
	v_mov_b32_e32 v4, 0
	v_add_u32_e32 v2, -2, v1
	v_add3_u32 v3, v3, v14, s4
	s_mov_b64 s[4:5], 0
	v_mov_b32_e32 v5, v4
.LBB34_6:                               ; =>This Inner Loop Header: Depth=1
	v_add_u32_e32 v2, 2, v2
	v_cmp_lt_u32_e32 vcc, 29, v2
	ds_write_b64 v3, v[4:5]
	s_or_b64 s[4:5], vcc, s[4:5]
	v_add_u32_e32 v3, 16, v3
	s_andn2_b64 exec, exec, s[4:5]
	s_cbranch_execnz .LBB34_6
.LBB34_7:
	s_or_b64 exec, exec, s[2:3]
	s_load_dword s46, s[0:1], 0x8
	s_load_dword s47, s[0:1], 0x0
	s_cmp_ge_i32 s48, s33
	s_waitcnt lgkmcnt(0)
	v_cmp_gt_i32_e64 s[0:1], s46, v1
	s_cbranch_scc1 .LBB34_79
; %bb.8:
	s_cmp_eq_u32 s47, 0
	s_cselect_b64 s[22:23], -1, 0
	s_cmp_lg_u32 s47, 0
	s_movk_i32 s28, 0x108
	v_mov_b32_e32 v2, 0x2100
	v_or_b32_e32 v3, v1, v0
	s_mul_i32 s29, s46, s48
	s_cselect_b64 s[24:25], -1, 0
	v_mad_u32_u24 v17, v0, s28, v2
	s_cmp_gt_i32 s46, 0
	v_cmp_ne_u32_e64 s[4:5], 0, v3
	v_mad_u32_u24 v19, v0, s28, v14
	v_add_u32_e32 v3, s29, v0
	v_mad_u32_u24 v23, v1, s28, v2
	v_mov_b32_e32 v2, 0
	s_mul_i32 s49, s46, s46
	v_cmp_gt_i32_e64 s[2:3], s46, v0
	v_mul_u32_u24_e32 v16, 0x108, v0
	v_mul_lo_u32 v18, s46, v0
	s_cselect_b64 s[26:27], -1, 0
	v_mul_lo_u32 v21, s46, v3
	v_mul_lo_u32 v20, v1, s46
	s_lshl_b32 s50, s46, 1
	v_add_u32_e32 v22, 0x4200, v19
	v_add_u32_e32 v24, 0x2100, v19
	v_mov_b32_e32 v3, v2
	v_mov_b32_e32 v25, 0x3ff00000
	s_mov_b32 s28, s48
	s_branch .LBB34_10
.LBB34_9:                               ;   in Loop: Header=BB34_10 Depth=1
	s_or_b64 exec, exec, s[30:31]
	s_add_i32 s28, s28, 1
	s_cmp_ge_i32 s28, s33
	buffer_wbl2 sc1
	s_waitcnt vmcnt(0)
	buffer_inv sc1
	v_add_u32_e32 v21, s49, v21
	s_cselect_b64 s[30:31], -1, 0
	s_and_b64 vcc, exec, s[30:31]
	s_cbranch_vccnz .LBB34_79
.LBB34_10:                              ; =>This Loop Header: Depth=1
                                        ;     Child Loop BB34_14 Depth 2
                                        ;     Child Loop BB34_26 Depth 2
	;; [unrolled: 1-line block ×4, first 2 shown]
                                        ;       Child Loop BB34_43 Depth 3
                                        ;         Child Loop BB34_48 Depth 4
                                        ;     Child Loop BB34_57 Depth 2
                                        ;       Child Loop BB34_64 Depth 3
                                        ;       Child Loop BB34_68 Depth 3
                                        ;     Child Loop BB34_73 Depth 2
	s_ashr_i32 s29, s28, 31
	s_lshl_b64 s[30:31], s[28:29], 2
	s_add_u32 s30, s18, s30
	s_addc_u32 s31, s19, s31
	s_load_dword s51, s[30:31], 0x0
	s_waitcnt lgkmcnt(0)
	s_sub_i32 s34, s51, s13
	s_ashr_i32 s35, s34, 31
	s_lshl_b64 s[30:31], s[34:35], 2
	s_add_u32 s36, s8, s30
	s_addc_u32 s37, s9, s31
	s_load_dword s52, s[36:37], 0x0
	s_waitcnt lgkmcnt(0)
	s_cmp_eq_u32 s52, -1
	s_cbranch_scc1 .LBB34_78
; %bb.11:                               ;   in Loop: Header=BB34_10 Depth=1
	s_add_u32 s36, s16, s30
	s_addc_u32 s37, s17, s31
	s_load_dword s35, s[36:37], 0x0
	s_mul_i32 s29, s28, s46
	s_and_saveexec_b64 s[36:37], s[0:1]
	s_cbranch_execz .LBB34_24
; %bb.12:                               ;   in Loop: Header=BB34_10 Depth=1
	s_mov_b64 s[38:39], 0
	v_mov_b32_e32 v6, v19
	v_mov_b32_e32 v7, v1
	s_branch .LBB34_14
.LBB34_13:                              ;   in Loop: Header=BB34_14 Depth=2
	s_or_b64 exec, exec, s[42:43]
	v_add_u32_e32 v7, 2, v7
	v_cmp_le_i32_e32 vcc, s46, v7
	s_waitcnt vmcnt(0)
	ds_write_b64 v6, v[8:9] offset:8448
	ds_write_b64 v6, v[2:3]
	s_or_b64 s[38:39], vcc, s[38:39]
	v_add_u32_e32 v6, 16, v6
	s_andn2_b64 exec, exec, s[38:39]
	s_cbranch_execz .LBB34_24
.LBB34_14:                              ;   Parent Loop BB34_10 Depth=1
                                        ; =>  This Inner Loop Header: Depth=2
	s_mov_b64 s[42:43], -1
	s_and_b64 vcc, exec, s[24:25]
	s_mov_b64 s[40:41], 0
                                        ; implicit-def: $vgpr4
	s_cbranch_vccz .LBB34_19
; %bb.15:                               ;   in Loop: Header=BB34_14 Depth=2
	s_mov_b64 s[42:43], 0
                                        ; implicit-def: $vgpr4
	s_and_saveexec_b64 s[44:45], s[2:3]
	s_xor_b64 s[44:45], exec, s[44:45]
; %bb.16:                               ;   in Loop: Header=BB34_14 Depth=2
	v_add_u32_e32 v4, s29, v7
	s_mov_b64 s[40:41], exec
	v_mad_u64_u32 v[4:5], s[54:55], v4, s46, v[0:1]
; %bb.17:                               ;   in Loop: Header=BB34_14 Depth=2
	s_or_b64 exec, exec, s[44:45]
	s_and_b64 vcc, exec, s[42:43]
	s_cbranch_vccnz .LBB34_20
.LBB34_18:                              ;   in Loop: Header=BB34_14 Depth=2
	v_mov_b64_e32 v[8:9], 0
	s_and_saveexec_b64 s[42:43], s[40:41]
	s_cbranch_execz .LBB34_13
	s_branch .LBB34_23
.LBB34_19:                              ;   in Loop: Header=BB34_14 Depth=2
	s_and_b64 vcc, exec, s[42:43]
	s_cbranch_vccz .LBB34_18
.LBB34_20:                              ;   in Loop: Header=BB34_14 Depth=2
                                        ; implicit-def: $vgpr4
	s_and_saveexec_b64 s[42:43], s[2:3]
; %bb.21:                               ;   in Loop: Header=BB34_14 Depth=2
	v_add_u32_e32 v4, v21, v7
	s_or_b64 s[40:41], s[40:41], exec
; %bb.22:                               ;   in Loop: Header=BB34_14 Depth=2
	s_or_b64 exec, exec, s[42:43]
	v_mov_b64_e32 v[8:9], 0
	s_and_saveexec_b64 s[42:43], s[40:41]
	s_cbranch_execz .LBB34_13
.LBB34_23:                              ;   in Loop: Header=BB34_14 Depth=2
	v_ashrrev_i32_e32 v5, 31, v4
	v_lshl_add_u64 v[4:5], v[4:5], 3, s[20:21]
	global_load_dwordx2 v[8:9], v[4:5], off
	s_branch .LBB34_13
.LBB34_24:                              ;   in Loop: Header=BB34_10 Depth=1
	s_or_b64 exec, exec, s[36:37]
	ds_read_b32 v4, v2 offset:25856
	s_waitcnt lgkmcnt(0)
	s_sub_i32 s36, s35, s13
	s_cmp_le_i32 s36, s52
	s_cselect_b64 s[38:39], -1, 0
	s_mov_b32 s37, 0
	v_cmp_ge_i32_e32 vcc, s34, v4
	s_and_b64 s[38:39], s[38:39], vcc
	s_andn2_b64 vcc, exec, s[38:39]
	s_cbranch_vccnz .LBB34_36
; %bb.25:                               ;   in Loop: Header=BB34_10 Depth=1
	s_mov_b32 s35, 0
	s_mov_b32 s40, 0
.LBB34_26:                              ;   Parent Loop BB34_10 Depth=1
                                        ; =>  This Inner Loop Header: Depth=2
	s_ashr_i32 s37, s36, 31
	s_lshl_b64 s[38:39], s[36:37], 2
	s_add_u32 s38, s18, s38
	s_addc_u32 s39, s19, s39
	s_load_dword s37, s[38:39], 0x0
	s_lshl_b32 s38, s40, 2
	v_mov_b32_e32 v4, s38
	ds_read_b32 v4, v4 offset:25856
	s_mov_b64 s[38:39], -1
	s_waitcnt lgkmcnt(0)
	s_sub_i32 s44, s37, s13
                                        ; implicit-def: $sgpr37
                                        ; implicit-def: $sgpr43
                                        ; implicit-def: $sgpr42
	v_cmp_ge_i32_e32 vcc, s44, v4
	v_readfirstlane_b32 s41, v4
	s_cbranch_vccz .LBB34_32
; %bb.27:                               ;   in Loop: Header=BB34_26 Depth=2
	s_cmp_le_i32 s44, s41
                                        ; implicit-def: $sgpr37
                                        ; implicit-def: $sgpr43
                                        ; implicit-def: $sgpr42
	s_cbranch_scc0 .LBB34_29
; %bb.28:                               ;   in Loop: Header=BB34_26 Depth=2
	s_add_i32 s37, s40, s48
	s_mul_i32 s37, s37, s49
	s_lshl_b32 s38, s35, 2
	v_mov_b32_e32 v5, s37
	s_mul_i32 s37, s36, s49
	v_mov_b32_e32 v4, s38
	v_mov_b32_e32 v6, s37
	ds_write2st64_b32 v4, v6, v5 offset0:99 offset1:100
	s_add_i32 s42, s40, 1
	s_add_i32 s43, s36, 1
	;; [unrolled: 1-line block ×3, first 2 shown]
	s_mov_b64 s[38:39], 0
.LBB34_29:                              ;   in Loop: Header=BB34_26 Depth=2
	s_andn2_b64 vcc, exec, s[38:39]
	s_cbranch_vccnz .LBB34_31
; %bb.30:                               ;   in Loop: Header=BB34_26 Depth=2
	s_add_i32 s42, s40, 1
	s_mov_b32 s37, s35
	s_mov_b32 s43, s36
.LBB34_31:                              ;   in Loop: Header=BB34_26 Depth=2
	s_mov_b64 s[38:39], 0
.LBB34_32:                              ;   in Loop: Header=BB34_26 Depth=2
	s_andn2_b64 vcc, exec, s[38:39]
	s_cbranch_vccnz .LBB34_34
; %bb.33:                               ;   in Loop: Header=BB34_26 Depth=2
	s_add_i32 s43, s36, 1
	s_mov_b32 s42, s40
	s_mov_b32 s37, s35
.LBB34_34:                              ;   in Loop: Header=BB34_26 Depth=2
	s_cmp_le_i32 s43, s52
	s_cselect_b64 s[38:39], -1, 0
	s_cmp_le_i32 s41, s34
	s_cselect_b64 s[40:41], -1, 0
	s_and_b64 s[38:39], s[38:39], s[40:41]
	s_and_b64 vcc, exec, s[38:39]
	s_cbranch_vccz .LBB34_36
; %bb.35:                               ;   in Loop: Header=BB34_26 Depth=2
	s_mov_b32 s35, s37
	s_mov_b32 s36, s43
	;; [unrolled: 1-line block ×3, first 2 shown]
	s_branch .LBB34_26
.LBB34_36:                              ;   in Loop: Header=BB34_10 Depth=1
	s_add_u32 s30, s10, s30
	s_addc_u32 s31, s11, s31
	s_waitcnt lgkmcnt(0)
.LBB34_37:                              ;   Parent Loop BB34_10 Depth=1
                                        ; =>  This Inner Loop Header: Depth=2
	global_load_dword v4, v2, s[30:31] sc1
	s_waitcnt vmcnt(0)
	v_cmp_eq_u32_e32 vcc, 0, v4
	s_cbranch_vccnz .LBB34_37
; %bb.38:                               ;   in Loop: Header=BB34_10 Depth=1
	s_cmp_lt_i32 s37, 2
	buffer_inv sc1
	s_cbranch_scc1 .LBB34_54
; %bb.39:                               ;   in Loop: Header=BB34_10 Depth=1
	s_add_i32 s38, s37, -2
	s_mov_b32 s39, 0
	s_branch .LBB34_41
.LBB34_40:                              ;   in Loop: Header=BB34_41 Depth=2
	s_or_b64 exec, exec, s[30:31]
	s_add_i32 s30, s39, 1
	s_cmp_eq_u32 s39, s38
	s_mov_b32 s39, s30
	s_cbranch_scc1 .LBB34_54
.LBB34_41:                              ;   Parent Loop BB34_10 Depth=1
                                        ; =>  This Loop Header: Depth=2
                                        ;       Child Loop BB34_43 Depth 3
                                        ;         Child Loop BB34_48 Depth 4
	s_and_saveexec_b64 s[30:31], s[0:1]
	s_cbranch_execz .LBB34_40
; %bb.42:                               ;   in Loop: Header=BB34_41 Depth=2
	s_lshl_b32 s34, s39, 2
	v_mov_b32_e32 v4, s34
	ds_read2st64_b32 v[4:5], v4 offset0:99 offset1:100
	s_mov_b64 s[34:35], 0
	v_mov_b32_e32 v30, v1
	s_waitcnt lgkmcnt(0)
	v_add_u32_e32 v26, v5, v18
	v_add_u32_e32 v27, v0, v5
	v_add_u32_e32 v28, v1, v4
	v_add_u32_e32 v29, v20, v4
.LBB34_43:                              ;   Parent Loop BB34_10 Depth=1
                                        ;     Parent Loop BB34_41 Depth=2
                                        ; =>    This Loop Header: Depth=3
                                        ;         Child Loop BB34_48 Depth 4
	v_mov_b64_e32 v[8:9], 0
	s_mov_b32 s40, 0
	v_mov_b32_e32 v4, v28
	v_mov_b32_e32 v6, v27
	s_mov_b64 s[36:37], -1
	s_and_b64 vcc, exec, s[24:25]
                                        ; implicit-def: $vgpr10_vgpr11
	s_cbranch_vccz .LBB34_48
	s_branch .LBB34_45
.LBB34_44:                              ;   in Loop: Header=BB34_48 Depth=4
	v_mov_b64_e32 v[8:9], v[10:11]
	s_mov_b64 s[36:37], -1
	s_and_b64 vcc, exec, s[24:25]
                                        ; implicit-def: $vgpr10_vgpr11
	s_cbranch_vccz .LBB34_48
.LBB34_45:                              ;   in Loop: Header=BB34_43 Depth=3
	v_ashrrev_i32_e32 v5, 31, v4
	v_lshl_add_u64 v[10:11], v[4:5], 3, s[20:21]
	global_load_dwordx2 v[10:11], v[10:11], off
	v_mov_b64_e32 v[12:13], 0
	s_and_saveexec_b64 s[36:37], s[2:3]
	s_cbranch_execz .LBB34_47
; %bb.46:                               ;   in Loop: Header=BB34_43 Depth=3
	v_ashrrev_i32_e32 v7, 31, v6
	v_lshl_add_u64 v[12:13], v[6:7], 3, s[20:21]
	global_load_dwordx2 v[12:13], v[12:13], off
.LBB34_47:                              ;   in Loop: Header=BB34_43 Depth=3
	s_or_b64 exec, exec, s[36:37]
	s_waitcnt vmcnt(0)
	v_fma_f64 v[10:11], v[10:11], v[12:13], v[8:9]
	s_mov_b64 s[36:37], 0
.LBB34_48:                              ;   Parent Loop BB34_10 Depth=1
                                        ;     Parent Loop BB34_41 Depth=2
                                        ;       Parent Loop BB34_43 Depth=3
                                        ; =>      This Inner Loop Header: Depth=4
	s_and_b64 vcc, exec, s[36:37]
	s_cbranch_vccz .LBB34_52
; %bb.49:                               ;   in Loop: Header=BB34_48 Depth=4
	v_add_u32_e32 v10, s40, v29
	v_ashrrev_i32_e32 v11, 31, v10
	v_lshl_add_u64 v[10:11], v[10:11], 3, s[20:21]
	global_load_dwordx2 v[10:11], v[10:11], off
	v_mov_b64_e32 v[12:13], 0
	s_and_saveexec_b64 s[36:37], s[2:3]
	s_cbranch_execz .LBB34_51
; %bb.50:                               ;   in Loop: Header=BB34_48 Depth=4
	v_add_u32_e32 v12, s40, v26
	v_ashrrev_i32_e32 v13, 31, v12
	v_lshl_add_u64 v[12:13], v[12:13], 3, s[20:21]
	global_load_dwordx2 v[12:13], v[12:13], off
.LBB34_51:                              ;   in Loop: Header=BB34_48 Depth=4
	s_or_b64 exec, exec, s[36:37]
	s_waitcnt vmcnt(0)
	v_fmac_f64_e32 v[8:9], v[10:11], v[12:13]
	v_mov_b64_e32 v[10:11], v[8:9]
.LBB34_52:                              ;   in Loop: Header=BB34_48 Depth=4
	s_add_i32 s40, s40, 1
	v_add_u32_e32 v6, s46, v6
	s_cmp_eq_u32 s46, s40
	v_add_u32_e32 v4, s46, v4
	s_cbranch_scc0 .LBB34_44
; %bb.53:                               ;   in Loop: Header=BB34_43 Depth=3
	v_lshl_add_u32 v6, v30, 3, v16
	ds_read_b64 v[4:5], v6
	v_add_u32_e32 v30, 2, v30
	v_cmp_le_i32_e32 vcc, s46, v30
	v_add_u32_e32 v28, 2, v28
	s_or_b64 s[34:35], vcc, s[34:35]
	s_waitcnt lgkmcnt(0)
	v_add_f64 v[4:5], v[10:11], v[4:5]
	v_add_u32_e32 v29, s50, v29
	ds_write_b64 v6, v[4:5]
	s_andn2_b64 exec, exec, s[34:35]
	s_cbranch_execnz .LBB34_43
	s_branch .LBB34_40
.LBB34_54:                              ;   in Loop: Header=BB34_10 Depth=1
	s_andn2_b64 vcc, exec, s[26:27]
	s_waitcnt lgkmcnt(0)
	s_cbranch_vccnz .LBB34_69
; %bb.55:                               ;   in Loop: Header=BB34_10 Depth=1
	s_mul_i32 s36, s49, s52
	s_mov_b32 s37, 0
	v_mov_b32_e32 v13, s51
	v_mov_b32_e32 v10, v23
	s_mov_b32 s38, s36
	s_branch .LBB34_57
.LBB34_56:                              ;   in Loop: Header=BB34_57 Depth=2
	s_or_b64 exec, exec, s[30:31]
	s_add_i32 s37, s37, 1
	s_add_i32 s38, s38, 1
	s_cmp_eq_u32 s37, s46
	v_add_u32_e32 v10, 8, v10
	s_waitcnt lgkmcnt(0)
	s_cbranch_scc1 .LBB34_69
.LBB34_57:                              ;   Parent Loop BB34_10 Depth=1
                                        ; =>  This Loop Header: Depth=2
                                        ;       Child Loop BB34_64 Depth 3
                                        ;       Child Loop BB34_68 Depth 3
	s_mul_i32 s39, s37, s46
	s_add_i32 s39, s39, s36
	s_add_i32 s30, s39, s37
	s_ashr_i32 s31, s30, 31
	s_lshl_b64 s[30:31], s[30:31], 3
	s_add_u32 s30, s20, s30
	s_addc_u32 s31, s21, s31
	global_load_dwordx2 v[4:5], v2, s[30:31]
	v_lshl_add_u32 v11, s37, 3, v17
	ds_read_b64 v[6:7], v11
	s_waitcnt vmcnt(0)
	v_cmp_neq_f64_e32 vcc, 0, v[4:5]
	s_nop 1
	v_cndmask_b32_e32 v5, v25, v5, vcc
	s_nor_b64 s[34:35], vcc, s[4:5]
	v_cndmask_b32_e32 v4, 0, v4, vcc
	s_and_saveexec_b64 s[30:31], s[34:35]
	s_cbranch_execz .LBB34_61
; %bb.58:                               ;   in Loop: Header=BB34_57 Depth=2
	v_mbcnt_lo_u32_b32 v4, exec_lo, 0
	v_mbcnt_hi_u32_b32 v4, exec_hi, v4
	v_cmp_eq_u32_e32 vcc, 0, v4
	s_and_saveexec_b64 s[34:35], vcc
	s_cbranch_execz .LBB34_60
; %bb.59:                               ;   in Loop: Header=BB34_57 Depth=2
	global_atomic_smin v2, v13, s[14:15]
.LBB34_60:                              ;   in Loop: Header=BB34_57 Depth=2
	s_or_b64 exec, exec, s[34:35]
	v_mov_b64_e32 v[4:5], 1.0
.LBB34_61:                              ;   in Loop: Header=BB34_57 Depth=2
	s_or_b64 exec, exec, s[30:31]
	v_lshl_add_u32 v8, s37, 3, v16
	ds_read_b64 v[8:9], v8
	s_cmp_eq_u32 s37, 0
	s_cbranch_scc1 .LBB34_66
; %bb.62:                               ;   in Loop: Header=BB34_57 Depth=2
	s_mov_b32 s34, 0
	s_mov_b32 s35, s37
	;; [unrolled: 1-line block ×3, first 2 shown]
	v_mov_b32_e32 v12, v17
	s_branch .LBB34_64
.LBB34_63:                              ;   in Loop: Header=BB34_64 Depth=3
	s_ashr_i32 s31, s30, 31
	s_lshl_b64 s[30:31], s[30:31], 3
	s_add_u32 s30, s20, s30
	s_addc_u32 s31, s21, s31
	global_load_dwordx2 v[26:27], v2, s[30:31]
	ds_read_b64 v[28:29], v12
	s_add_i32 s34, s34, 1
	s_add_i32 s40, s40, s46
	s_add_i32 s35, s35, -1
	s_cmp_eq_u32 s35, 0
	v_add_u32_e32 v12, 8, v12
	s_waitcnt vmcnt(0) lgkmcnt(0)
	v_fmac_f64_e32 v[8:9], v[26:27], v[28:29]
	s_cbranch_scc1 .LBB34_66
.LBB34_64:                              ;   Parent Loop BB34_10 Depth=1
                                        ;     Parent Loop BB34_57 Depth=2
                                        ; =>    This Inner Loop Header: Depth=3
	s_andn2_b64 vcc, exec, s[22:23]
	s_mov_b32 s30, s40
	s_cbranch_vccnz .LBB34_63
; %bb.65:                               ;   in Loop: Header=BB34_64 Depth=3
	s_add_i32 s30, s34, s39
	s_branch .LBB34_63
.LBB34_66:                              ;   in Loop: Header=BB34_57 Depth=2
	s_waitcnt lgkmcnt(0)
	v_add_f64 v[6:7], v[6:7], -v[8:9]
	v_div_scale_f64 v[8:9], s[30:31], v[4:5], v[4:5], v[6:7]
	v_rcp_f64_e32 v[26:27], v[8:9]
	v_div_scale_f64 v[28:29], vcc, v[6:7], v[4:5], v[6:7]
	v_fma_f64 v[30:31], -v[8:9], v[26:27], 1.0
	v_fmac_f64_e32 v[26:27], v[26:27], v[30:31]
	v_fma_f64 v[30:31], -v[8:9], v[26:27], 1.0
	v_fmac_f64_e32 v[26:27], v[26:27], v[30:31]
	v_mul_f64 v[30:31], v[28:29], v[26:27]
	v_fma_f64 v[8:9], -v[8:9], v[30:31], v[28:29]
	v_div_fmas_f64 v[8:9], v[8:9], v[26:27], v[30:31]
	v_div_fixup_f64 v[4:5], v[8:9], v[4:5], v[6:7]
	ds_write_b64 v11, v[4:5]
	s_waitcnt lgkmcnt(0)
	s_and_saveexec_b64 s[30:31], s[0:1]
	s_cbranch_execz .LBB34_56
; %bb.67:                               ;   in Loop: Header=BB34_57 Depth=2
	s_mov_b64 s[34:35], 0
	v_mov_b32_e32 v6, v10
	v_mov_b32_e32 v7, v22
	;; [unrolled: 1-line block ×3, first 2 shown]
.LBB34_68:                              ;   Parent Loop BB34_10 Depth=1
                                        ;     Parent Loop BB34_57 Depth=2
                                        ; =>    This Inner Loop Header: Depth=3
	ds_read_b64 v[26:27], v6
	ds_read_b64 v[28:29], v7
	v_add_u32_e32 v8, 2, v8
	v_cmp_le_i32_e32 vcc, s46, v8
	s_or_b64 s[34:35], vcc, s[34:35]
	v_add_u32_e32 v6, 0x210, v6
	s_waitcnt lgkmcnt(0)
	v_fmac_f64_e32 v[28:29], v[4:5], v[26:27]
	ds_write_b64 v7, v[28:29]
	v_add_u32_e32 v7, 16, v7
	s_andn2_b64 exec, exec, s[34:35]
	s_cbranch_execnz .LBB34_68
	s_branch .LBB34_56
.LBB34_69:                              ;   in Loop: Header=BB34_10 Depth=1
	s_and_saveexec_b64 s[30:31], s[0:1]
	s_cbranch_execz .LBB34_9
; %bb.70:                               ;   in Loop: Header=BB34_10 Depth=1
	s_mov_b64 s[34:35], 0
	v_mov_b32_e32 v8, v24
	v_mov_b32_e32 v9, v1
	s_branch .LBB34_73
.LBB34_71:                              ;   in Loop: Header=BB34_73 Depth=2
	v_ashrrev_i32_e32 v7, 31, v6
	v_lshl_add_u64 v[6:7], v[6:7], 3, s[20:21]
	s_waitcnt lgkmcnt(0)
	global_store_dwordx2 v[6:7], v[4:5], off
.LBB34_72:                              ;   in Loop: Header=BB34_73 Depth=2
	s_or_b64 exec, exec, s[36:37]
	v_add_u32_e32 v9, 2, v9
	v_cmp_le_i32_e32 vcc, s46, v9
	s_or_b64 s[34:35], vcc, s[34:35]
	v_add_u32_e32 v8, 16, v8
	s_andn2_b64 exec, exec, s[34:35]
	s_cbranch_execz .LBB34_9
.LBB34_73:                              ;   Parent Loop BB34_10 Depth=1
                                        ; =>  This Inner Loop Header: Depth=2
	s_and_saveexec_b64 s[36:37], s[2:3]
	s_cbranch_execz .LBB34_72
; %bb.74:                               ;   in Loop: Header=BB34_73 Depth=2
	ds_read_b64 v[4:5], v8
	s_mov_b64 s[38:39], -1
	s_and_b64 vcc, exec, s[24:25]
                                        ; implicit-def: $vgpr6
	s_cbranch_vccz .LBB34_76
; %bb.75:                               ;   in Loop: Header=BB34_73 Depth=2
	v_add_u32_e32 v6, s29, v9
	v_mad_u64_u32 v[6:7], s[38:39], v6, s46, v[0:1]
	s_mov_b64 s[38:39], 0
.LBB34_76:                              ;   in Loop: Header=BB34_73 Depth=2
	s_andn2_b64 vcc, exec, s[38:39]
	s_cbranch_vccnz .LBB34_71
; %bb.77:                               ;   in Loop: Header=BB34_73 Depth=2
	v_add_u32_e32 v6, v21, v9
	s_branch .LBB34_71
.LBB34_78:                              ;   in Loop: Header=BB34_10 Depth=1
                                        ; implicit-def: $sgpr28
                                        ; implicit-def: $vgpr21
	s_cbranch_execz .LBB34_10
.LBB34_79:
	v_cmp_gt_i32_e64 s[0:1], s46, v1
	s_and_saveexec_b64 s[4:5], s[0:1]
	s_cbranch_execz .LBB34_92
; %bb.80:
	s_mul_i32 s26, s33, s46
	v_add_u32_e32 v2, s26, v0
	s_cmp_lg_u32 s47, 0
	v_mul_lo_u32 v4, v2, s46
	v_mul_u32_u24_e32 v2, 0x108, v0
	s_movk_i32 s16, 0x2100
	s_cselect_b64 s[8:9], -1, 0
	v_cmp_gt_i32_e64 s[2:3], s46, v0
	v_add3_u32 v5, v2, v14, s16
	s_mov_b64 s[16:17], 0
	v_mov_b32_e32 v6, v1
	s_branch .LBB34_82
.LBB34_81:                              ;   in Loop: Header=BB34_82 Depth=1
	s_or_b64 exec, exec, s[22:23]
	v_add_u32_e32 v6, 2, v6
	v_cmp_le_i32_e32 vcc, s46, v6
	s_waitcnt vmcnt(0)
	ds_write_b64 v5, v[8:9]
	s_or_b64 s[16:17], vcc, s[16:17]
	v_add_u32_e32 v5, 16, v5
	s_andn2_b64 exec, exec, s[16:17]
	s_cbranch_execz .LBB34_92
.LBB34_82:                              ; =>This Inner Loop Header: Depth=1
	s_and_b64 vcc, exec, s[8:9]
	s_cbranch_vccz .LBB34_89
; %bb.83:                               ;   in Loop: Header=BB34_82 Depth=1
	s_mov_b64 s[22:23], 0
	s_mov_b64 s[18:19], 0
                                        ; implicit-def: $vgpr2
	s_and_saveexec_b64 s[24:25], s[2:3]
	s_xor_b64 s[24:25], exec, s[24:25]
; %bb.84:                               ;   in Loop: Header=BB34_82 Depth=1
	v_add_u32_e32 v2, s26, v6
	s_mov_b64 s[18:19], exec
	v_mad_u64_u32 v[2:3], s[28:29], v2, s46, v[0:1]
; %bb.85:                               ;   in Loop: Header=BB34_82 Depth=1
	s_or_b64 exec, exec, s[24:25]
	s_and_b64 vcc, exec, s[22:23]
	s_cbranch_vccz .LBB34_90
.LBB34_86:                              ;   in Loop: Header=BB34_82 Depth=1
                                        ; implicit-def: $vgpr2
	s_and_saveexec_b64 s[22:23], s[2:3]
; %bb.87:                               ;   in Loop: Header=BB34_82 Depth=1
	v_add_u32_e32 v2, v4, v6
	s_or_b64 s[18:19], s[18:19], exec
; %bb.88:                               ;   in Loop: Header=BB34_82 Depth=1
	s_or_b64 exec, exec, s[22:23]
	v_mov_b64_e32 v[8:9], 0
	s_and_saveexec_b64 s[22:23], s[18:19]
	s_cbranch_execz .LBB34_81
	s_branch .LBB34_91
.LBB34_89:                              ;   in Loop: Header=BB34_82 Depth=1
	s_mov_b64 s[18:19], 0
                                        ; implicit-def: $vgpr2
	s_cbranch_execnz .LBB34_86
.LBB34_90:                              ;   in Loop: Header=BB34_82 Depth=1
	v_mov_b64_e32 v[8:9], 0
	s_and_saveexec_b64 s[22:23], s[18:19]
	s_cbranch_execz .LBB34_81
.LBB34_91:                              ;   in Loop: Header=BB34_82 Depth=1
	v_ashrrev_i32_e32 v3, 31, v2
	v_lshl_add_u64 v[2:3], v[2:3], 3, s[20:21]
	global_load_dwordx2 v[8:9], v[2:3], off
	s_branch .LBB34_81
.LBB34_92:
	s_or_b64 exec, exec, s[4:5]
	s_cmp_lt_i32 s46, 1
	s_waitcnt lgkmcnt(0)
	s_cbranch_scc1 .LBB34_105
; %bb.93:
	v_or_b32_e32 v4, v1, v0
	s_movk_i32 s4, 0x108
	v_mov_b32_e32 v2, 0x2100
	v_mul_u32_u24_e32 v3, 0x108, v0
	v_cmp_ne_u32_e64 s[2:3], 0, v4
	s_movk_i32 s5, 0x4200
	v_mov_b32_e32 v4, 0x4200
	v_mad_u32_u24 v6, v0, s4, v2
	s_add_i32 s8, s12, s13
	v_mad_u32_u24 v7, v0, s4, v4
	v_add3_u32 v10, v3, v14, s5
	v_mad_u32_u24 v11, v1, s4, v2
	s_mov_b32 s4, 0
	s_mov_b32 s18, 0
	v_add_u32_e32 v8, v6, v15
	v_add_u32_e32 v9, v7, v15
	s_brev_b32 s5, 8
	v_mov_b32_e32 v12, 0x260
	v_mov_b32_e32 v13, 0x3ff00000
	;; [unrolled: 1-line block ×6, first 2 shown]
	s_branch .LBB34_95
.LBB34_94:                              ;   in Loop: Header=BB34_95 Depth=1
	s_or_b64 exec, exec, s[8:9]
	s_add_i32 s18, s18, 1
	s_cmp_eq_u32 s18, s46
	v_add_u32_e32 v11, 8, v11
	s_waitcnt lgkmcnt(0)
	s_cbranch_scc1 .LBB34_105
.LBB34_95:                              ; =>This Loop Header: Depth=1
                                        ;     Child Loop BB34_104 Depth 2
	v_cmp_eq_u32_e32 vcc, s18, v0
	s_and_saveexec_b64 s[8:9], vcc
	s_cbranch_execz .LBB34_97
; %bb.96:                               ;   in Loop: Header=BB34_95 Depth=1
	ds_read_b64 v[2:3], v8
	ds_read_b64 v[4:5], v9
	s_waitcnt lgkmcnt(0)
	v_add_f64 v[2:3], v[2:3], -v[4:5]
	v_xor_b32_e32 v4, 0x80000000, v3
	v_cmp_gt_f64_e32 vcc, 0, v[2:3]
	s_nop 1
	v_cndmask_b32_e32 v3, v3, v4, vcc
	v_cmp_gt_f64_e32 vcc, s[4:5], v[2:3]
	s_nop 1
	v_cndmask_b32_e32 v4, 0, v16, vcc
	v_ldexp_f64 v[2:3], v[2:3], v4
	v_rsq_f64_e32 v[4:5], v[2:3]
	v_cndmask_b32_e32 v18, 0, v17, vcc
	v_cmp_class_f64_e32 vcc, v[2:3], v12
	v_mul_f64 v[20:21], v[2:3], v[4:5]
	v_mul_f64 v[4:5], v[4:5], 0.5
	v_fma_f64 v[22:23], -v[4:5], v[20:21], 0.5
	v_fmac_f64_e32 v[20:21], v[20:21], v[22:23]
	v_fmac_f64_e32 v[4:5], v[4:5], v[22:23]
	v_fma_f64 v[22:23], -v[20:21], v[20:21], v[2:3]
	v_fmac_f64_e32 v[20:21], v[22:23], v[4:5]
	v_fma_f64 v[22:23], -v[20:21], v[20:21], v[2:3]
	v_fmac_f64_e32 v[20:21], v[22:23], v[4:5]
	v_ldexp_f64 v[4:5], v[20:21], v18
	v_cndmask_b32_e32 v3, v5, v3, vcc
	v_cndmask_b32_e32 v2, v4, v2, vcc
	ds_write_b64 v8, v[2:3]
.LBB34_97:                              ;   in Loop: Header=BB34_95 Depth=1
	s_or_b64 exec, exec, s[8:9]
	s_lshl_b32 s8, s18, 3
	s_mul_i32 s9, s18, 0x108
	s_add_i32 s9, s9, s8
	v_mov_b32_e32 v2, s9
	s_waitcnt lgkmcnt(0)
	ds_read_b64 v[2:3], v2 offset:8448
	v_add_u32_e32 v18, s8, v6
	ds_read_b64 v[4:5], v18
	s_waitcnt lgkmcnt(1)
	v_cmp_neq_f64_e32 vcc, 0, v[2:3]
	s_nop 1
	v_cndmask_b32_e32 v3, v13, v3, vcc
	s_nor_b64 s[16:17], vcc, s[2:3]
	v_cndmask_b32_e32 v2, 0, v2, vcc
	s_and_saveexec_b64 s[8:9], s[16:17]
	s_cbranch_execz .LBB34_101
; %bb.98:                               ;   in Loop: Header=BB34_95 Depth=1
	v_mbcnt_lo_u32_b32 v2, exec_lo, 0
	v_mbcnt_hi_u32_b32 v2, exec_hi, v2
	v_cmp_eq_u32_e32 vcc, 0, v2
	s_and_saveexec_b64 s[16:17], vcc
	s_cbranch_execz .LBB34_100
; %bb.99:                               ;   in Loop: Header=BB34_95 Depth=1
	global_atomic_smin v15, v19, s[14:15]
.LBB34_100:                             ;   in Loop: Header=BB34_95 Depth=1
	s_or_b64 exec, exec, s[16:17]
	v_mov_b64_e32 v[2:3], 1.0
.LBB34_101:                             ;   in Loop: Header=BB34_95 Depth=1
	s_or_b64 exec, exec, s[8:9]
	v_cmp_lt_u32_e32 vcc, s18, v0
	s_and_saveexec_b64 s[8:9], vcc
	s_cbranch_execz .LBB34_94
; %bb.102:                              ;   in Loop: Header=BB34_95 Depth=1
	v_lshl_add_u32 v20, s18, 3, v7
	ds_read_b64 v[20:21], v20
	s_waitcnt lgkmcnt(0)
	v_add_f64 v[4:5], v[4:5], -v[20:21]
	v_div_scale_f64 v[20:21], s[16:17], v[2:3], v[2:3], v[4:5]
	v_rcp_f64_e32 v[22:23], v[20:21]
	v_div_scale_f64 v[24:25], vcc, v[4:5], v[2:3], v[4:5]
	v_fma_f64 v[26:27], -v[20:21], v[22:23], 1.0
	v_fmac_f64_e32 v[22:23], v[22:23], v[26:27]
	v_fma_f64 v[26:27], -v[20:21], v[22:23], 1.0
	v_fmac_f64_e32 v[22:23], v[22:23], v[26:27]
	v_mul_f64 v[26:27], v[24:25], v[22:23]
	v_fma_f64 v[20:21], -v[20:21], v[26:27], v[24:25]
	v_div_fmas_f64 v[20:21], v[20:21], v[22:23], v[26:27]
	v_div_fixup_f64 v[2:3], v[20:21], v[2:3], v[4:5]
	ds_write_b64 v18, v[2:3]
	s_waitcnt lgkmcnt(0)
	s_and_b64 exec, exec, s[0:1]
	s_cbranch_execz .LBB34_94
; %bb.103:                              ;   in Loop: Header=BB34_95 Depth=1
	s_mov_b64 s[16:17], 0
	v_mov_b32_e32 v4, v11
	v_mov_b32_e32 v5, v10
	;; [unrolled: 1-line block ×3, first 2 shown]
.LBB34_104:                             ;   Parent Loop BB34_95 Depth=1
                                        ; =>  This Inner Loop Header: Depth=2
	ds_read_b64 v[20:21], v4
	ds_read_b64 v[22:23], v5
	v_add_u32_e32 v18, 2, v18
	v_cmp_le_i32_e32 vcc, s46, v18
	s_or_b64 s[16:17], vcc, s[16:17]
	v_add_u32_e32 v4, 0x210, v4
	s_waitcnt lgkmcnt(0)
	v_fmac_f64_e32 v[22:23], v[2:3], v[20:21]
	ds_write_b64 v5, v[22:23]
	v_add_u32_e32 v5, 16, v5
	s_andn2_b64 exec, exec, s[16:17]
	s_cbranch_execnz .LBB34_104
	s_branch .LBB34_94
.LBB34_105:
	s_and_saveexec_b64 s[2:3], s[0:1]
	s_cbranch_execz .LBB34_114
; %bb.106:
	s_mul_i32 s33, s33, s46
	v_add_u32_e32 v2, s33, v0
	s_cmp_lg_u32 s47, 0
	v_mul_lo_u32 v6, v2, s46
	v_mul_u32_u24_e32 v2, 0x108, v0
	s_movk_i32 s8, 0x2100
	v_cmp_gt_i32_e64 s[0:1], s46, v0
	s_cselect_b64 s[4:5], -1, 0
	v_add3_u32 v7, v2, v14, s8
	s_mov_b64 s[8:9], 0
	v_mov_b32_e32 v8, v1
	s_branch .LBB34_110
.LBB34_107:                             ;   in Loop: Header=BB34_110 Depth=1
	v_add_u32_e32 v4, v6, v8
.LBB34_108:                             ;   in Loop: Header=BB34_110 Depth=1
	v_ashrrev_i32_e32 v5, 31, v4
	v_lshl_add_u64 v[4:5], v[4:5], 3, s[20:21]
	s_waitcnt lgkmcnt(0)
	global_store_dwordx2 v[4:5], v[2:3], off
.LBB34_109:                             ;   in Loop: Header=BB34_110 Depth=1
	s_or_b64 exec, exec, s[16:17]
	v_add_u32_e32 v8, 2, v8
	v_cmp_le_i32_e32 vcc, s46, v8
	s_or_b64 s[8:9], vcc, s[8:9]
	v_add_u32_e32 v7, 16, v7
	s_andn2_b64 exec, exec, s[8:9]
	s_cbranch_execz .LBB34_114
.LBB34_110:                             ; =>This Inner Loop Header: Depth=1
	s_and_saveexec_b64 s[16:17], s[0:1]
	s_cbranch_execz .LBB34_109
; %bb.111:                              ;   in Loop: Header=BB34_110 Depth=1
	ds_read_b64 v[2:3], v7
	s_and_b64 vcc, exec, s[4:5]
	s_cbranch_vccz .LBB34_113
; %bb.112:                              ;   in Loop: Header=BB34_110 Depth=1
	v_add_u32_e32 v4, s33, v8
	v_mad_u64_u32 v[4:5], s[18:19], v4, s46, v[0:1]
	s_cbranch_execnz .LBB34_108
	s_branch .LBB34_107
.LBB34_113:                             ;   in Loop: Header=BB34_110 Depth=1
                                        ; implicit-def: $vgpr4
	s_branch .LBB34_107
.LBB34_114:
	s_or_b64 exec, exec, s[2:3]
	v_or_b32_e32 v2, v1, v0
	v_cmp_eq_u32_e32 vcc, 0, v2
	s_and_saveexec_b64 s[0:1], vcc
	s_cbranch_execz .LBB34_116
; %bb.115:
	s_add_u32 s2, s10, s6
	s_addc_u32 s3, s11, s7
	v_mov_b32_e32 v2, 0
	v_mov_b32_e32 v3, 1
	buffer_wbl2 sc1
	s_waitcnt vmcnt(0)
	global_store_dword v2, v3, s[2:3] sc1
.LBB34_116:
	s_or_b64 exec, exec, s[0:1]
.LBB34_117:
	s_endpgm
.LBB34_118:
	s_cbranch_execz .LBB34_117
; %bb.119:
	v_or_b32_e32 v0, v1, v0
	v_cmp_eq_u32_e32 vcc, 0, v0
	s_and_saveexec_b64 s[0:1], vcc
	s_cbranch_execz .LBB34_117
; %bb.120:
	v_mbcnt_lo_u32_b32 v0, exec_lo, 0
	v_mbcnt_hi_u32_b32 v0, exec_hi, v0
	v_cmp_eq_u32_e32 vcc, 0, v0
	s_and_saveexec_b64 s[0:1], vcc
	s_cbranch_execz .LBB34_122
; %bb.121:
	s_add_i32 s2, s12, s13
	v_mov_b32_e32 v0, 0
	v_mov_b32_e32 v1, s2
	global_atomic_smin v0, v1, s[14:15]
.LBB34_122:
	s_or_b64 exec, exec, s[0:1]
	s_add_u32 s0, s10, s6
	s_addc_u32 s1, s11, s7
	v_mov_b32_e32 v0, 0
	v_mov_b32_e32 v1, 1
	buffer_wbl2 sc1
	s_waitcnt vmcnt(0)
	global_store_dword v0, v1, s[0:1] sc1
	s_endpgm
	.section	.rodata,"a",@progbits
	.p2align	6, 0x0
	.amdhsa_kernel _ZN9rocsparseL19bsric0_17_32_kernelILi64ELi64ELi32EdEEv20rocsparse_direction_iiPKiS3_PT2_S3_PiS3_S6_21rocsparse_index_base_
		.amdhsa_group_segment_fixed_size 26112
		.amdhsa_private_segment_fixed_size 0
		.amdhsa_kernarg_size 76
		.amdhsa_user_sgpr_count 2
		.amdhsa_user_sgpr_dispatch_ptr 0
		.amdhsa_user_sgpr_queue_ptr 0
		.amdhsa_user_sgpr_kernarg_segment_ptr 1
		.amdhsa_user_sgpr_dispatch_id 0
		.amdhsa_user_sgpr_kernarg_preload_length 0
		.amdhsa_user_sgpr_kernarg_preload_offset 0
		.amdhsa_user_sgpr_private_segment_size 0
		.amdhsa_uses_dynamic_stack 0
		.amdhsa_enable_private_segment 0
		.amdhsa_system_sgpr_workgroup_id_x 1
		.amdhsa_system_sgpr_workgroup_id_y 0
		.amdhsa_system_sgpr_workgroup_id_z 0
		.amdhsa_system_sgpr_workgroup_info 0
		.amdhsa_system_vgpr_workitem_id 1
		.amdhsa_next_free_vgpr 169
		.amdhsa_next_free_sgpr 96
		.amdhsa_accum_offset 32
		.amdhsa_reserve_vcc 1
		.amdhsa_float_round_mode_32 0
		.amdhsa_float_round_mode_16_64 0
		.amdhsa_float_denorm_mode_32 3
		.amdhsa_float_denorm_mode_16_64 3
		.amdhsa_dx10_clamp 1
		.amdhsa_ieee_mode 1
		.amdhsa_fp16_overflow 0
		.amdhsa_tg_split 0
		.amdhsa_exception_fp_ieee_invalid_op 0
		.amdhsa_exception_fp_denorm_src 0
		.amdhsa_exception_fp_ieee_div_zero 0
		.amdhsa_exception_fp_ieee_overflow 0
		.amdhsa_exception_fp_ieee_underflow 0
		.amdhsa_exception_fp_ieee_inexact 0
		.amdhsa_exception_int_div_zero 0
	.end_amdhsa_kernel
	.section	.text._ZN9rocsparseL19bsric0_17_32_kernelILi64ELi64ELi32EdEEv20rocsparse_direction_iiPKiS3_PT2_S3_PiS3_S6_21rocsparse_index_base_,"axG",@progbits,_ZN9rocsparseL19bsric0_17_32_kernelILi64ELi64ELi32EdEEv20rocsparse_direction_iiPKiS3_PT2_S3_PiS3_S6_21rocsparse_index_base_,comdat
.Lfunc_end34:
	.size	_ZN9rocsparseL19bsric0_17_32_kernelILi64ELi64ELi32EdEEv20rocsparse_direction_iiPKiS3_PT2_S3_PiS3_S6_21rocsparse_index_base_, .Lfunc_end34-_ZN9rocsparseL19bsric0_17_32_kernelILi64ELi64ELi32EdEEv20rocsparse_direction_iiPKiS3_PT2_S3_PiS3_S6_21rocsparse_index_base_
                                        ; -- End function
	.set _ZN9rocsparseL19bsric0_17_32_kernelILi64ELi64ELi32EdEEv20rocsparse_direction_iiPKiS3_PT2_S3_PiS3_S6_21rocsparse_index_base_.num_vgpr, 32
	.set _ZN9rocsparseL19bsric0_17_32_kernelILi64ELi64ELi32EdEEv20rocsparse_direction_iiPKiS3_PT2_S3_PiS3_S6_21rocsparse_index_base_.num_agpr, 0
	.set _ZN9rocsparseL19bsric0_17_32_kernelILi64ELi64ELi32EdEEv20rocsparse_direction_iiPKiS3_PT2_S3_PiS3_S6_21rocsparse_index_base_.numbered_sgpr, 56
	.set _ZN9rocsparseL19bsric0_17_32_kernelILi64ELi64ELi32EdEEv20rocsparse_direction_iiPKiS3_PT2_S3_PiS3_S6_21rocsparse_index_base_.num_named_barrier, 0
	.set _ZN9rocsparseL19bsric0_17_32_kernelILi64ELi64ELi32EdEEv20rocsparse_direction_iiPKiS3_PT2_S3_PiS3_S6_21rocsparse_index_base_.private_seg_size, 0
	.set _ZN9rocsparseL19bsric0_17_32_kernelILi64ELi64ELi32EdEEv20rocsparse_direction_iiPKiS3_PT2_S3_PiS3_S6_21rocsparse_index_base_.uses_vcc, 1
	.set _ZN9rocsparseL19bsric0_17_32_kernelILi64ELi64ELi32EdEEv20rocsparse_direction_iiPKiS3_PT2_S3_PiS3_S6_21rocsparse_index_base_.uses_flat_scratch, 0
	.set _ZN9rocsparseL19bsric0_17_32_kernelILi64ELi64ELi32EdEEv20rocsparse_direction_iiPKiS3_PT2_S3_PiS3_S6_21rocsparse_index_base_.has_dyn_sized_stack, 0
	.set _ZN9rocsparseL19bsric0_17_32_kernelILi64ELi64ELi32EdEEv20rocsparse_direction_iiPKiS3_PT2_S3_PiS3_S6_21rocsparse_index_base_.has_recursion, 0
	.set _ZN9rocsparseL19bsric0_17_32_kernelILi64ELi64ELi32EdEEv20rocsparse_direction_iiPKiS3_PT2_S3_PiS3_S6_21rocsparse_index_base_.has_indirect_call, 0
	.section	.AMDGPU.csdata,"",@progbits
; Kernel info:
; codeLenInByte = 3544
; TotalNumSgprs: 62
; NumVgprs: 32
; NumAgprs: 0
; TotalNumVgprs: 32
; ScratchSize: 0
; MemoryBound: 0
; FloatMode: 240
; IeeeMode: 1
; LDSByteSize: 26112 bytes/workgroup (compile time only)
; SGPRBlocks: 12
; VGPRBlocks: 21
; NumSGPRsForWavesPerEU: 102
; NumVGPRsForWavesPerEU: 169
; AccumOffset: 32
; Occupancy: 2
; WaveLimiterHint : 1
; COMPUTE_PGM_RSRC2:SCRATCH_EN: 0
; COMPUTE_PGM_RSRC2:USER_SGPR: 2
; COMPUTE_PGM_RSRC2:TRAP_HANDLER: 0
; COMPUTE_PGM_RSRC2:TGID_X_EN: 1
; COMPUTE_PGM_RSRC2:TGID_Y_EN: 0
; COMPUTE_PGM_RSRC2:TGID_Z_EN: 0
; COMPUTE_PGM_RSRC2:TIDIG_COMP_CNT: 1
; COMPUTE_PGM_RSRC3_GFX90A:ACCUM_OFFSET: 7
; COMPUTE_PGM_RSRC3_GFX90A:TG_SPLIT: 0
	.section	.text._ZN9rocsparseL17bsric0_2_8_kernelILi64ELi128ELi8EdEEv20rocsparse_direction_iiPKiS3_PT2_S3_PiS3_S6_21rocsparse_index_base_,"axG",@progbits,_ZN9rocsparseL17bsric0_2_8_kernelILi64ELi128ELi8EdEEv20rocsparse_direction_iiPKiS3_PT2_S3_PiS3_S6_21rocsparse_index_base_,comdat
	.globl	_ZN9rocsparseL17bsric0_2_8_kernelILi64ELi128ELi8EdEEv20rocsparse_direction_iiPKiS3_PT2_S3_PiS3_S6_21rocsparse_index_base_ ; -- Begin function _ZN9rocsparseL17bsric0_2_8_kernelILi64ELi128ELi8EdEEv20rocsparse_direction_iiPKiS3_PT2_S3_PiS3_S6_21rocsparse_index_base_
	.p2align	8
	.type	_ZN9rocsparseL17bsric0_2_8_kernelILi64ELi128ELi8EdEEv20rocsparse_direction_iiPKiS3_PT2_S3_PiS3_S6_21rocsparse_index_base_,@function
_ZN9rocsparseL17bsric0_2_8_kernelILi64ELi128ELi8EdEEv20rocsparse_direction_iiPKiS3_PT2_S3_PiS3_S6_21rocsparse_index_base_: ; @_ZN9rocsparseL17bsric0_2_8_kernelILi64ELi128ELi8EdEEv20rocsparse_direction_iiPKiS3_PT2_S3_PiS3_S6_21rocsparse_index_base_
; %bb.0:
	s_load_dwordx8 s[8:15], s[0:1], 0x28
	s_mov_b32 s3, 0
	s_lshl_b64 s[2:3], s[2:3], 2
	v_and_b32_e32 v14, 0x3ff, v0
	v_bfe_u32 v15, v0, 10, 10
	s_waitcnt lgkmcnt(0)
	s_add_u32 s2, s12, s2
	s_addc_u32 s3, s13, s3
	s_load_dword s12, s[2:3], 0x0
	s_waitcnt lgkmcnt(0)
	s_ashr_i32 s13, s12, 31
	s_lshl_b64 s[6:7], s[12:13], 2
	s_add_u32 s2, s8, s6
	s_addc_u32 s3, s9, s7
	s_load_dword s33, s[2:3], 0x0
	s_load_dword s13, s[0:1], 0x48
	s_waitcnt lgkmcnt(0)
	s_cmp_lg_u32 s33, -1
	s_cbranch_scc0 .LBB35_89
; %bb.1:
	s_load_dwordx4 s[16:19], s[0:1], 0x10
	s_load_dwordx2 s[20:21], s[0:1], 0x20
	v_lshlrev_b32_e32 v16, 3, v15
	v_add_u32_e32 v1, v16, v14
	s_waitcnt lgkmcnt(0)
	s_add_u32 s2, s16, s6
	s_addc_u32 s3, s17, s7
	s_load_dword s26, s[2:3], 0x0
	s_waitcnt lgkmcnt(0)
	s_sub_i32 s41, s26, s13
	v_add_u32_e32 v0, s41, v1
	v_cmp_ge_i32_e32 vcc, s33, v0
	s_and_saveexec_b64 s[2:3], vcc
	s_cbranch_execz .LBB35_14
; %bb.2:
	v_add_u32_e32 v1, s26, v1
	v_subrev_u32_e32 v1, s13, v1
	v_add_u32_e32 v1, 64, v1
	s_add_i32 s4, s33, 1
	v_max_i32_e32 v1, s4, v1
	v_not_b32_e32 v2, v14
	v_add3_u32 v1, s13, v1, v2
	v_add_u32_e32 v2, s26, v16
	v_sub_u32_e32 v1, v1, v2
	v_cmp_lt_u32_e32 vcc, 63, v1
	s_mov_b64 s[22:23], -1
	s_and_saveexec_b64 s[4:5], vcc
	s_cbranch_execz .LBB35_11
; %bb.3:
	v_lshrrev_b32_e32 v4, 6, v1
	v_add_u32_e32 v2, -1, v4
	v_add_u32_e32 v1, 64, v0
	v_lshrrev_b32_e32 v3, 1, v2
	v_add_u32_e32 v5, 1, v3
	v_cmp_lt_u32_e32 vcc, 13, v2
	v_mov_b64_e32 v[2:3], v[0:1]
	s_and_saveexec_b64 s[22:23], vcc
	s_cbranch_execz .LBB35_7
; %bb.4:
	v_and_b32_e32 v6, -8, v5
	s_mov_b64 s[24:25], 0
	v_mov_b64_e32 v[2:3], v[0:1]
.LBB35_5:                               ; =>This Inner Loop Header: Depth=1
	v_ashrrev_i32_e32 v11, 31, v2
	v_mov_b32_e32 v10, v2
	v_ashrrev_i32_e32 v9, 31, v3
	v_mov_b32_e32 v8, v3
	v_add_u32_e32 v12, 0x80, v2
	v_add_u32_e32 v18, 0x80, v3
	v_lshl_add_u64 v[10:11], v[10:11], 2, s[18:19]
	v_add_u32_e32 v20, 0x100, v2
	v_add_u32_e32 v22, 0x100, v3
	;; [unrolled: 1-line block ×12, first 2 shown]
	v_lshl_add_u64 v[8:9], v[8:9], 2, s[18:19]
	v_ashrrev_i32_e32 v19, 31, v18
	v_ashrrev_i32_e32 v13, 31, v12
	global_load_dword v1, v[10:11], off
	global_load_dword v7, v[8:9], off
	v_ashrrev_i32_e32 v23, 31, v22
	v_ashrrev_i32_e32 v21, 31, v20
	;; [unrolled: 1-line block ×12, first 2 shown]
	v_lshl_add_u64 v[8:9], v[12:13], 2, s[18:19]
	v_lshl_add_u64 v[10:11], v[18:19], 2, s[18:19]
	;; [unrolled: 1-line block ×13, first 2 shown]
	global_load_dword v13, v[10:11], off
	v_lshl_add_u64 v[10:11], v[42:43], 2, s[18:19]
	global_load_dword v17, v[8:9], off
	global_load_dword v19, v[46:47], off
	;; [unrolled: 1-line block ×13, first 2 shown]
	v_subrev_u32_e32 v9, s41, v2
	v_add_u32_e32 v6, -8, v6
	v_subrev_u32_e32 v8, s41, v3
	v_lshlrev_b32_e32 v9, 2, v9
	v_subrev_u32_e32 v11, s41, v12
	v_cmp_eq_u32_e32 vcc, 0, v6
	v_add_u32_e32 v3, 0x400, v3
	v_add_u32_e32 v2, 0x400, v2
	v_lshlrev_b32_e32 v8, 2, v8
	v_subrev_u32_e32 v10, s41, v18
	v_subrev_u32_e32 v12, s41, v22
	;; [unrolled: 1-line block ×13, first 2 shown]
	v_lshlrev_b32_e32 v11, 2, v11
	s_or_b64 s[24:25], vcc, s[24:25]
	v_lshlrev_b32_e32 v10, 2, v10
	v_lshlrev_b32_e32 v18, 2, v18
	;; [unrolled: 1-line block ×13, first 2 shown]
	s_waitcnt vmcnt(15)
	v_subrev_u32_e32 v1, s13, v1
	s_waitcnt vmcnt(14)
	v_subrev_u32_e32 v7, s13, v7
	ds_write_b32 v9, v1 offset:3328
	ds_write_b32 v8, v7 offset:3328
	s_waitcnt vmcnt(12)
	v_subrev_u32_e32 v7, s13, v17
	s_waitcnt vmcnt(11)
	v_subrev_u32_e32 v8, s13, v19
	;; [unrolled: 2-line block ×8, first 2 shown]
	v_subrev_u32_e32 v1, s13, v13
	v_subrev_u32_e32 v13, s13, v23
	;; [unrolled: 1-line block ×3, first 2 shown]
	s_waitcnt vmcnt(2)
	v_subrev_u32_e32 v29, s13, v37
	s_waitcnt vmcnt(1)
	v_subrev_u32_e32 v31, s13, v39
	;; [unrolled: 2-line block ×3, first 2 shown]
	ds_write_b32 v11, v7 offset:3328
	ds_write_b32 v10, v1 offset:3328
	;; [unrolled: 1-line block ×14, first 2 shown]
	s_andn2_b64 exec, exec, s[24:25]
	s_cbranch_execnz .LBB35_5
; %bb.6:
	s_or_b64 exec, exec, s[24:25]
.LBB35_7:
	s_or_b64 exec, exec, s[22:23]
	v_and_b32_e32 v1, 7, v5
	v_cmp_ne_u32_e32 vcc, 0, v1
	s_and_saveexec_b64 s[22:23], vcc
	s_cbranch_execz .LBB35_10
; %bb.8:
	s_mov_b64 s[24:25], 0
.LBB35_9:                               ; =>This Inner Loop Header: Depth=1
	v_ashrrev_i32_e32 v7, 31, v3
	v_mov_b32_e32 v6, v3
	v_ashrrev_i32_e32 v9, 31, v2
	v_mov_b32_e32 v8, v2
	v_lshl_add_u64 v[6:7], v[6:7], 2, s[18:19]
	v_lshl_add_u64 v[8:9], v[8:9], 2, s[18:19]
	global_load_dword v5, v[6:7], off
	global_load_dword v10, v[8:9], off
	v_add_u32_e32 v1, -1, v1
	v_subrev_u32_e32 v7, s41, v2
	v_cmp_eq_u32_e32 vcc, 0, v1
	v_subrev_u32_e32 v6, s41, v3
	v_add_u32_e32 v3, 0x80, v3
	v_add_u32_e32 v2, 0x80, v2
	v_lshlrev_b32_e32 v7, 2, v7
	s_or_b64 s[24:25], vcc, s[24:25]
	v_lshlrev_b32_e32 v6, 2, v6
	s_waitcnt vmcnt(1)
	v_subrev_u32_e32 v5, s13, v5
	s_waitcnt vmcnt(0)
	v_subrev_u32_e32 v8, s13, v10
	ds_write_b32 v7, v8 offset:3328
	ds_write_b32 v6, v5 offset:3328
	s_andn2_b64 exec, exec, s[24:25]
	s_cbranch_execnz .LBB35_9
.LBB35_10:
	s_or_b64 exec, exec, s[22:23]
	v_add_u32_e32 v1, 1, v4
	v_and_b32_e32 v2, 0x7fffffe, v1
	v_cmp_ne_u32_e32 vcc, v1, v2
	v_lshl_add_u32 v0, v2, 6, v0
	s_orn2_b64 s[22:23], vcc, exec
.LBB35_11:
	s_or_b64 exec, exec, s[4:5]
	s_and_b64 exec, exec, s[22:23]
	s_cbranch_execz .LBB35_14
; %bb.12:
	v_add_u32_e32 v1, s13, v0
	v_subrev_u32_e32 v1, s26, v1
	v_mov_b32_e32 v2, 0xd00
	v_lshl_add_u32 v4, v1, 2, v2
	v_ashrrev_i32_e32 v1, 31, v0
	v_lshl_add_u64 v[2:3], v[0:1], 2, s[18:19]
	s_mov_b64 s[4:5], 0
	s_mov_b64 s[22:23], 0x100
.LBB35_13:                              ; =>This Inner Loop Header: Depth=1
	global_load_dword v1, v[2:3], off
	v_add_u32_e32 v0, 64, v0
	v_cmp_lt_i32_e32 vcc, s33, v0
	v_lshl_add_u64 v[2:3], v[2:3], 0, s[22:23]
	s_or_b64 s[4:5], vcc, s[4:5]
	s_waitcnt vmcnt(0)
	v_subrev_u32_e32 v1, s13, v1
	ds_write_b32 v4, v1
	v_add_u32_e32 v4, 0x100, v4
	s_andn2_b64 exec, exec, s[4:5]
	s_cbranch_execnz .LBB35_13
.LBB35_14:
	s_or_b64 exec, exec, s[2:3]
	s_load_dword s42, s[0:1], 0x0
	s_load_dword s40, s[0:1], 0x8
	s_movk_i32 s26, 0x48
	v_mov_b32_e32 v0, 0x6c0
	v_mad_u32_u24 v18, v15, s26, v0
	v_mov_b32_e32 v0, 0
	v_lshl_add_u32 v17, v14, 3, v18
	v_mov_b32_e32 v1, v0
	s_cmp_ge_i32 s41, s33
	ds_write_b64 v17, v[0:1]
	s_waitcnt lgkmcnt(0)
	s_cbranch_scc1 .LBB35_67
; %bb.15:
	s_cmp_lg_u32 s42, 0
	s_cselect_b64 s[22:23], -1, 0
	s_cmp_eq_u32 s42, 0
	v_cmp_gt_i32_e64 s[0:1], s40, v14
	v_cmp_gt_i32_e64 s[2:3], s40, v15
	v_mov_b32_e32 v2, 0x480
	v_mov_b32_e32 v5, 0x240
	s_cselect_b64 vcc, -1, 0
	s_and_b64 s[24:25], s[0:1], s[2:3]
	v_mad_u32_u24 v1, v15, s26, v2
	v_lshlrev_b32_e32 v4, 3, v14
	v_mad_u32_u24 v22, v15, s26, v5
	v_add_u32_e32 v3, v1, v4
	v_mad_u32_u24 v19, v15, s26, v4
	s_cmp_gt_i32 s40, 0
	v_add_u32_e32 v23, v22, v4
	v_or_b32_e32 v4, v14, v15
	s_mul_i32 s43, s40, s40
	v_mul_lo_u32 v20, s40, v14
	v_mul_lo_u32 v21, s40, v15
	v_cmp_ne_u32_e64 s[4:5], 0, v4
	v_mad_u32_u24 v24, v14, s26, v2
	v_cndmask_b32_e32 v2, v15, v14, vcc
	v_cndmask_b32_e32 v25, v14, v15, vcc
	s_cselect_b64 s[26:27], -1, 0
	v_mov_b32_e32 v26, 0x3ff00000
	s_mov_b32 s28, s41
	s_branch .LBB35_17
.LBB35_16:                              ;   in Loop: Header=BB35_17 Depth=1
	s_or_b64 exec, exec, s[30:31]
	s_add_i32 s28, s28, 1
	s_cmp_ge_i32 s28, s33
	s_cselect_b64 s[30:31], -1, 0
	buffer_wbl2 sc1
	s_waitcnt vmcnt(0)
	buffer_inv sc1
	s_and_b64 vcc, exec, s[30:31]
	s_cbranch_vccnz .LBB35_67
.LBB35_17:                              ; =>This Loop Header: Depth=1
                                        ;     Child Loop BB35_22 Depth 2
                                        ;     Child Loop BB35_33 Depth 2
	;; [unrolled: 1-line block ×4, first 2 shown]
                                        ;       Child Loop BB35_63 Depth 3
	s_ashr_i32 s29, s28, 31
	s_lshl_b64 s[30:31], s[28:29], 2
	s_add_u32 s30, s18, s30
	s_addc_u32 s31, s19, s31
	s_load_dword s29, s[30:31], 0x0
	s_waitcnt lgkmcnt(0)
	s_sub_i32 s34, s29, s13
	s_ashr_i32 s35, s34, 31
	s_lshl_b64 s[30:31], s[34:35], 2
	s_add_u32 s36, s8, s30
	s_addc_u32 s37, s9, s31
	s_load_dword s35, s[36:37], 0x0
	s_waitcnt lgkmcnt(0)
	s_cmp_eq_u32 s35, -1
	s_cbranch_scc1 .LBB35_66
; %bb.18:                               ;   in Loop: Header=BB35_17 Depth=1
	s_add_u32 s36, s16, s30
	s_mul_i32 s38, s28, s40
	s_addc_u32 s37, s17, s31
	v_mov_b64_e32 v[4:5], 0
	v_add_u32_e32 v27, s38, v25
	s_and_saveexec_b64 s[38:39], s[24:25]
	s_cbranch_execz .LBB35_20
; %bb.19:                               ;   in Loop: Header=BB35_17 Depth=1
	v_mad_u64_u32 v[4:5], s[44:45], v27, s40, v[2:3]
	v_ashrrev_i32_e32 v5, 31, v4
	v_lshl_add_u64 v[4:5], v[4:5], 3, s[20:21]
	global_load_dwordx2 v[4:5], v[4:5], off
.LBB35_20:                              ;   in Loop: Header=BB35_17 Depth=1
	s_or_b64 exec, exec, s[38:39]
	s_load_dword s36, s[36:37], 0x0
	ds_read_b32 v6, v0 offset:3328
	s_mov_b32 s37, 0
	s_waitcnt vmcnt(0)
	ds_write_b64 v3, v[4:5]
	s_waitcnt lgkmcnt(0)
	s_sub_i32 s36, s36, s13
	s_cmp_le_i32 s36, s35
	v_cmp_ge_i32_e32 vcc, s34, v6
	s_cselect_b64 s[38:39], -1, 0
	s_and_b64 s[38:39], s[38:39], vcc
	s_andn2_b64 vcc, exec, s[38:39]
	s_cbranch_vccnz .LBB35_32
; %bb.21:                               ;   in Loop: Header=BB35_17 Depth=1
	s_mov_b32 s44, 0
	s_mov_b32 s45, 0
.LBB35_22:                              ;   Parent Loop BB35_17 Depth=1
                                        ; =>  This Inner Loop Header: Depth=2
	s_ashr_i32 s37, s36, 31
	s_lshl_b64 s[38:39], s[36:37], 2
	s_add_u32 s38, s18, s38
	s_addc_u32 s39, s19, s39
	s_load_dword s37, s[38:39], 0x0
	s_lshl_b32 s38, s45, 2
	v_mov_b32_e32 v4, s38
	ds_read_b32 v4, v4 offset:3328
	s_mov_b64 s[38:39], -1
	s_waitcnt lgkmcnt(0)
	s_sub_i32 s49, s37, s13
                                        ; implicit-def: $sgpr37
                                        ; implicit-def: $sgpr48
                                        ; implicit-def: $sgpr47
	v_cmp_ge_i32_e32 vcc, s49, v4
	v_readfirstlane_b32 s46, v4
	s_cbranch_vccz .LBB35_28
; %bb.23:                               ;   in Loop: Header=BB35_22 Depth=2
	s_cmp_le_i32 s49, s46
                                        ; implicit-def: $sgpr37
                                        ; implicit-def: $sgpr48
                                        ; implicit-def: $sgpr47
	s_cbranch_scc0 .LBB35_25
; %bb.24:                               ;   in Loop: Header=BB35_22 Depth=2
	s_add_i32 s37, s45, s41
	s_mul_i32 s37, s37, s43
	s_lshl_b32 s38, s44, 2
	v_mov_b32_e32 v5, s37
	s_mul_i32 s37, s36, s43
	v_mov_b32_e32 v4, s38
	v_mov_b32_e32 v6, s37
	ds_write2st64_b32 v4, v6, v5 offset0:9 offset1:11
	s_add_i32 s47, s45, 1
	s_add_i32 s48, s36, 1
	;; [unrolled: 1-line block ×3, first 2 shown]
	s_mov_b64 s[38:39], 0
.LBB35_25:                              ;   in Loop: Header=BB35_22 Depth=2
	s_andn2_b64 vcc, exec, s[38:39]
	s_cbranch_vccnz .LBB35_27
; %bb.26:                               ;   in Loop: Header=BB35_22 Depth=2
	s_add_i32 s47, s45, 1
	s_mov_b32 s37, s44
	s_mov_b32 s48, s36
.LBB35_27:                              ;   in Loop: Header=BB35_22 Depth=2
	s_mov_b64 s[38:39], 0
.LBB35_28:                              ;   in Loop: Header=BB35_22 Depth=2
	s_andn2_b64 vcc, exec, s[38:39]
	s_cbranch_vccnz .LBB35_30
; %bb.29:                               ;   in Loop: Header=BB35_22 Depth=2
	s_add_i32 s48, s36, 1
	s_mov_b32 s47, s45
	s_mov_b32 s37, s44
.LBB35_30:                              ;   in Loop: Header=BB35_22 Depth=2
	s_cmp_le_i32 s48, s35
	s_cselect_b64 s[38:39], -1, 0
	s_cmp_le_i32 s46, s34
	s_cselect_b64 s[44:45], -1, 0
	s_and_b64 s[38:39], s[38:39], s[44:45]
	s_and_b64 vcc, exec, s[38:39]
	s_cbranch_vccz .LBB35_32
; %bb.31:                               ;   in Loop: Header=BB35_22 Depth=2
	s_mov_b32 s44, s37
	s_mov_b32 s36, s48
	;; [unrolled: 1-line block ×3, first 2 shown]
	s_branch .LBB35_22
.LBB35_32:                              ;   in Loop: Header=BB35_17 Depth=1
	s_add_u32 s30, s10, s30
	s_addc_u32 s31, s11, s31
	s_waitcnt lgkmcnt(0)
.LBB35_33:                              ;   Parent Loop BB35_17 Depth=1
                                        ; =>  This Inner Loop Header: Depth=2
	global_load_dword v4, v0, s[30:31] sc1
	s_waitcnt vmcnt(0)
	v_cmp_eq_u32_e32 vcc, 0, v4
	s_cbranch_vccnz .LBB35_33
; %bb.34:                               ;   in Loop: Header=BB35_17 Depth=1
	v_mov_b64_e32 v[10:11], 0
	v_mov_b64_e32 v[4:5], 0
	buffer_inv sc1
	s_and_saveexec_b64 s[30:31], s[24:25]
	s_cbranch_execz .LBB35_36
; %bb.35:                               ;   in Loop: Header=BB35_17 Depth=1
	s_mul_i32 s35, s35, s40
	v_add_u32_e32 v4, s35, v25
	v_mad_u64_u32 v[4:5], s[34:35], v4, s40, v[2:3]
	v_ashrrev_i32_e32 v5, 31, v4
	v_lshl_add_u64 v[4:5], v[4:5], 3, s[20:21]
	global_load_dwordx2 v[4:5], v[4:5], off
.LBB35_36:                              ;   in Loop: Header=BB35_17 Depth=1
	s_or_b64 exec, exec, s[30:31]
	s_cmp_lt_i32 s37, 2
	s_waitcnt vmcnt(0)
	ds_write_b64 v19, v[4:5]
	s_waitcnt lgkmcnt(0)
	s_cbranch_scc1 .LBB35_55
; %bb.37:                               ;   in Loop: Header=BB35_17 Depth=1
	s_add_i32 s34, s37, -2
	s_mov_b32 s35, 0
	v_mov_b64_e32 v[4:5], 0
	s_andn2_b64 vcc, exec, s[26:27]
	s_cbranch_vccz .LBB35_40
	s_branch .LBB35_39
.LBB35_38:                              ;   in Loop: Header=BB35_17 Depth=1
	v_mov_b64_e32 v[4:5], v[10:11]
	s_mov_b32 s35, s30
	s_andn2_b64 vcc, exec, s[26:27]
	s_cbranch_vccz .LBB35_40
.LBB35_39:                              ;   in Loop: Header=BB35_17 Depth=1
	v_mov_b64_e32 v[10:11], v[4:5]
	s_branch .LBB35_54
.LBB35_40:                              ;   in Loop: Header=BB35_17 Depth=1
	s_lshl_b32 s30, s35, 2
	v_mov_b32_e32 v6, s30
	ds_read2st64_b32 v[8:9], v6 offset0:9 offset1:11
	s_mov_b32 s36, 0
	s_waitcnt lgkmcnt(0)
	v_add_u32_e32 v28, v8, v20
	v_add_u32_e32 v29, v9, v21
	;; [unrolled: 1-line block ×4, first 2 shown]
	s_mov_b64 s[30:31], -1
	s_and_b64 vcc, exec, s[22:23]
                                        ; implicit-def: $vgpr10_vgpr11
	s_cbranch_vccz .LBB35_47
	s_branch .LBB35_42
.LBB35_41:                              ;   in Loop: Header=BB35_47 Depth=2
	v_mov_b64_e32 v[4:5], v[10:11]
	s_mov_b64 s[30:31], -1
	s_and_b64 vcc, exec, s[22:23]
                                        ; implicit-def: $vgpr10_vgpr11
	s_cbranch_vccz .LBB35_47
.LBB35_42:                              ;   in Loop: Header=BB35_17 Depth=1
	v_mov_b64_e32 v[10:11], 0
	v_mov_b64_e32 v[12:13], 0
	s_and_saveexec_b64 s[30:31], s[0:1]
	s_cbranch_execz .LBB35_44
; %bb.43:                               ;   in Loop: Header=BB35_17 Depth=1
	v_ashrrev_i32_e32 v9, 31, v8
	v_lshl_add_u64 v[12:13], v[8:9], 3, s[20:21]
	global_load_dwordx2 v[12:13], v[12:13], off
.LBB35_44:                              ;   in Loop: Header=BB35_17 Depth=1
	s_or_b64 exec, exec, s[30:31]
	s_and_saveexec_b64 s[30:31], s[2:3]
	s_cbranch_execz .LBB35_46
; %bb.45:                               ;   in Loop: Header=BB35_17 Depth=1
	v_ashrrev_i32_e32 v7, 31, v6
	v_lshl_add_u64 v[10:11], v[6:7], 3, s[20:21]
	global_load_dwordx2 v[10:11], v[10:11], off
.LBB35_46:                              ;   in Loop: Header=BB35_17 Depth=1
	s_or_b64 exec, exec, s[30:31]
	s_waitcnt vmcnt(0)
	v_fma_f64 v[10:11], v[12:13], v[10:11], v[4:5]
	s_mov_b64 s[30:31], 0
.LBB35_47:                              ;   Parent Loop BB35_17 Depth=1
                                        ; =>  This Inner Loop Header: Depth=2
	s_and_b64 vcc, exec, s[30:31]
	s_cbranch_vccz .LBB35_53
; %bb.48:                               ;   in Loop: Header=BB35_47 Depth=2
	v_mov_b64_e32 v[10:11], 0
	v_mov_b64_e32 v[12:13], 0
	s_and_saveexec_b64 s[30:31], s[0:1]
	s_cbranch_execz .LBB35_50
; %bb.49:                               ;   in Loop: Header=BB35_47 Depth=2
	v_add_u32_e32 v12, s36, v28
	v_ashrrev_i32_e32 v13, 31, v12
	v_lshl_add_u64 v[12:13], v[12:13], 3, s[20:21]
	global_load_dwordx2 v[12:13], v[12:13], off
.LBB35_50:                              ;   in Loop: Header=BB35_47 Depth=2
	s_or_b64 exec, exec, s[30:31]
	s_and_saveexec_b64 s[30:31], s[2:3]
	s_cbranch_execz .LBB35_52
; %bb.51:                               ;   in Loop: Header=BB35_47 Depth=2
	v_add_u32_e32 v10, s36, v29
	v_ashrrev_i32_e32 v11, 31, v10
	v_lshl_add_u64 v[10:11], v[10:11], 3, s[20:21]
	global_load_dwordx2 v[10:11], v[10:11], off
.LBB35_52:                              ;   in Loop: Header=BB35_47 Depth=2
	s_or_b64 exec, exec, s[30:31]
	s_waitcnt vmcnt(0)
	v_fmac_f64_e32 v[4:5], v[12:13], v[10:11]
	v_mov_b64_e32 v[10:11], v[4:5]
.LBB35_53:                              ;   in Loop: Header=BB35_47 Depth=2
	s_add_i32 s36, s36, 1
	v_add_u32_e32 v6, s40, v6
	s_cmp_eq_u32 s40, s36
	v_add_u32_e32 v8, s40, v8
	s_cbranch_scc0 .LBB35_41
.LBB35_54:                              ;   in Loop: Header=BB35_17 Depth=1
	s_add_i32 s30, s35, 1
	s_cmp_eq_u32 s35, s34
	s_cbranch_scc0 .LBB35_38
.LBB35_55:                              ;   in Loop: Header=BB35_17 Depth=1
	s_andn2_b64 vcc, exec, s[26:27]
	ds_write_b64 v23, v[10:11]
	s_waitcnt lgkmcnt(0)
	s_cbranch_vccnz .LBB35_64
; %bb.56:                               ;   in Loop: Header=BB35_17 Depth=1
	s_mov_b32 s36, 0
	v_mov_b32_e32 v12, s29
	s_mov_b32 s29, 0
	s_branch .LBB35_58
.LBB35_57:                              ;   in Loop: Header=BB35_58 Depth=2
	s_waitcnt lgkmcnt(0)
	v_add_f64 v[6:7], v[6:7], -v[8:9]
	v_div_scale_f64 v[8:9], s[30:31], v[4:5], v[4:5], v[6:7]
	v_rcp_f64_e32 v[28:29], v[8:9]
	v_div_scale_f64 v[30:31], vcc, v[6:7], v[4:5], v[6:7]
	s_addk_i32 s36, 0x48
	v_fma_f64 v[32:33], -v[8:9], v[28:29], 1.0
	v_fmac_f64_e32 v[28:29], v[28:29], v[32:33]
	v_fma_f64 v[32:33], -v[8:9], v[28:29], 1.0
	v_fmac_f64_e32 v[28:29], v[28:29], v[32:33]
	v_mul_f64 v[32:33], v[30:31], v[28:29]
	v_fma_f64 v[8:9], -v[8:9], v[32:33], v[30:31]
	v_div_fmas_f64 v[8:9], v[8:9], v[28:29], v[32:33]
	v_div_fixup_f64 v[4:5], v[8:9], v[4:5], v[6:7]
	v_lshl_add_u32 v6, s29, 3, v24
	ds_write_b64 v10, v[4:5]
	s_waitcnt lgkmcnt(0)
	ds_read_b64 v[6:7], v6
	ds_read_b64 v[8:9], v17
	s_add_i32 s29, s29, 1
	s_cmp_eq_u32 s29, s40
	s_waitcnt lgkmcnt(0)
	v_fmac_f64_e32 v[8:9], v[4:5], v[6:7]
	ds_write_b64 v17, v[8:9]
	s_waitcnt lgkmcnt(0)
	s_cbranch_scc1 .LBB35_64
.LBB35_58:                              ;   Parent Loop BB35_17 Depth=1
                                        ; =>  This Loop Header: Depth=2
                                        ;       Child Loop BB35_63 Depth 3
	s_lshl_b32 s30, s29, 3
	s_mul_i32 s31, s29, 0x48
	s_add_i32 s31, s31, s30
	v_mov_b32_e32 v4, s31
	ds_read_b64 v[4:5], v4
	v_add_u32_e32 v10, s30, v1
	ds_read_b64 v[6:7], v10
	s_waitcnt lgkmcnt(1)
	v_cmp_neq_f64_e32 vcc, 0, v[4:5]
	s_nop 1
	v_cndmask_b32_e32 v5, v26, v5, vcc
	s_nor_b64 s[34:35], vcc, s[4:5]
	v_cndmask_b32_e32 v4, 0, v4, vcc
	s_and_saveexec_b64 s[30:31], s[34:35]
	s_cbranch_execz .LBB35_62
; %bb.59:                               ;   in Loop: Header=BB35_58 Depth=2
	v_mbcnt_lo_u32_b32 v4, exec_lo, 0
	v_mbcnt_hi_u32_b32 v4, exec_hi, v4
	v_cmp_eq_u32_e32 vcc, 0, v4
	s_and_saveexec_b64 s[34:35], vcc
	s_cbranch_execz .LBB35_61
; %bb.60:                               ;   in Loop: Header=BB35_58 Depth=2
	global_atomic_smin v0, v12, s[14:15]
.LBB35_61:                              ;   in Loop: Header=BB35_58 Depth=2
	s_or_b64 exec, exec, s[34:35]
	v_mov_b64_e32 v[4:5], 1.0
.LBB35_62:                              ;   in Loop: Header=BB35_58 Depth=2
	s_or_b64 exec, exec, s[30:31]
	v_lshl_add_u32 v8, s29, 3, v22
	ds_read_b64 v[8:9], v8
	s_cmp_eq_u32 s29, 0
	v_mov_b32_e32 v11, v1
	s_mov_b32 s30, s36
	s_mov_b32 s31, s29
	s_cbranch_scc1 .LBB35_57
.LBB35_63:                              ;   Parent Loop BB35_17 Depth=1
                                        ;     Parent Loop BB35_58 Depth=2
                                        ; =>    This Inner Loop Header: Depth=3
	v_mov_b32_e32 v13, s30
	ds_read_b64 v[28:29], v11
	ds_read_b64 v[30:31], v13
	s_add_i32 s31, s31, -1
	s_add_i32 s30, s30, 8
	v_add_u32_e32 v11, 8, v11
	s_cmp_eq_u32 s31, 0
	s_waitcnt lgkmcnt(0)
	v_fmac_f64_e32 v[8:9], v[30:31], v[28:29]
	s_cbranch_scc0 .LBB35_63
	s_branch .LBB35_57
.LBB35_64:                              ;   in Loop: Header=BB35_17 Depth=1
	s_and_saveexec_b64 s[30:31], s[24:25]
	s_cbranch_execz .LBB35_16
; %bb.65:                               ;   in Loop: Header=BB35_17 Depth=1
	ds_read_b64 v[4:5], v3
	v_mad_u64_u32 v[6:7], s[34:35], v27, s40, v[2:3]
	v_ashrrev_i32_e32 v7, 31, v6
	v_lshl_add_u64 v[6:7], v[6:7], 3, s[20:21]
	s_waitcnt lgkmcnt(0)
	global_store_dwordx2 v[6:7], v[4:5], off
	s_branch .LBB35_16
.LBB35_66:                              ;   in Loop: Header=BB35_17 Depth=1
                                        ; implicit-def: $sgpr28
	s_cbranch_execz .LBB35_17
.LBB35_67:
	s_cmp_eq_u32 s42, 0
	s_cselect_b64 vcc, -1, 0
	v_max_i32_e32 v0, v14, v15
	v_cndmask_b32_e32 v1, v14, v15, vcc
	s_mul_i32 s33, s33, s40
	v_cmp_gt_i32_e64 s[0:1], s40, v0
	v_mov_b64_e32 v[2:3], 0
	v_cndmask_b32_e32 v0, v15, v14, vcc
	v_add_u32_e32 v1, s33, v1
	s_and_saveexec_b64 s[2:3], s[0:1]
	s_cbranch_execz .LBB35_69
; %bb.68:
	v_mad_u64_u32 v[2:3], s[4:5], v1, s40, v[0:1]
	v_ashrrev_i32_e32 v3, 31, v2
	v_lshl_add_u64 v[2:3], v[2:3], 3, s[20:21]
	global_load_dwordx2 v[2:3], v[2:3], off
.LBB35_69:
	s_or_b64 exec, exec, s[2:3]
	s_movk_i32 s2, 0x48
	v_mov_b32_e32 v4, 0x480
	v_mad_u32_u24 v5, v15, s2, v4
	v_lshl_add_u32 v4, v14, 3, v5
	s_cmp_lt_i32 s40, 1
	s_waitcnt vmcnt(0)
	ds_write_b64 v4, v[2:3]
	s_waitcnt lgkmcnt(0)
	s_cbranch_scc1 .LBB35_102
; %bb.70:
	v_or_b32_e32 v2, v14, v15
	s_add_i32 s18, s12, s13
	s_mov_b32 s8, 0
	v_cmp_ne_u32_e64 s[2:3], 0, v2
	v_add_u32_e32 v6, v5, v16
	s_cmp_eq_u32 s40, 1
	v_add_u32_e32 v7, v18, v16
	s_cbranch_scc1 .LBB35_92
; %bb.71:
	s_movk_i32 s4, 0x48
	v_mov_b32_e32 v2, 0x480
	v_mad_u32_u24 v8, v14, s4, v2
	s_mov_b32 s4, 0
	s_and_b32 s19, s40, 0x7ffffffe
	s_movk_i32 s22, 0x480
	s_brev_b32 s5, 8
	v_mov_b32_e32 v9, 0x260
	v_mov_b32_e32 v10, 0x3ff00000
	;; [unrolled: 1-line block ×7, first 2 shown]
	s_branch .LBB35_73
.LBB35_72:                              ;   in Loop: Header=BB35_73 Depth=1
	s_or_b64 exec, exec, s[8:9]
	s_addk_i32 s22, 0xa0
	s_add_i32 s8, s24, 1
	v_add_u32_e32 v8, 16, v8
	s_cmp_eq_u32 s8, s19
	v_add_u32_e32 v16, 16, v16
	s_waitcnt lgkmcnt(0)
	s_cbranch_scc1 .LBB35_91
.LBB35_73:                              ; =>This Inner Loop Header: Depth=1
	s_mov_b32 s23, s8
	v_cmp_eq_u32_e32 vcc, s23, v15
	s_and_saveexec_b64 s[8:9], vcc
	s_cbranch_execz .LBB35_75
; %bb.74:                               ;   in Loop: Header=BB35_73 Depth=1
	ds_read_b64 v[2:3], v6
	ds_read_b64 v[20:21], v7
	s_waitcnt lgkmcnt(0)
	v_add_f64 v[2:3], v[2:3], -v[20:21]
	v_xor_b32_e32 v20, 0x80000000, v3
	v_cmp_gt_f64_e32 vcc, 0, v[2:3]
	s_nop 1
	v_cndmask_b32_e32 v3, v3, v20, vcc
	v_cmp_gt_f64_e32 vcc, s[4:5], v[2:3]
	s_nop 1
	v_cndmask_b32_e32 v20, 0, v12, vcc
	v_ldexp_f64 v[2:3], v[2:3], v20
	v_rsq_f64_e32 v[20:21], v[2:3]
	v_cndmask_b32_e32 v26, 0, v13, vcc
	v_cmp_class_f64_e32 vcc, v[2:3], v9
	v_mul_f64 v[22:23], v[2:3], v[20:21]
	v_mul_f64 v[20:21], v[20:21], 0.5
	v_fma_f64 v[24:25], -v[20:21], v[22:23], 0.5
	v_fmac_f64_e32 v[22:23], v[22:23], v[24:25]
	v_fmac_f64_e32 v[20:21], v[20:21], v[24:25]
	v_fma_f64 v[24:25], -v[22:23], v[22:23], v[2:3]
	v_fmac_f64_e32 v[22:23], v[24:25], v[20:21]
	v_fma_f64 v[24:25], -v[22:23], v[22:23], v[2:3]
	v_fmac_f64_e32 v[22:23], v[24:25], v[20:21]
	v_ldexp_f64 v[20:21], v[22:23], v26
	v_cndmask_b32_e32 v3, v21, v3, vcc
	v_cndmask_b32_e32 v2, v20, v2, vcc
	ds_write_b64 v6, v[2:3]
.LBB35_75:                              ;   in Loop: Header=BB35_73 Depth=1
	s_or_b64 exec, exec, s[8:9]
	v_mov_b32_e32 v2, s22
	s_waitcnt lgkmcnt(0)
	ds_read_b64 v[2:3], v2
	s_waitcnt lgkmcnt(0)
	v_cmp_neq_f64_e32 vcc, 0, v[2:3]
	s_nop 1
	v_cndmask_b32_e32 v3, v10, v3, vcc
	s_nor_b64 s[16:17], vcc, s[2:3]
	v_cndmask_b32_e32 v2, 0, v2, vcc
	s_and_saveexec_b64 s[8:9], s[16:17]
	s_cbranch_execz .LBB35_79
; %bb.76:                               ;   in Loop: Header=BB35_73 Depth=1
	v_mbcnt_lo_u32_b32 v2, exec_lo, 0
	v_mbcnt_hi_u32_b32 v2, exec_hi, v2
	v_cmp_eq_u32_e32 vcc, 0, v2
	s_and_saveexec_b64 s[16:17], vcc
	s_cbranch_execz .LBB35_78
; %bb.77:                               ;   in Loop: Header=BB35_73 Depth=1
	global_atomic_smin v11, v19, s[14:15]
.LBB35_78:                              ;   in Loop: Header=BB35_73 Depth=1
	s_or_b64 exec, exec, s[16:17]
	v_mov_b64_e32 v[2:3], 1.0
.LBB35_79:                              ;   in Loop: Header=BB35_73 Depth=1
	s_or_b64 exec, exec, s[8:9]
	v_cmp_lt_u32_e32 vcc, s23, v15
	s_and_saveexec_b64 s[8:9], vcc
	s_cbranch_execz .LBB35_81
; %bb.80:                               ;   in Loop: Header=BB35_73 Depth=1
	ds_read2_b64 v[20:23], v16 offset1:72
	s_waitcnt lgkmcnt(0)
	v_add_f64 v[20:21], v[20:21], -v[22:23]
	v_div_scale_f64 v[22:23], s[16:17], v[2:3], v[2:3], v[20:21]
	v_rcp_f64_e32 v[24:25], v[22:23]
	v_div_scale_f64 v[26:27], vcc, v[20:21], v[2:3], v[20:21]
	v_fma_f64 v[28:29], -v[22:23], v[24:25], 1.0
	v_fmac_f64_e32 v[24:25], v[24:25], v[28:29]
	v_fma_f64 v[28:29], -v[22:23], v[24:25], 1.0
	v_fmac_f64_e32 v[24:25], v[24:25], v[28:29]
	v_mul_f64 v[28:29], v[26:27], v[24:25]
	v_fma_f64 v[22:23], -v[22:23], v[28:29], v[26:27]
	v_div_fmas_f64 v[22:23], v[22:23], v[24:25], v[28:29]
	v_div_fixup_f64 v[2:3], v[22:23], v[2:3], v[20:21]
	ds_write_b64 v16, v[2:3]
	s_waitcnt lgkmcnt(0)
	ds_read_b64 v[20:21], v8
	ds_read_b64 v[22:23], v17
	s_waitcnt lgkmcnt(0)
	v_fmac_f64_e32 v[22:23], v[2:3], v[20:21]
	ds_write_b64 v17, v[22:23]
.LBB35_81:                              ;   in Loop: Header=BB35_73 Depth=1
	s_or_b64 exec, exec, s[8:9]
	s_add_i32 s24, s23, 1
	v_cmp_eq_u32_e32 vcc, s24, v15
	s_waitcnt lgkmcnt(0)
	s_and_saveexec_b64 s[8:9], vcc
	s_cbranch_execz .LBB35_83
; %bb.82:                               ;   in Loop: Header=BB35_73 Depth=1
	ds_read_b64 v[2:3], v6
	ds_read_b64 v[20:21], v7
	s_waitcnt lgkmcnt(0)
	v_add_f64 v[2:3], v[2:3], -v[20:21]
	v_xor_b32_e32 v20, 0x80000000, v3
	v_cmp_gt_f64_e32 vcc, 0, v[2:3]
	s_nop 1
	v_cndmask_b32_e32 v3, v3, v20, vcc
	v_cmp_gt_f64_e32 vcc, s[4:5], v[2:3]
	s_nop 1
	v_cndmask_b32_e32 v20, 0, v12, vcc
	v_ldexp_f64 v[2:3], v[2:3], v20
	v_rsq_f64_e32 v[20:21], v[2:3]
	v_cndmask_b32_e32 v26, 0, v13, vcc
	v_cmp_class_f64_e32 vcc, v[2:3], v9
	v_mul_f64 v[22:23], v[2:3], v[20:21]
	v_mul_f64 v[20:21], v[20:21], 0.5
	v_fma_f64 v[24:25], -v[20:21], v[22:23], 0.5
	v_fmac_f64_e32 v[22:23], v[22:23], v[24:25]
	v_fmac_f64_e32 v[20:21], v[20:21], v[24:25]
	v_fma_f64 v[24:25], -v[22:23], v[22:23], v[2:3]
	v_fmac_f64_e32 v[22:23], v[24:25], v[20:21]
	v_fma_f64 v[24:25], -v[22:23], v[22:23], v[2:3]
	v_fmac_f64_e32 v[22:23], v[24:25], v[20:21]
	v_ldexp_f64 v[20:21], v[22:23], v26
	v_cndmask_b32_e32 v3, v21, v3, vcc
	v_cndmask_b32_e32 v2, v20, v2, vcc
	ds_write_b64 v6, v[2:3]
.LBB35_83:                              ;   in Loop: Header=BB35_73 Depth=1
	s_or_b64 exec, exec, s[8:9]
	v_mov_b32_e32 v2, s22
	s_waitcnt lgkmcnt(0)
	ds_read_b64 v[2:3], v2 offset:80
	s_waitcnt lgkmcnt(0)
	v_cmp_neq_f64_e32 vcc, 0, v[2:3]
	s_nop 1
	v_cndmask_b32_e32 v3, v10, v3, vcc
	s_nor_b64 s[16:17], vcc, s[2:3]
	v_cndmask_b32_e32 v2, 0, v2, vcc
	s_and_saveexec_b64 s[8:9], s[16:17]
	s_cbranch_execz .LBB35_87
; %bb.84:                               ;   in Loop: Header=BB35_73 Depth=1
	v_mbcnt_lo_u32_b32 v2, exec_lo, 0
	v_mbcnt_hi_u32_b32 v2, exec_hi, v2
	v_cmp_eq_u32_e32 vcc, 0, v2
	s_and_saveexec_b64 s[16:17], vcc
	s_cbranch_execz .LBB35_86
; %bb.85:                               ;   in Loop: Header=BB35_73 Depth=1
	global_atomic_smin v11, v19, s[14:15]
.LBB35_86:                              ;   in Loop: Header=BB35_73 Depth=1
	s_or_b64 exec, exec, s[16:17]
	v_mov_b64_e32 v[2:3], 1.0
.LBB35_87:                              ;   in Loop: Header=BB35_73 Depth=1
	s_or_b64 exec, exec, s[8:9]
	v_cmp_lt_u32_e32 vcc, s24, v15
	s_and_saveexec_b64 s[8:9], vcc
	s_cbranch_execz .LBB35_72
; %bb.88:                               ;   in Loop: Header=BB35_73 Depth=1
	ds_read2_b64 v[20:23], v16 offset0:1 offset1:73
	s_waitcnt lgkmcnt(0)
	v_add_f64 v[20:21], v[20:21], -v[22:23]
	v_div_scale_f64 v[22:23], s[16:17], v[2:3], v[2:3], v[20:21]
	v_rcp_f64_e32 v[24:25], v[22:23]
	v_div_scale_f64 v[26:27], vcc, v[20:21], v[2:3], v[20:21]
	v_fma_f64 v[28:29], -v[22:23], v[24:25], 1.0
	v_fmac_f64_e32 v[24:25], v[24:25], v[28:29]
	v_fma_f64 v[28:29], -v[22:23], v[24:25], 1.0
	v_fmac_f64_e32 v[24:25], v[24:25], v[28:29]
	v_mul_f64 v[28:29], v[26:27], v[24:25]
	v_fma_f64 v[22:23], -v[22:23], v[28:29], v[26:27]
	v_div_fmas_f64 v[22:23], v[22:23], v[24:25], v[28:29]
	v_div_fixup_f64 v[2:3], v[22:23], v[2:3], v[20:21]
	ds_write_b64 v16, v[2:3] offset:8
	s_waitcnt lgkmcnt(0)
	ds_read_b64 v[20:21], v8 offset:8
	ds_read_b64 v[22:23], v17
	s_waitcnt lgkmcnt(0)
	v_fmac_f64_e32 v[22:23], v[2:3], v[20:21]
	ds_write_b64 v17, v[22:23]
	s_branch .LBB35_72
.LBB35_89:
	s_cbranch_execnz .LBB35_107
.LBB35_90:
	s_endpgm
.LBB35_91:
	s_add_i32 s8, s23, 2
.LBB35_92:
	s_bitcmp0_b32 s40, 0
	s_cbranch_scc1 .LBB35_102
; %bb.93:
	v_cmp_eq_u32_e32 vcc, s8, v15
	s_and_saveexec_b64 s[4:5], vcc
	s_cbranch_execz .LBB35_95
; %bb.94:
	ds_read_b64 v[2:3], v6
	ds_read_b64 v[8:9], v7
	s_mov_b32 s16, 0
	s_brev_b32 s17, 8
	s_waitcnt lgkmcnt(0)
	v_add_f64 v[2:3], v[2:3], -v[8:9]
	v_xor_b32_e32 v7, 0x80000000, v3
	v_cmp_gt_f64_e32 vcc, 0, v[2:3]
	s_nop 1
	v_cndmask_b32_e32 v3, v3, v7, vcc
	v_mov_b32_e32 v7, 0x100
	v_cmp_gt_f64_e32 vcc, s[16:17], v[2:3]
	s_nop 1
	v_cndmask_b32_e32 v7, 0, v7, vcc
	v_ldexp_f64 v[2:3], v[2:3], v7
	v_rsq_f64_e32 v[8:9], v[2:3]
	v_mov_b32_e32 v7, 0xffffff80
	v_cndmask_b32_e32 v7, 0, v7, vcc
	v_mul_f64 v[10:11], v[2:3], v[8:9]
	v_mul_f64 v[8:9], v[8:9], 0.5
	v_fma_f64 v[12:13], -v[8:9], v[10:11], 0.5
	v_fmac_f64_e32 v[10:11], v[10:11], v[12:13]
	v_fma_f64 v[20:21], -v[10:11], v[10:11], v[2:3]
	v_fmac_f64_e32 v[8:9], v[8:9], v[12:13]
	v_fmac_f64_e32 v[10:11], v[20:21], v[8:9]
	v_fma_f64 v[12:13], -v[10:11], v[10:11], v[2:3]
	v_fmac_f64_e32 v[10:11], v[12:13], v[8:9]
	v_ldexp_f64 v[8:9], v[10:11], v7
	v_mov_b32_e32 v7, 0x260
	v_cmp_class_f64_e32 vcc, v[2:3], v7
	s_nop 1
	v_cndmask_b32_e32 v3, v9, v3, vcc
	v_cndmask_b32_e32 v2, v8, v2, vcc
	ds_write_b64 v6, v[2:3]
.LBB35_95:
	s_or_b64 exec, exec, s[4:5]
	s_mul_i32 s4, s8, 0x48
	s_lshl_b32 s9, s8, 3
	s_add_i32 s4, s4, s9
	v_mov_b32_e32 v2, s4
	s_waitcnt lgkmcnt(0)
	ds_read_b64 v[2:3], v2 offset:1152
	v_mov_b32_e32 v6, 0x3ff00000
	s_waitcnt lgkmcnt(0)
	v_cmp_neq_f64_e32 vcc, 0, v[2:3]
	s_nop 1
	v_cndmask_b32_e32 v3, v6, v3, vcc
	s_nor_b64 s[4:5], vcc, s[2:3]
	v_cndmask_b32_e32 v2, 0, v2, vcc
	s_and_saveexec_b64 s[2:3], s[4:5]
	s_cbranch_execz .LBB35_99
; %bb.96:
	v_mbcnt_lo_u32_b32 v2, exec_lo, 0
	v_mbcnt_hi_u32_b32 v2, exec_hi, v2
	v_cmp_eq_u32_e32 vcc, 0, v2
	s_and_saveexec_b64 s[4:5], vcc
	s_cbranch_execz .LBB35_98
; %bb.97:
	v_mov_b32_e32 v2, 0
	v_mov_b32_e32 v3, s18
	global_atomic_smin v2, v3, s[14:15]
.LBB35_98:
	s_or_b64 exec, exec, s[4:5]
	v_mov_b64_e32 v[2:3], 1.0
.LBB35_99:
	s_or_b64 exec, exec, s[2:3]
	v_cmp_lt_u32_e32 vcc, s8, v15
	s_and_saveexec_b64 s[2:3], vcc
	s_cbranch_execz .LBB35_101
; %bb.100:
	v_add_u32_e32 v5, s9, v5
	v_add_u32_e32 v8, s9, v18
	ds_read_b64 v[6:7], v5
	ds_read_b64 v[8:9], v8
	s_waitcnt lgkmcnt(0)
	v_add_f64 v[6:7], v[6:7], -v[8:9]
	v_div_scale_f64 v[8:9], s[4:5], v[2:3], v[2:3], v[6:7]
	v_rcp_f64_e32 v[10:11], v[8:9]
	v_div_scale_f64 v[12:13], vcc, v[6:7], v[2:3], v[6:7]
	s_movk_i32 s4, 0x48
	v_fma_f64 v[18:19], -v[8:9], v[10:11], 1.0
	v_fmac_f64_e32 v[10:11], v[10:11], v[18:19]
	v_fma_f64 v[18:19], -v[8:9], v[10:11], 1.0
	v_fmac_f64_e32 v[10:11], v[10:11], v[18:19]
	v_mul_f64 v[18:19], v[12:13], v[10:11]
	v_fma_f64 v[8:9], -v[8:9], v[18:19], v[12:13]
	v_div_fmas_f64 v[8:9], v[8:9], v[10:11], v[18:19]
	v_div_fixup_f64 v[2:3], v[8:9], v[2:3], v[6:7]
	ds_write_b64 v5, v[2:3]
	v_mov_b32_e32 v5, s9
	v_mad_u32_u24 v5, v14, s4, v5
	s_waitcnt lgkmcnt(0)
	ds_read_b64 v[6:7], v5 offset:1152
	ds_read_b64 v[8:9], v17
	s_waitcnt lgkmcnt(0)
	v_fmac_f64_e32 v[8:9], v[2:3], v[6:7]
	ds_write_b64 v17, v[8:9]
.LBB35_101:
	s_or_b64 exec, exec, s[2:3]
	s_waitcnt lgkmcnt(0)
.LBB35_102:
	s_and_saveexec_b64 s[2:3], s[0:1]
	s_cbranch_execz .LBB35_104
; %bb.103:
	ds_read_b64 v[2:3], v4
	v_mad_u64_u32 v[0:1], s[0:1], v1, s40, v[0:1]
	v_ashrrev_i32_e32 v1, 31, v0
	v_lshl_add_u64 v[0:1], v[0:1], 3, s[20:21]
	s_waitcnt lgkmcnt(0)
	global_store_dwordx2 v[0:1], v[2:3], off
.LBB35_104:
	s_or_b64 exec, exec, s[2:3]
	v_or_b32_e32 v0, v14, v15
	v_cmp_eq_u32_e32 vcc, 0, v0
	s_and_saveexec_b64 s[0:1], vcc
	s_cbranch_execz .LBB35_106
; %bb.105:
	s_add_u32 s2, s10, s6
	s_addc_u32 s3, s11, s7
	v_mov_b32_e32 v0, 0
	v_mov_b32_e32 v1, 1
	buffer_wbl2 sc1
	s_waitcnt vmcnt(0)
	global_store_dword v0, v1, s[2:3] sc1
.LBB35_106:
	s_or_b64 exec, exec, s[0:1]
	s_branch .LBB35_90
.LBB35_107:
	v_or_b32_e32 v0, v14, v15
	v_cmp_eq_u32_e32 vcc, 0, v0
	s_and_saveexec_b64 s[0:1], vcc
	s_cbranch_execz .LBB35_90
; %bb.108:
	v_mbcnt_lo_u32_b32 v0, exec_lo, 0
	v_mbcnt_hi_u32_b32 v0, exec_hi, v0
	v_cmp_eq_u32_e32 vcc, 0, v0
	s_and_saveexec_b64 s[0:1], vcc
	s_cbranch_execz .LBB35_110
; %bb.109:
	s_add_i32 s2, s12, s13
	v_mov_b32_e32 v0, 0
	v_mov_b32_e32 v1, s2
	global_atomic_smin v0, v1, s[14:15]
.LBB35_110:
	s_or_b64 exec, exec, s[0:1]
	s_add_u32 s0, s10, s6
	s_addc_u32 s1, s11, s7
	v_mov_b32_e32 v0, 0
	v_mov_b32_e32 v1, 1
	buffer_wbl2 sc1
	s_waitcnt vmcnt(0)
	global_store_dword v0, v1, s[0:1] sc1
	s_endpgm
	.section	.rodata,"a",@progbits
	.p2align	6, 0x0
	.amdhsa_kernel _ZN9rocsparseL17bsric0_2_8_kernelILi64ELi128ELi8EdEEv20rocsparse_direction_iiPKiS3_PT2_S3_PiS3_S6_21rocsparse_index_base_
		.amdhsa_group_segment_fixed_size 3840
		.amdhsa_private_segment_fixed_size 0
		.amdhsa_kernarg_size 76
		.amdhsa_user_sgpr_count 2
		.amdhsa_user_sgpr_dispatch_ptr 0
		.amdhsa_user_sgpr_queue_ptr 0
		.amdhsa_user_sgpr_kernarg_segment_ptr 1
		.amdhsa_user_sgpr_dispatch_id 0
		.amdhsa_user_sgpr_kernarg_preload_length 0
		.amdhsa_user_sgpr_kernarg_preload_offset 0
		.amdhsa_user_sgpr_private_segment_size 0
		.amdhsa_uses_dynamic_stack 0
		.amdhsa_enable_private_segment 0
		.amdhsa_system_sgpr_workgroup_id_x 1
		.amdhsa_system_sgpr_workgroup_id_y 0
		.amdhsa_system_sgpr_workgroup_id_z 0
		.amdhsa_system_sgpr_workgroup_info 0
		.amdhsa_system_vgpr_workitem_id 1
		.amdhsa_next_free_vgpr 66
		.amdhsa_next_free_sgpr 50
		.amdhsa_accum_offset 68
		.amdhsa_reserve_vcc 1
		.amdhsa_float_round_mode_32 0
		.amdhsa_float_round_mode_16_64 0
		.amdhsa_float_denorm_mode_32 3
		.amdhsa_float_denorm_mode_16_64 3
		.amdhsa_dx10_clamp 1
		.amdhsa_ieee_mode 1
		.amdhsa_fp16_overflow 0
		.amdhsa_tg_split 0
		.amdhsa_exception_fp_ieee_invalid_op 0
		.amdhsa_exception_fp_denorm_src 0
		.amdhsa_exception_fp_ieee_div_zero 0
		.amdhsa_exception_fp_ieee_overflow 0
		.amdhsa_exception_fp_ieee_underflow 0
		.amdhsa_exception_fp_ieee_inexact 0
		.amdhsa_exception_int_div_zero 0
	.end_amdhsa_kernel
	.section	.text._ZN9rocsparseL17bsric0_2_8_kernelILi64ELi128ELi8EdEEv20rocsparse_direction_iiPKiS3_PT2_S3_PiS3_S6_21rocsparse_index_base_,"axG",@progbits,_ZN9rocsparseL17bsric0_2_8_kernelILi64ELi128ELi8EdEEv20rocsparse_direction_iiPKiS3_PT2_S3_PiS3_S6_21rocsparse_index_base_,comdat
.Lfunc_end35:
	.size	_ZN9rocsparseL17bsric0_2_8_kernelILi64ELi128ELi8EdEEv20rocsparse_direction_iiPKiS3_PT2_S3_PiS3_S6_21rocsparse_index_base_, .Lfunc_end35-_ZN9rocsparseL17bsric0_2_8_kernelILi64ELi128ELi8EdEEv20rocsparse_direction_iiPKiS3_PT2_S3_PiS3_S6_21rocsparse_index_base_
                                        ; -- End function
	.set _ZN9rocsparseL17bsric0_2_8_kernelILi64ELi128ELi8EdEEv20rocsparse_direction_iiPKiS3_PT2_S3_PiS3_S6_21rocsparse_index_base_.num_vgpr, 66
	.set _ZN9rocsparseL17bsric0_2_8_kernelILi64ELi128ELi8EdEEv20rocsparse_direction_iiPKiS3_PT2_S3_PiS3_S6_21rocsparse_index_base_.num_agpr, 0
	.set _ZN9rocsparseL17bsric0_2_8_kernelILi64ELi128ELi8EdEEv20rocsparse_direction_iiPKiS3_PT2_S3_PiS3_S6_21rocsparse_index_base_.numbered_sgpr, 50
	.set _ZN9rocsparseL17bsric0_2_8_kernelILi64ELi128ELi8EdEEv20rocsparse_direction_iiPKiS3_PT2_S3_PiS3_S6_21rocsparse_index_base_.num_named_barrier, 0
	.set _ZN9rocsparseL17bsric0_2_8_kernelILi64ELi128ELi8EdEEv20rocsparse_direction_iiPKiS3_PT2_S3_PiS3_S6_21rocsparse_index_base_.private_seg_size, 0
	.set _ZN9rocsparseL17bsric0_2_8_kernelILi64ELi128ELi8EdEEv20rocsparse_direction_iiPKiS3_PT2_S3_PiS3_S6_21rocsparse_index_base_.uses_vcc, 1
	.set _ZN9rocsparseL17bsric0_2_8_kernelILi64ELi128ELi8EdEEv20rocsparse_direction_iiPKiS3_PT2_S3_PiS3_S6_21rocsparse_index_base_.uses_flat_scratch, 0
	.set _ZN9rocsparseL17bsric0_2_8_kernelILi64ELi128ELi8EdEEv20rocsparse_direction_iiPKiS3_PT2_S3_PiS3_S6_21rocsparse_index_base_.has_dyn_sized_stack, 0
	.set _ZN9rocsparseL17bsric0_2_8_kernelILi64ELi128ELi8EdEEv20rocsparse_direction_iiPKiS3_PT2_S3_PiS3_S6_21rocsparse_index_base_.has_recursion, 0
	.set _ZN9rocsparseL17bsric0_2_8_kernelILi64ELi128ELi8EdEEv20rocsparse_direction_iiPKiS3_PT2_S3_PiS3_S6_21rocsparse_index_base_.has_indirect_call, 0
	.section	.AMDGPU.csdata,"",@progbits
; Kernel info:
; codeLenInByte = 4972
; TotalNumSgprs: 56
; NumVgprs: 66
; NumAgprs: 0
; TotalNumVgprs: 66
; ScratchSize: 0
; MemoryBound: 0
; FloatMode: 240
; IeeeMode: 1
; LDSByteSize: 3840 bytes/workgroup (compile time only)
; SGPRBlocks: 6
; VGPRBlocks: 8
; NumSGPRsForWavesPerEU: 56
; NumVGPRsForWavesPerEU: 66
; AccumOffset: 68
; Occupancy: 7
; WaveLimiterHint : 1
; COMPUTE_PGM_RSRC2:SCRATCH_EN: 0
; COMPUTE_PGM_RSRC2:USER_SGPR: 2
; COMPUTE_PGM_RSRC2:TRAP_HANDLER: 0
; COMPUTE_PGM_RSRC2:TGID_X_EN: 1
; COMPUTE_PGM_RSRC2:TGID_Y_EN: 0
; COMPUTE_PGM_RSRC2:TGID_Z_EN: 0
; COMPUTE_PGM_RSRC2:TIDIG_COMP_CNT: 1
; COMPUTE_PGM_RSRC3_GFX90A:ACCUM_OFFSET: 16
; COMPUTE_PGM_RSRC3_GFX90A:TG_SPLIT: 0
	.section	.text._ZN9rocsparseL18bsric0_9_16_kernelILi64ELi128ELi16EdEEv20rocsparse_direction_iiPKiS3_PT2_S3_PiS3_S6_21rocsparse_index_base_,"axG",@progbits,_ZN9rocsparseL18bsric0_9_16_kernelILi64ELi128ELi16EdEEv20rocsparse_direction_iiPKiS3_PT2_S3_PiS3_S6_21rocsparse_index_base_,comdat
	.globl	_ZN9rocsparseL18bsric0_9_16_kernelILi64ELi128ELi16EdEEv20rocsparse_direction_iiPKiS3_PT2_S3_PiS3_S6_21rocsparse_index_base_ ; -- Begin function _ZN9rocsparseL18bsric0_9_16_kernelILi64ELi128ELi16EdEEv20rocsparse_direction_iiPKiS3_PT2_S3_PiS3_S6_21rocsparse_index_base_
	.p2align	8
	.type	_ZN9rocsparseL18bsric0_9_16_kernelILi64ELi128ELi16EdEEv20rocsparse_direction_iiPKiS3_PT2_S3_PiS3_S6_21rocsparse_index_base_,@function
_ZN9rocsparseL18bsric0_9_16_kernelILi64ELi128ELi16EdEEv20rocsparse_direction_iiPKiS3_PT2_S3_PiS3_S6_21rocsparse_index_base_: ; @_ZN9rocsparseL18bsric0_9_16_kernelILi64ELi128ELi16EdEEv20rocsparse_direction_iiPKiS3_PT2_S3_PiS3_S6_21rocsparse_index_base_
; %bb.0:
	s_load_dwordx8 s[8:15], s[0:1], 0x28
	s_mov_b32 s3, 0
	s_lshl_b64 s[2:3], s[2:3], 2
	v_and_b32_e32 v1, 0x3ff, v0
	v_bfe_u32 v0, v0, 10, 10
	s_waitcnt lgkmcnt(0)
	s_add_u32 s2, s12, s2
	s_addc_u32 s3, s13, s3
	s_load_dword s12, s[2:3], 0x0
	s_waitcnt lgkmcnt(0)
	s_ashr_i32 s13, s12, 31
	s_lshl_b64 s[6:7], s[12:13], 2
	s_add_u32 s2, s8, s6
	s_addc_u32 s3, s9, s7
	s_load_dword s33, s[2:3], 0x0
	s_load_dword s13, s[0:1], 0x48
	s_waitcnt lgkmcnt(0)
	s_cmp_lg_u32 s33, -1
	s_cbranch_scc0 .LBB36_128
; %bb.1:
	s_load_dwordx4 s[16:19], s[0:1], 0x10
	s_load_dwordx2 s[20:21], s[0:1], 0x20
	v_lshlrev_b32_e32 v2, 2, v0
	s_waitcnt lgkmcnt(0)
	s_add_u32 s2, s16, s6
	s_addc_u32 s3, s17, s7
	s_load_dword s2, s[2:3], 0x0
	s_waitcnt lgkmcnt(0)
	s_sub_i32 s46, s2, s13
	v_add3_u32 v2, v2, v1, s46
	v_cmp_ge_i32_e32 vcc, s33, v2
	s_and_saveexec_b64 s[2:3], vcc
	s_cbranch_execz .LBB36_4
; %bb.2:
	v_lshlrev_b32_e32 v3, 4, v0
	v_lshlrev_b32_e32 v4, 2, v1
	s_movk_i32 s4, 0x2600
	v_add3_u32 v4, v3, v4, s4
	s_mov_b64 s[4:5], 0
.LBB36_3:                               ; =>This Inner Loop Header: Depth=1
	v_ashrrev_i32_e32 v3, 31, v2
	v_lshl_add_u64 v[6:7], v[2:3], 2, s[18:19]
	global_load_dword v3, v[6:7], off
	v_add_u32_e32 v2, 64, v2
	v_cmp_lt_i32_e32 vcc, s33, v2
	s_or_b64 s[4:5], vcc, s[4:5]
	s_waitcnt vmcnt(0)
	v_subrev_u32_e32 v3, s13, v3
	ds_write_b32 v4, v3
	v_add_u32_e32 v4, 0x100, v4
	s_andn2_b64 exec, exec, s[4:5]
	s_cbranch_execnz .LBB36_3
.LBB36_4:
	s_or_b64 exec, exec, s[2:3]
	v_cmp_gt_u32_e32 vcc, 16, v1
	v_lshlrev_b32_e32 v14, 3, v1
	s_and_saveexec_b64 s[2:3], vcc
	s_cbranch_execz .LBB36_7
; %bb.5:
	v_mul_u32_u24_e32 v3, 0x88, v0
	s_movk_i32 s4, 0x1980
	v_mov_b32_e32 v4, 0
	v_add_u32_e32 v2, -4, v1
	v_add3_u32 v3, v3, v14, s4
	s_mov_b64 s[4:5], 0
	v_mov_b32_e32 v5, v4
.LBB36_6:                               ; =>This Inner Loop Header: Depth=1
	v_add_u32_e32 v2, 4, v2
	v_cmp_lt_u32_e32 vcc, 11, v2
	ds_write_b64 v3, v[4:5]
	s_or_b64 s[4:5], vcc, s[4:5]
	v_add_u32_e32 v3, 32, v3
	s_andn2_b64 exec, exec, s[4:5]
	s_cbranch_execnz .LBB36_6
.LBB36_7:
	s_or_b64 exec, exec, s[2:3]
	s_load_dword s44, s[0:1], 0x8
	s_load_dword s45, s[0:1], 0x0
	s_cmp_ge_i32 s46, s33
	s_waitcnt lgkmcnt(0)
	v_cmp_gt_i32_e64 s[0:1], s44, v1
	s_cbranch_scc1 .LBB36_89
; %bb.8:
	s_movk_i32 s26, 0x88
	v_mov_b32_e32 v3, 0x880
	s_cmp_lg_u32 s45, 0
	v_mov_b32_e32 v2, 0x1100
	v_mad_u32_u24 v16, v0, s26, v3
	v_or_b32_e32 v3, v1, v0
	s_mul_i32 s27, s44, s46
	s_cselect_b64 s[22:23], -1, 0
	v_mad_u32_u24 v15, v0, s26, v2
	s_cmp_gt_i32 s44, 0
	v_cmp_ne_u32_e64 s[4:5], 0, v3
	v_mad_u32_u24 v18, v0, s26, v14
	v_add_u32_e32 v3, s27, v0
	v_mad_u32_u24 v23, v1, s26, v2
	v_mov_b32_e32 v2, 0
	v_cmp_gt_i32_e64 s[2:3], s44, v0
	s_mul_i32 s47, s44, s44
	v_mul_lo_u32 v17, s44, v0
	s_cselect_b64 s[24:25], -1, 0
	v_add_u32_e32 v19, 0x880, v18
	v_mul_lo_u32 v21, s44, v3
	v_mul_lo_u32 v20, v1, s44
	s_lshl_b32 s48, s44, 2
	v_add_u32_e32 v22, 0x1980, v18
	v_add_u32_e32 v24, 0x1100, v18
	v_mov_b32_e32 v3, v2
	v_mov_b32_e32 v25, 0x3ff00000
	s_mov_b32 s26, s46
	s_branch .LBB36_10
.LBB36_9:                               ;   in Loop: Header=BB36_10 Depth=1
	s_or_b64 exec, exec, s[28:29]
	s_add_i32 s26, s26, 1
	s_cmp_ge_i32 s26, s33
	buffer_wbl2 sc1
	s_waitcnt vmcnt(0)
	buffer_inv sc1
	v_add_u32_e32 v21, s47, v21
	s_cselect_b64 s[28:29], -1, 0
	s_and_b64 vcc, exec, s[28:29]
	s_cbranch_vccnz .LBB36_89
.LBB36_10:                              ; =>This Loop Header: Depth=1
                                        ;     Child Loop BB36_14 Depth 2
                                        ;     Child Loop BB36_26 Depth 2
	;; [unrolled: 1-line block ×5, first 2 shown]
                                        ;       Child Loop BB36_56 Depth 3
                                        ;     Child Loop BB36_70 Depth 2
                                        ;       Child Loop BB36_75 Depth 3
                                        ;       Child Loop BB36_78 Depth 3
                                        ;     Child Loop BB36_84 Depth 2
	s_ashr_i32 s27, s26, 31
	s_lshl_b64 s[28:29], s[26:27], 2
	s_add_u32 s28, s18, s28
	s_addc_u32 s29, s19, s29
	s_load_dword s49, s[28:29], 0x0
	s_waitcnt lgkmcnt(0)
	s_sub_i32 s30, s49, s13
	s_ashr_i32 s31, s30, 31
	s_lshl_b64 s[28:29], s[30:31], 2
	s_add_u32 s34, s8, s28
	s_addc_u32 s35, s9, s29
	s_load_dword s31, s[34:35], 0x0
	s_waitcnt lgkmcnt(0)
	s_cmp_eq_u32 s31, -1
	s_cbranch_scc1 .LBB36_88
; %bb.11:                               ;   in Loop: Header=BB36_10 Depth=1
	s_add_u32 s34, s16, s28
	s_addc_u32 s35, s17, s29
	s_load_dword s50, s[34:35], 0x0
	s_mul_i32 s27, s26, s44
	s_and_saveexec_b64 s[34:35], s[0:1]
	s_cbranch_execz .LBB36_24
; %bb.12:                               ;   in Loop: Header=BB36_10 Depth=1
	s_mov_b64 s[36:37], 0
	v_mov_b32_e32 v6, v19
	v_mov_b32_e32 v7, v1
	s_branch .LBB36_14
.LBB36_13:                              ;   in Loop: Header=BB36_14 Depth=2
	s_or_b64 exec, exec, s[40:41]
	v_add_u32_e32 v7, 4, v7
	v_cmp_le_i32_e32 vcc, s44, v7
	s_waitcnt vmcnt(0)
	ds_write_b64 v6, v[8:9] offset:2176
	ds_write_b64 v6, v[2:3]
	s_or_b64 s[36:37], vcc, s[36:37]
	v_add_u32_e32 v6, 32, v6
	s_andn2_b64 exec, exec, s[36:37]
	s_cbranch_execz .LBB36_24
.LBB36_14:                              ;   Parent Loop BB36_10 Depth=1
                                        ; =>  This Inner Loop Header: Depth=2
	s_and_b64 vcc, exec, s[22:23]
	s_cbranch_vccz .LBB36_21
; %bb.15:                               ;   in Loop: Header=BB36_14 Depth=2
	s_mov_b64 s[40:41], 0
	s_mov_b64 s[38:39], 0
                                        ; implicit-def: $vgpr4
	s_and_saveexec_b64 s[42:43], s[2:3]
	s_xor_b64 s[42:43], exec, s[42:43]
; %bb.16:                               ;   in Loop: Header=BB36_14 Depth=2
	v_add_u32_e32 v4, s27, v7
	s_mov_b64 s[38:39], exec
	v_mad_u64_u32 v[4:5], s[52:53], v4, s44, v[0:1]
; %bb.17:                               ;   in Loop: Header=BB36_14 Depth=2
	s_or_b64 exec, exec, s[42:43]
	s_and_b64 vcc, exec, s[40:41]
	s_cbranch_vccz .LBB36_22
.LBB36_18:                              ;   in Loop: Header=BB36_14 Depth=2
                                        ; implicit-def: $vgpr4
	s_and_saveexec_b64 s[40:41], s[2:3]
; %bb.19:                               ;   in Loop: Header=BB36_14 Depth=2
	v_add_u32_e32 v4, v21, v7
	s_or_b64 s[38:39], s[38:39], exec
; %bb.20:                               ;   in Loop: Header=BB36_14 Depth=2
	s_or_b64 exec, exec, s[40:41]
	v_mov_b64_e32 v[8:9], 0
	s_and_saveexec_b64 s[40:41], s[38:39]
	s_cbranch_execz .LBB36_13
	s_branch .LBB36_23
.LBB36_21:                              ;   in Loop: Header=BB36_14 Depth=2
	s_mov_b64 s[38:39], 0
                                        ; implicit-def: $vgpr4
	s_cbranch_execnz .LBB36_18
.LBB36_22:                              ;   in Loop: Header=BB36_14 Depth=2
	v_mov_b64_e32 v[8:9], 0
	s_and_saveexec_b64 s[40:41], s[38:39]
	s_cbranch_execz .LBB36_13
.LBB36_23:                              ;   in Loop: Header=BB36_14 Depth=2
	v_ashrrev_i32_e32 v5, 31, v4
	v_lshl_add_u64 v[4:5], v[4:5], 3, s[20:21]
	global_load_dwordx2 v[8:9], v[4:5], off
	s_branch .LBB36_13
.LBB36_24:                              ;   in Loop: Header=BB36_10 Depth=1
	s_or_b64 exec, exec, s[34:35]
	ds_read_b32 v4, v2 offset:9728
	s_waitcnt lgkmcnt(0)
	s_sub_i32 s34, s50, s13
	s_cmp_le_i32 s34, s31
	s_cselect_b64 s[36:37], -1, 0
	s_mov_b32 s40, 0
	v_cmp_ge_i32_e32 vcc, s30, v4
	s_and_b64 s[36:37], s[36:37], vcc
	s_andn2_b64 vcc, exec, s[36:37]
	s_cbranch_vccnz .LBB36_36
; %bb.25:                               ;   in Loop: Header=BB36_10 Depth=1
	s_mov_b32 s38, 0
	s_mov_b32 s39, 0
.LBB36_26:                              ;   Parent Loop BB36_10 Depth=1
                                        ; =>  This Inner Loop Header: Depth=2
	s_ashr_i32 s35, s34, 31
	s_lshl_b64 s[36:37], s[34:35], 2
	s_add_u32 s36, s18, s36
	s_addc_u32 s37, s19, s37
	s_load_dword s35, s[36:37], 0x0
	s_lshl_b32 s36, s39, 2
	v_mov_b32_e32 v4, s36
	ds_read_b32 v4, v4 offset:9728
	s_mov_b64 s[36:37], -1
	s_waitcnt lgkmcnt(0)
	s_sub_i32 s43, s35, s13
                                        ; implicit-def: $sgpr40
                                        ; implicit-def: $sgpr42
                                        ; implicit-def: $sgpr41
	v_cmp_ge_i32_e32 vcc, s43, v4
	v_readfirstlane_b32 s35, v4
	s_cbranch_vccz .LBB36_32
; %bb.27:                               ;   in Loop: Header=BB36_26 Depth=2
	s_cmp_le_i32 s43, s35
                                        ; implicit-def: $sgpr40
                                        ; implicit-def: $sgpr42
                                        ; implicit-def: $sgpr41
	s_cbranch_scc0 .LBB36_29
; %bb.28:                               ;   in Loop: Header=BB36_26 Depth=2
	s_add_i32 s36, s39, s46
	s_mul_i32 s36, s36, s47
	s_lshl_b32 s37, s38, 2
	v_mov_b32_e32 v5, s36
	s_mul_i32 s36, s34, s47
	v_mov_b32_e32 v4, s37
	v_mov_b32_e32 v6, s36
	ds_write2st64_b32 v4, v6, v5 offset0:34 offset1:36
	s_add_i32 s41, s39, 1
	s_add_i32 s42, s34, 1
	;; [unrolled: 1-line block ×3, first 2 shown]
	s_mov_b64 s[36:37], 0
.LBB36_29:                              ;   in Loop: Header=BB36_26 Depth=2
	s_andn2_b64 vcc, exec, s[36:37]
	s_cbranch_vccnz .LBB36_31
; %bb.30:                               ;   in Loop: Header=BB36_26 Depth=2
	s_add_i32 s41, s39, 1
	s_mov_b32 s40, s38
	s_mov_b32 s42, s34
.LBB36_31:                              ;   in Loop: Header=BB36_26 Depth=2
	s_mov_b64 s[36:37], 0
.LBB36_32:                              ;   in Loop: Header=BB36_26 Depth=2
	s_andn2_b64 vcc, exec, s[36:37]
	s_cbranch_vccnz .LBB36_34
; %bb.33:                               ;   in Loop: Header=BB36_26 Depth=2
	s_add_i32 s42, s34, 1
	s_mov_b32 s41, s39
	s_mov_b32 s40, s38
.LBB36_34:                              ;   in Loop: Header=BB36_26 Depth=2
	s_cmp_le_i32 s42, s31
	s_cselect_b64 s[36:37], -1, 0
	s_cmp_le_i32 s35, s30
	s_cselect_b64 s[34:35], -1, 0
	s_and_b64 s[34:35], s[36:37], s[34:35]
	s_and_b64 vcc, exec, s[34:35]
	s_cbranch_vccz .LBB36_36
; %bb.35:                               ;   in Loop: Header=BB36_26 Depth=2
	s_mov_b32 s38, s40
	s_mov_b32 s34, s42
	;; [unrolled: 1-line block ×3, first 2 shown]
	s_branch .LBB36_26
.LBB36_36:                              ;   in Loop: Header=BB36_10 Depth=1
	s_add_u32 s28, s10, s28
	s_addc_u32 s29, s11, s29
	s_waitcnt lgkmcnt(0)
.LBB36_37:                              ;   Parent Loop BB36_10 Depth=1
                                        ; =>  This Inner Loop Header: Depth=2
	global_load_dword v4, v2, s[28:29] sc1
	s_waitcnt vmcnt(0)
	v_cmp_eq_u32_e32 vcc, 0, v4
	s_cbranch_vccnz .LBB36_37
; %bb.38:                               ;   in Loop: Header=BB36_10 Depth=1
	buffer_inv sc1
	s_and_saveexec_b64 s[28:29], s[0:1]
	s_cbranch_execz .LBB36_51
; %bb.39:                               ;   in Loop: Header=BB36_10 Depth=1
	s_mul_i32 s41, s31, s44
	v_add_u32_e32 v4, s41, v0
	v_mul_lo_u32 v6, v4, s44
	s_mov_b64 s[30:31], 0
	v_mov_b32_e32 v7, v18
	v_mov_b32_e32 v8, v1
	s_branch .LBB36_41
.LBB36_40:                              ;   in Loop: Header=BB36_41 Depth=2
	s_or_b64 exec, exec, s[36:37]
	v_add_u32_e32 v8, 4, v8
	v_cmp_le_i32_e32 vcc, s44, v8
	s_waitcnt vmcnt(0)
	ds_write_b64 v7, v[10:11]
	s_or_b64 s[30:31], vcc, s[30:31]
	v_add_u32_e32 v7, 32, v7
	s_andn2_b64 exec, exec, s[30:31]
	s_cbranch_execz .LBB36_51
.LBB36_41:                              ;   Parent Loop BB36_10 Depth=1
                                        ; =>  This Inner Loop Header: Depth=2
	s_and_b64 vcc, exec, s[22:23]
	s_cbranch_vccz .LBB36_48
; %bb.42:                               ;   in Loop: Header=BB36_41 Depth=2
	s_mov_b64 s[36:37], 0
	s_mov_b64 s[34:35], 0
                                        ; implicit-def: $vgpr4
	s_and_saveexec_b64 s[38:39], s[2:3]
	s_xor_b64 s[38:39], exec, s[38:39]
; %bb.43:                               ;   in Loop: Header=BB36_41 Depth=2
	v_add_u32_e32 v4, s41, v8
	s_mov_b64 s[34:35], exec
	v_mad_u64_u32 v[4:5], s[42:43], v4, s44, v[0:1]
; %bb.44:                               ;   in Loop: Header=BB36_41 Depth=2
	s_or_b64 exec, exec, s[38:39]
	s_and_b64 vcc, exec, s[36:37]
	s_cbranch_vccz .LBB36_49
.LBB36_45:                              ;   in Loop: Header=BB36_41 Depth=2
                                        ; implicit-def: $vgpr4
	s_and_saveexec_b64 s[36:37], s[2:3]
; %bb.46:                               ;   in Loop: Header=BB36_41 Depth=2
	v_add_u32_e32 v4, v6, v8
	s_or_b64 s[34:35], s[34:35], exec
; %bb.47:                               ;   in Loop: Header=BB36_41 Depth=2
	s_or_b64 exec, exec, s[36:37]
	v_mov_b64_e32 v[10:11], 0
	s_and_saveexec_b64 s[36:37], s[34:35]
	s_cbranch_execz .LBB36_40
	s_branch .LBB36_50
.LBB36_48:                              ;   in Loop: Header=BB36_41 Depth=2
	s_mov_b64 s[34:35], 0
                                        ; implicit-def: $vgpr4
	s_cbranch_execnz .LBB36_45
.LBB36_49:                              ;   in Loop: Header=BB36_41 Depth=2
	v_mov_b64_e32 v[10:11], 0
	s_and_saveexec_b64 s[36:37], s[34:35]
	s_cbranch_execz .LBB36_40
.LBB36_50:                              ;   in Loop: Header=BB36_41 Depth=2
	v_ashrrev_i32_e32 v5, 31, v4
	v_lshl_add_u64 v[4:5], v[4:5], 3, s[20:21]
	global_load_dwordx2 v[10:11], v[4:5], off
	s_branch .LBB36_40
.LBB36_51:                              ;   in Loop: Header=BB36_10 Depth=1
	s_or_b64 exec, exec, s[28:29]
	s_cmp_lt_i32 s40, 2
	s_cbranch_scc1 .LBB36_67
; %bb.52:                               ;   in Loop: Header=BB36_10 Depth=1
	s_add_i32 s36, s40, -2
	s_mov_b32 s37, 0
	s_branch .LBB36_54
.LBB36_53:                              ;   in Loop: Header=BB36_54 Depth=2
	s_or_b64 exec, exec, s[28:29]
	s_add_i32 s28, s37, 1
	s_cmp_eq_u32 s37, s36
	s_mov_b32 s37, s28
	s_cbranch_scc1 .LBB36_67
.LBB36_54:                              ;   Parent Loop BB36_10 Depth=1
                                        ; =>  This Loop Header: Depth=2
                                        ;       Child Loop BB36_56 Depth 3
	s_and_saveexec_b64 s[28:29], s[0:1]
	s_cbranch_execz .LBB36_53
; %bb.55:                               ;   in Loop: Header=BB36_54 Depth=2
	s_lshl_b32 s30, s37, 2
	v_mov_b32_e32 v4, s30
	ds_read2st64_b32 v[4:5], v4 offset0:34 offset1:36
	s_mov_b64 s[30:31], 0
	v_mov_b32_e32 v30, v1
	s_waitcnt lgkmcnt(0)
	v_add_u32_e32 v26, v5, v17
	v_add_u32_e32 v27, v0, v5
	;; [unrolled: 1-line block ×4, first 2 shown]
.LBB36_56:                              ;   Parent Loop BB36_10 Depth=1
                                        ;     Parent Loop BB36_54 Depth=2
                                        ; =>    This Inner Loop Header: Depth=3
	v_mov_b64_e32 v[8:9], 0
	s_mov_b32 s38, 0
	v_mov_b32_e32 v4, v28
	v_mov_b32_e32 v6, v27
	s_and_b64 vcc, exec, s[22:23]
	s_cbranch_vccnz .LBB36_59
	s_branch .LBB36_58
.LBB36_57:                              ;   in Loop: Header=BB36_56 Depth=3
	v_mov_b64_e32 v[8:9], v[10:11]
	s_and_b64 vcc, exec, s[22:23]
	s_cbranch_vccnz .LBB36_59
.LBB36_58:                              ;   in Loop: Header=BB36_56 Depth=3
                                        ; implicit-def: $vgpr10_vgpr11
	s_cbranch_execz .LBB36_65
	s_branch .LBB36_62
.LBB36_59:                              ;   in Loop: Header=BB36_56 Depth=3
	v_ashrrev_i32_e32 v5, 31, v4
	v_lshl_add_u64 v[10:11], v[4:5], 3, s[20:21]
	global_load_dwordx2 v[10:11], v[10:11], off
	v_mov_b64_e32 v[12:13], 0
	s_and_saveexec_b64 s[34:35], s[2:3]
	s_cbranch_execz .LBB36_61
; %bb.60:                               ;   in Loop: Header=BB36_56 Depth=3
	v_ashrrev_i32_e32 v7, 31, v6
	v_lshl_add_u64 v[12:13], v[6:7], 3, s[20:21]
	global_load_dwordx2 v[12:13], v[12:13], off
.LBB36_61:                              ;   in Loop: Header=BB36_56 Depth=3
	s_or_b64 exec, exec, s[34:35]
	s_waitcnt vmcnt(0)
	v_fma_f64 v[10:11], v[10:11], v[12:13], v[8:9]
	s_branch .LBB36_65
.LBB36_62:                              ;   in Loop: Header=BB36_56 Depth=3
	v_add_u32_e32 v10, s38, v29
	v_ashrrev_i32_e32 v11, 31, v10
	v_lshl_add_u64 v[10:11], v[10:11], 3, s[20:21]
	global_load_dwordx2 v[10:11], v[10:11], off
	v_mov_b64_e32 v[12:13], 0
	s_and_saveexec_b64 s[34:35], s[2:3]
	s_cbranch_execz .LBB36_64
; %bb.63:                               ;   in Loop: Header=BB36_56 Depth=3
	v_add_u32_e32 v12, s38, v26
	v_ashrrev_i32_e32 v13, 31, v12
	v_lshl_add_u64 v[12:13], v[12:13], 3, s[20:21]
	global_load_dwordx2 v[12:13], v[12:13], off
.LBB36_64:                              ;   in Loop: Header=BB36_56 Depth=3
	s_or_b64 exec, exec, s[34:35]
	s_waitcnt vmcnt(0)
	v_fmac_f64_e32 v[8:9], v[10:11], v[12:13]
	v_mov_b64_e32 v[10:11], v[8:9]
.LBB36_65:                              ;   in Loop: Header=BB36_56 Depth=3
	s_add_i32 s38, s38, 1
	v_add_u32_e32 v6, s44, v6
	s_cmp_eq_u32 s44, s38
	v_add_u32_e32 v4, s44, v4
	s_cbranch_scc0 .LBB36_57
; %bb.66:                               ;   in Loop: Header=BB36_56 Depth=3
	v_lshl_add_u32 v6, v30, 3, v16
	ds_read_b64 v[4:5], v6
	v_add_u32_e32 v30, 4, v30
	v_cmp_le_i32_e32 vcc, s44, v30
	v_add_u32_e32 v28, 4, v28
	s_or_b64 s[30:31], vcc, s[30:31]
	s_waitcnt lgkmcnt(0)
	v_add_f64 v[4:5], v[10:11], v[4:5]
	v_add_u32_e32 v29, s48, v29
	ds_write_b64 v6, v[4:5]
	s_andn2_b64 exec, exec, s[30:31]
	s_cbranch_execnz .LBB36_56
	s_branch .LBB36_53
.LBB36_67:                              ;   in Loop: Header=BB36_10 Depth=1
	s_andn2_b64 vcc, exec, s[24:25]
	s_waitcnt lgkmcnt(0)
	s_cbranch_vccnz .LBB36_79
; %bb.68:                               ;   in Loop: Header=BB36_10 Depth=1
	s_mov_b32 s34, 0
	v_mov_b32_e32 v13, s49
	v_mov_b32_e32 v10, v23
	s_mov_b32 s35, 0
	s_branch .LBB36_70
.LBB36_69:                              ;   in Loop: Header=BB36_70 Depth=2
	s_or_b64 exec, exec, s[28:29]
	s_add_i32 s35, s35, 1
	s_addk_i32 s34, 0x88
	s_cmp_eq_u32 s35, s44
	v_add_u32_e32 v10, 8, v10
	s_waitcnt lgkmcnt(0)
	s_cbranch_scc1 .LBB36_79
.LBB36_70:                              ;   Parent Loop BB36_10 Depth=1
                                        ; =>  This Loop Header: Depth=2
                                        ;       Child Loop BB36_75 Depth 3
                                        ;       Child Loop BB36_78 Depth 3
	s_lshl_b32 s28, s35, 3
	s_mul_i32 s29, s35, 0x88
	s_add_i32 s29, s29, s28
	v_mov_b32_e32 v4, s29
	ds_read_b64 v[4:5], v4
	v_add_u32_e32 v11, s28, v15
	ds_read_b64 v[6:7], v11
	s_waitcnt lgkmcnt(1)
	v_cmp_neq_f64_e32 vcc, 0, v[4:5]
	s_nop 1
	v_cndmask_b32_e32 v5, v25, v5, vcc
	s_nor_b64 s[30:31], vcc, s[4:5]
	v_cndmask_b32_e32 v4, 0, v4, vcc
	s_and_saveexec_b64 s[28:29], s[30:31]
	s_cbranch_execz .LBB36_74
; %bb.71:                               ;   in Loop: Header=BB36_70 Depth=2
	v_mbcnt_lo_u32_b32 v4, exec_lo, 0
	v_mbcnt_hi_u32_b32 v4, exec_hi, v4
	v_cmp_eq_u32_e32 vcc, 0, v4
	s_and_saveexec_b64 s[30:31], vcc
	s_cbranch_execz .LBB36_73
; %bb.72:                               ;   in Loop: Header=BB36_70 Depth=2
	global_atomic_smin v2, v13, s[14:15]
.LBB36_73:                              ;   in Loop: Header=BB36_70 Depth=2
	s_or_b64 exec, exec, s[30:31]
	v_mov_b64_e32 v[4:5], 1.0
.LBB36_74:                              ;   in Loop: Header=BB36_70 Depth=2
	s_or_b64 exec, exec, s[28:29]
	v_lshl_add_u32 v8, s35, 3, v16
	ds_read_b64 v[8:9], v8
	s_cmp_eq_u32 s35, 0
	v_mov_b32_e32 v12, v15
	s_mov_b32 s28, s34
	s_mov_b32 s29, s35
	s_cbranch_scc1 .LBB36_76
.LBB36_75:                              ;   Parent Loop BB36_10 Depth=1
                                        ;     Parent Loop BB36_70 Depth=2
                                        ; =>    This Inner Loop Header: Depth=3
	v_mov_b32_e32 v28, s28
	ds_read_b64 v[26:27], v12
	ds_read_b64 v[28:29], v28
	s_add_i32 s29, s29, -1
	s_add_i32 s28, s28, 8
	v_add_u32_e32 v12, 8, v12
	s_cmp_eq_u32 s29, 0
	s_waitcnt lgkmcnt(0)
	v_fmac_f64_e32 v[8:9], v[28:29], v[26:27]
	s_cbranch_scc0 .LBB36_75
.LBB36_76:                              ;   in Loop: Header=BB36_70 Depth=2
	s_waitcnt lgkmcnt(0)
	v_add_f64 v[6:7], v[6:7], -v[8:9]
	v_div_scale_f64 v[8:9], s[28:29], v[4:5], v[4:5], v[6:7]
	v_rcp_f64_e32 v[26:27], v[8:9]
	v_div_scale_f64 v[28:29], vcc, v[6:7], v[4:5], v[6:7]
	v_fma_f64 v[30:31], -v[8:9], v[26:27], 1.0
	v_fmac_f64_e32 v[26:27], v[26:27], v[30:31]
	v_fma_f64 v[30:31], -v[8:9], v[26:27], 1.0
	v_fmac_f64_e32 v[26:27], v[26:27], v[30:31]
	v_mul_f64 v[30:31], v[28:29], v[26:27]
	v_fma_f64 v[8:9], -v[8:9], v[30:31], v[28:29]
	v_div_fmas_f64 v[8:9], v[8:9], v[26:27], v[30:31]
	v_div_fixup_f64 v[4:5], v[8:9], v[4:5], v[6:7]
	ds_write_b64 v11, v[4:5]
	s_waitcnt lgkmcnt(0)
	s_and_saveexec_b64 s[28:29], s[0:1]
	s_cbranch_execz .LBB36_69
; %bb.77:                               ;   in Loop: Header=BB36_70 Depth=2
	s_mov_b64 s[30:31], 0
	v_mov_b32_e32 v6, v10
	v_mov_b32_e32 v7, v22
	v_mov_b32_e32 v8, v1
.LBB36_78:                              ;   Parent Loop BB36_10 Depth=1
                                        ;     Parent Loop BB36_70 Depth=2
                                        ; =>    This Inner Loop Header: Depth=3
	ds_read_b64 v[26:27], v6
	ds_read_b64 v[28:29], v7
	v_add_u32_e32 v8, 4, v8
	v_cmp_le_i32_e32 vcc, s44, v8
	s_or_b64 s[30:31], vcc, s[30:31]
	v_add_u32_e32 v6, 0x220, v6
	s_waitcnt lgkmcnt(0)
	v_fmac_f64_e32 v[28:29], v[4:5], v[26:27]
	ds_write_b64 v7, v[28:29]
	v_add_u32_e32 v7, 32, v7
	s_andn2_b64 exec, exec, s[30:31]
	s_cbranch_execnz .LBB36_78
	s_branch .LBB36_69
.LBB36_79:                              ;   in Loop: Header=BB36_10 Depth=1
	s_and_saveexec_b64 s[28:29], s[0:1]
	s_cbranch_execz .LBB36_9
; %bb.80:                               ;   in Loop: Header=BB36_10 Depth=1
	s_mov_b64 s[30:31], 0
	v_mov_b32_e32 v8, v24
	v_mov_b32_e32 v9, v1
	s_branch .LBB36_84
.LBB36_81:                              ;   in Loop: Header=BB36_84 Depth=2
	v_add_u32_e32 v6, v21, v9
.LBB36_82:                              ;   in Loop: Header=BB36_84 Depth=2
	v_ashrrev_i32_e32 v7, 31, v6
	v_lshl_add_u64 v[6:7], v[6:7], 3, s[20:21]
	s_waitcnt lgkmcnt(0)
	global_store_dwordx2 v[6:7], v[4:5], off
.LBB36_83:                              ;   in Loop: Header=BB36_84 Depth=2
	s_or_b64 exec, exec, s[34:35]
	v_add_u32_e32 v9, 4, v9
	v_cmp_le_i32_e32 vcc, s44, v9
	s_or_b64 s[30:31], vcc, s[30:31]
	v_add_u32_e32 v8, 32, v8
	s_andn2_b64 exec, exec, s[30:31]
	s_cbranch_execz .LBB36_9
.LBB36_84:                              ;   Parent Loop BB36_10 Depth=1
                                        ; =>  This Inner Loop Header: Depth=2
	s_and_saveexec_b64 s[34:35], s[2:3]
	s_cbranch_execz .LBB36_83
; %bb.85:                               ;   in Loop: Header=BB36_84 Depth=2
	ds_read_b64 v[4:5], v8
	s_and_b64 vcc, exec, s[22:23]
	s_cbranch_vccz .LBB36_87
; %bb.86:                               ;   in Loop: Header=BB36_84 Depth=2
	v_add_u32_e32 v6, s27, v9
	v_mad_u64_u32 v[6:7], s[36:37], v6, s44, v[0:1]
	s_cbranch_execnz .LBB36_82
	s_branch .LBB36_81
.LBB36_87:                              ;   in Loop: Header=BB36_84 Depth=2
                                        ; implicit-def: $vgpr6
	s_branch .LBB36_81
.LBB36_88:                              ;   in Loop: Header=BB36_10 Depth=1
                                        ; implicit-def: $sgpr26
                                        ; implicit-def: $vgpr21
	s_cbranch_execz .LBB36_10
.LBB36_89:
	v_cmp_gt_i32_e64 s[0:1], s44, v1
	s_and_saveexec_b64 s[4:5], s[0:1]
	s_cbranch_execz .LBB36_102
; %bb.90:
	s_mul_i32 s26, s33, s44
	v_add_u32_e32 v2, s26, v0
	s_cmp_lg_u32 s45, 0
	v_mul_lo_u32 v4, v2, s44
	v_mul_u32_u24_e32 v2, 0x88, v0
	s_movk_i32 s16, 0x1100
	s_cselect_b64 s[8:9], -1, 0
	v_cmp_gt_i32_e64 s[2:3], s44, v0
	v_add3_u32 v5, v2, v14, s16
	s_mov_b64 s[16:17], 0
	v_mov_b32_e32 v6, v1
	s_branch .LBB36_92
.LBB36_91:                              ;   in Loop: Header=BB36_92 Depth=1
	s_or_b64 exec, exec, s[22:23]
	v_add_u32_e32 v6, 4, v6
	v_cmp_le_i32_e32 vcc, s44, v6
	s_waitcnt vmcnt(0)
	ds_write_b64 v5, v[8:9]
	s_or_b64 s[16:17], vcc, s[16:17]
	v_add_u32_e32 v5, 32, v5
	s_andn2_b64 exec, exec, s[16:17]
	s_cbranch_execz .LBB36_102
.LBB36_92:                              ; =>This Inner Loop Header: Depth=1
	s_and_b64 vcc, exec, s[8:9]
	s_cbranch_vccz .LBB36_99
; %bb.93:                               ;   in Loop: Header=BB36_92 Depth=1
	s_mov_b64 s[22:23], 0
	s_mov_b64 s[18:19], 0
                                        ; implicit-def: $vgpr2
	s_and_saveexec_b64 s[24:25], s[2:3]
	s_xor_b64 s[24:25], exec, s[24:25]
; %bb.94:                               ;   in Loop: Header=BB36_92 Depth=1
	v_add_u32_e32 v2, s26, v6
	s_mov_b64 s[18:19], exec
	v_mad_u64_u32 v[2:3], s[28:29], v2, s44, v[0:1]
; %bb.95:                               ;   in Loop: Header=BB36_92 Depth=1
	s_or_b64 exec, exec, s[24:25]
	s_and_b64 vcc, exec, s[22:23]
	s_cbranch_vccz .LBB36_100
.LBB36_96:                              ;   in Loop: Header=BB36_92 Depth=1
                                        ; implicit-def: $vgpr2
	s_and_saveexec_b64 s[22:23], s[2:3]
; %bb.97:                               ;   in Loop: Header=BB36_92 Depth=1
	v_add_u32_e32 v2, v4, v6
	s_or_b64 s[18:19], s[18:19], exec
; %bb.98:                               ;   in Loop: Header=BB36_92 Depth=1
	s_or_b64 exec, exec, s[22:23]
	v_mov_b64_e32 v[8:9], 0
	s_and_saveexec_b64 s[22:23], s[18:19]
	s_cbranch_execz .LBB36_91
	s_branch .LBB36_101
.LBB36_99:                              ;   in Loop: Header=BB36_92 Depth=1
	s_mov_b64 s[18:19], 0
                                        ; implicit-def: $vgpr2
	s_cbranch_execnz .LBB36_96
.LBB36_100:                             ;   in Loop: Header=BB36_92 Depth=1
	v_mov_b64_e32 v[8:9], 0
	s_and_saveexec_b64 s[22:23], s[18:19]
	s_cbranch_execz .LBB36_91
.LBB36_101:                             ;   in Loop: Header=BB36_92 Depth=1
	v_ashrrev_i32_e32 v3, 31, v2
	v_lshl_add_u64 v[2:3], v[2:3], 3, s[20:21]
	global_load_dwordx2 v[8:9], v[2:3], off
	s_branch .LBB36_91
.LBB36_102:
	s_or_b64 exec, exec, s[4:5]
	s_cmp_lt_i32 s44, 1
	s_waitcnt lgkmcnt(0)
	s_cbranch_scc1 .LBB36_115
; %bb.103:
	v_or_b32_e32 v4, v1, v0
	s_movk_i32 s4, 0x88
	v_mov_b32_e32 v2, 0x1100
	v_mul_u32_u24_e32 v3, 0x88, v0
	v_cmp_ne_u32_e64 s[2:3], 0, v4
	s_movk_i32 s5, 0x1980
	v_mov_b32_e32 v4, 0x1980
	v_mad_u32_u24 v6, v0, s4, v2
	s_add_i32 s8, s12, s13
	v_mad_u32_u24 v7, v0, s4, v4
	v_lshlrev_b32_e32 v4, 3, v0
	v_add3_u32 v10, v3, v14, s5
	v_mad_u32_u24 v11, v1, s4, v2
	s_mov_b32 s4, 0
	s_mov_b32 s18, 0
	v_add_u32_e32 v8, v6, v4
	v_add_u32_e32 v9, v7, v4
	s_brev_b32 s5, 8
	v_mov_b32_e32 v12, 0x260
	v_mov_b32_e32 v13, 0x3ff00000
	;; [unrolled: 1-line block ×6, first 2 shown]
	s_branch .LBB36_105
.LBB36_104:                             ;   in Loop: Header=BB36_105 Depth=1
	s_or_b64 exec, exec, s[8:9]
	s_add_i32 s18, s18, 1
	s_cmp_eq_u32 s18, s44
	v_add_u32_e32 v11, 8, v11
	s_waitcnt lgkmcnt(0)
	s_cbranch_scc1 .LBB36_115
.LBB36_105:                             ; =>This Loop Header: Depth=1
                                        ;     Child Loop BB36_114 Depth 2
	v_cmp_eq_u32_e32 vcc, s18, v0
	s_and_saveexec_b64 s[8:9], vcc
	s_cbranch_execz .LBB36_107
; %bb.106:                              ;   in Loop: Header=BB36_105 Depth=1
	ds_read_b64 v[2:3], v8
	ds_read_b64 v[4:5], v9
	s_waitcnt lgkmcnt(0)
	v_add_f64 v[2:3], v[2:3], -v[4:5]
	v_xor_b32_e32 v4, 0x80000000, v3
	v_cmp_gt_f64_e32 vcc, 0, v[2:3]
	s_nop 1
	v_cndmask_b32_e32 v3, v3, v4, vcc
	v_cmp_gt_f64_e32 vcc, s[4:5], v[2:3]
	s_nop 1
	v_cndmask_b32_e32 v4, 0, v16, vcc
	v_ldexp_f64 v[2:3], v[2:3], v4
	v_rsq_f64_e32 v[4:5], v[2:3]
	v_cndmask_b32_e32 v18, 0, v17, vcc
	v_cmp_class_f64_e32 vcc, v[2:3], v12
	v_mul_f64 v[20:21], v[2:3], v[4:5]
	v_mul_f64 v[4:5], v[4:5], 0.5
	v_fma_f64 v[22:23], -v[4:5], v[20:21], 0.5
	v_fmac_f64_e32 v[20:21], v[20:21], v[22:23]
	v_fmac_f64_e32 v[4:5], v[4:5], v[22:23]
	v_fma_f64 v[22:23], -v[20:21], v[20:21], v[2:3]
	v_fmac_f64_e32 v[20:21], v[22:23], v[4:5]
	v_fma_f64 v[22:23], -v[20:21], v[20:21], v[2:3]
	v_fmac_f64_e32 v[20:21], v[22:23], v[4:5]
	v_ldexp_f64 v[4:5], v[20:21], v18
	v_cndmask_b32_e32 v3, v5, v3, vcc
	v_cndmask_b32_e32 v2, v4, v2, vcc
	ds_write_b64 v8, v[2:3]
.LBB36_107:                             ;   in Loop: Header=BB36_105 Depth=1
	s_or_b64 exec, exec, s[8:9]
	s_lshl_b32 s8, s18, 3
	s_mul_i32 s9, s18, 0x88
	s_add_i32 s9, s9, s8
	v_mov_b32_e32 v2, s9
	s_waitcnt lgkmcnt(0)
	ds_read_b64 v[2:3], v2 offset:4352
	v_add_u32_e32 v18, s8, v6
	ds_read_b64 v[4:5], v18
	s_waitcnt lgkmcnt(1)
	v_cmp_neq_f64_e32 vcc, 0, v[2:3]
	s_nop 1
	v_cndmask_b32_e32 v3, v13, v3, vcc
	s_nor_b64 s[16:17], vcc, s[2:3]
	v_cndmask_b32_e32 v2, 0, v2, vcc
	s_and_saveexec_b64 s[8:9], s[16:17]
	s_cbranch_execz .LBB36_111
; %bb.108:                              ;   in Loop: Header=BB36_105 Depth=1
	v_mbcnt_lo_u32_b32 v2, exec_lo, 0
	v_mbcnt_hi_u32_b32 v2, exec_hi, v2
	v_cmp_eq_u32_e32 vcc, 0, v2
	s_and_saveexec_b64 s[16:17], vcc
	s_cbranch_execz .LBB36_110
; %bb.109:                              ;   in Loop: Header=BB36_105 Depth=1
	global_atomic_smin v15, v19, s[14:15]
.LBB36_110:                             ;   in Loop: Header=BB36_105 Depth=1
	s_or_b64 exec, exec, s[16:17]
	v_mov_b64_e32 v[2:3], 1.0
.LBB36_111:                             ;   in Loop: Header=BB36_105 Depth=1
	s_or_b64 exec, exec, s[8:9]
	v_cmp_lt_u32_e32 vcc, s18, v0
	s_and_saveexec_b64 s[8:9], vcc
	s_cbranch_execz .LBB36_104
; %bb.112:                              ;   in Loop: Header=BB36_105 Depth=1
	v_lshl_add_u32 v20, s18, 3, v7
	ds_read_b64 v[20:21], v20
	s_waitcnt lgkmcnt(0)
	v_add_f64 v[4:5], v[4:5], -v[20:21]
	v_div_scale_f64 v[20:21], s[16:17], v[2:3], v[2:3], v[4:5]
	v_rcp_f64_e32 v[22:23], v[20:21]
	v_div_scale_f64 v[24:25], vcc, v[4:5], v[2:3], v[4:5]
	v_fma_f64 v[26:27], -v[20:21], v[22:23], 1.0
	v_fmac_f64_e32 v[22:23], v[22:23], v[26:27]
	v_fma_f64 v[26:27], -v[20:21], v[22:23], 1.0
	v_fmac_f64_e32 v[22:23], v[22:23], v[26:27]
	v_mul_f64 v[26:27], v[24:25], v[22:23]
	v_fma_f64 v[20:21], -v[20:21], v[26:27], v[24:25]
	v_div_fmas_f64 v[20:21], v[20:21], v[22:23], v[26:27]
	v_div_fixup_f64 v[2:3], v[20:21], v[2:3], v[4:5]
	ds_write_b64 v18, v[2:3]
	s_waitcnt lgkmcnt(0)
	s_and_b64 exec, exec, s[0:1]
	s_cbranch_execz .LBB36_104
; %bb.113:                              ;   in Loop: Header=BB36_105 Depth=1
	s_mov_b64 s[16:17], 0
	v_mov_b32_e32 v4, v11
	v_mov_b32_e32 v5, v10
	;; [unrolled: 1-line block ×3, first 2 shown]
.LBB36_114:                             ;   Parent Loop BB36_105 Depth=1
                                        ; =>  This Inner Loop Header: Depth=2
	ds_read_b64 v[20:21], v4
	ds_read_b64 v[22:23], v5
	v_add_u32_e32 v18, 4, v18
	v_cmp_le_i32_e32 vcc, s44, v18
	s_or_b64 s[16:17], vcc, s[16:17]
	v_add_u32_e32 v4, 0x220, v4
	s_waitcnt lgkmcnt(0)
	v_fmac_f64_e32 v[22:23], v[2:3], v[20:21]
	ds_write_b64 v5, v[22:23]
	v_add_u32_e32 v5, 32, v5
	s_andn2_b64 exec, exec, s[16:17]
	s_cbranch_execnz .LBB36_114
	s_branch .LBB36_104
.LBB36_115:
	s_and_saveexec_b64 s[2:3], s[0:1]
	s_cbranch_execz .LBB36_124
; %bb.116:
	s_mul_i32 s33, s33, s44
	v_add_u32_e32 v2, s33, v0
	s_cmp_lg_u32 s45, 0
	v_mul_lo_u32 v6, v2, s44
	v_mul_u32_u24_e32 v2, 0x88, v0
	s_movk_i32 s8, 0x1100
	v_cmp_gt_i32_e64 s[0:1], s44, v0
	s_cselect_b64 s[4:5], -1, 0
	v_add3_u32 v7, v2, v14, s8
	s_mov_b64 s[8:9], 0
	v_mov_b32_e32 v8, v1
	s_branch .LBB36_120
.LBB36_117:                             ;   in Loop: Header=BB36_120 Depth=1
	v_add_u32_e32 v4, v6, v8
.LBB36_118:                             ;   in Loop: Header=BB36_120 Depth=1
	v_ashrrev_i32_e32 v5, 31, v4
	v_lshl_add_u64 v[4:5], v[4:5], 3, s[20:21]
	s_waitcnt lgkmcnt(0)
	global_store_dwordx2 v[4:5], v[2:3], off
.LBB36_119:                             ;   in Loop: Header=BB36_120 Depth=1
	s_or_b64 exec, exec, s[16:17]
	v_add_u32_e32 v8, 4, v8
	v_cmp_le_i32_e32 vcc, s44, v8
	s_or_b64 s[8:9], vcc, s[8:9]
	v_add_u32_e32 v7, 32, v7
	s_andn2_b64 exec, exec, s[8:9]
	s_cbranch_execz .LBB36_124
.LBB36_120:                             ; =>This Inner Loop Header: Depth=1
	s_and_saveexec_b64 s[16:17], s[0:1]
	s_cbranch_execz .LBB36_119
; %bb.121:                              ;   in Loop: Header=BB36_120 Depth=1
	ds_read_b64 v[2:3], v7
	s_and_b64 vcc, exec, s[4:5]
	s_cbranch_vccz .LBB36_123
; %bb.122:                              ;   in Loop: Header=BB36_120 Depth=1
	v_add_u32_e32 v4, s33, v8
	v_mad_u64_u32 v[4:5], s[18:19], v4, s44, v[0:1]
	s_cbranch_execnz .LBB36_118
	s_branch .LBB36_117
.LBB36_123:                             ;   in Loop: Header=BB36_120 Depth=1
                                        ; implicit-def: $vgpr4
	s_branch .LBB36_117
.LBB36_124:
	s_or_b64 exec, exec, s[2:3]
	v_or_b32_e32 v2, v1, v0
	v_cmp_eq_u32_e32 vcc, 0, v2
	s_and_saveexec_b64 s[0:1], vcc
	s_cbranch_execz .LBB36_126
; %bb.125:
	s_add_u32 s2, s10, s6
	s_addc_u32 s3, s11, s7
	v_mov_b32_e32 v2, 0
	v_mov_b32_e32 v3, 1
	buffer_wbl2 sc1
	s_waitcnt vmcnt(0)
	global_store_dword v2, v3, s[2:3] sc1
.LBB36_126:
	s_or_b64 exec, exec, s[0:1]
.LBB36_127:
	s_endpgm
.LBB36_128:
	s_cbranch_execz .LBB36_127
; %bb.129:
	v_or_b32_e32 v0, v1, v0
	v_cmp_eq_u32_e32 vcc, 0, v0
	s_and_saveexec_b64 s[0:1], vcc
	s_cbranch_execz .LBB36_127
; %bb.130:
	v_mbcnt_lo_u32_b32 v0, exec_lo, 0
	v_mbcnt_hi_u32_b32 v0, exec_hi, v0
	v_cmp_eq_u32_e32 vcc, 0, v0
	s_and_saveexec_b64 s[0:1], vcc
	s_cbranch_execz .LBB36_132
; %bb.131:
	s_add_i32 s2, s12, s13
	v_mov_b32_e32 v0, 0
	v_mov_b32_e32 v1, s2
	global_atomic_smin v0, v1, s[14:15]
.LBB36_132:
	s_or_b64 exec, exec, s[0:1]
	s_add_u32 s0, s10, s6
	s_addc_u32 s1, s11, s7
	v_mov_b32_e32 v0, 0
	v_mov_b32_e32 v1, 1
	buffer_wbl2 sc1
	s_waitcnt vmcnt(0)
	global_store_dword v0, v1, s[0:1] sc1
	s_endpgm
	.section	.rodata,"a",@progbits
	.p2align	6, 0x0
	.amdhsa_kernel _ZN9rocsparseL18bsric0_9_16_kernelILi64ELi128ELi16EdEEv20rocsparse_direction_iiPKiS3_PT2_S3_PiS3_S6_21rocsparse_index_base_
		.amdhsa_group_segment_fixed_size 10240
		.amdhsa_private_segment_fixed_size 0
		.amdhsa_kernarg_size 76
		.amdhsa_user_sgpr_count 2
		.amdhsa_user_sgpr_dispatch_ptr 0
		.amdhsa_user_sgpr_queue_ptr 0
		.amdhsa_user_sgpr_kernarg_segment_ptr 1
		.amdhsa_user_sgpr_dispatch_id 0
		.amdhsa_user_sgpr_kernarg_preload_length 0
		.amdhsa_user_sgpr_kernarg_preload_offset 0
		.amdhsa_user_sgpr_private_segment_size 0
		.amdhsa_uses_dynamic_stack 0
		.amdhsa_enable_private_segment 0
		.amdhsa_system_sgpr_workgroup_id_x 1
		.amdhsa_system_sgpr_workgroup_id_y 0
		.amdhsa_system_sgpr_workgroup_id_z 0
		.amdhsa_system_sgpr_workgroup_info 0
		.amdhsa_system_vgpr_workitem_id 1
		.amdhsa_next_free_vgpr 97
		.amdhsa_next_free_sgpr 96
		.amdhsa_accum_offset 32
		.amdhsa_reserve_vcc 1
		.amdhsa_float_round_mode_32 0
		.amdhsa_float_round_mode_16_64 0
		.amdhsa_float_denorm_mode_32 3
		.amdhsa_float_denorm_mode_16_64 3
		.amdhsa_dx10_clamp 1
		.amdhsa_ieee_mode 1
		.amdhsa_fp16_overflow 0
		.amdhsa_tg_split 0
		.amdhsa_exception_fp_ieee_invalid_op 0
		.amdhsa_exception_fp_denorm_src 0
		.amdhsa_exception_fp_ieee_div_zero 0
		.amdhsa_exception_fp_ieee_overflow 0
		.amdhsa_exception_fp_ieee_underflow 0
		.amdhsa_exception_fp_ieee_inexact 0
		.amdhsa_exception_int_div_zero 0
	.end_amdhsa_kernel
	.section	.text._ZN9rocsparseL18bsric0_9_16_kernelILi64ELi128ELi16EdEEv20rocsparse_direction_iiPKiS3_PT2_S3_PiS3_S6_21rocsparse_index_base_,"axG",@progbits,_ZN9rocsparseL18bsric0_9_16_kernelILi64ELi128ELi16EdEEv20rocsparse_direction_iiPKiS3_PT2_S3_PiS3_S6_21rocsparse_index_base_,comdat
.Lfunc_end36:
	.size	_ZN9rocsparseL18bsric0_9_16_kernelILi64ELi128ELi16EdEEv20rocsparse_direction_iiPKiS3_PT2_S3_PiS3_S6_21rocsparse_index_base_, .Lfunc_end36-_ZN9rocsparseL18bsric0_9_16_kernelILi64ELi128ELi16EdEEv20rocsparse_direction_iiPKiS3_PT2_S3_PiS3_S6_21rocsparse_index_base_
                                        ; -- End function
	.set _ZN9rocsparseL18bsric0_9_16_kernelILi64ELi128ELi16EdEEv20rocsparse_direction_iiPKiS3_PT2_S3_PiS3_S6_21rocsparse_index_base_.num_vgpr, 32
	.set _ZN9rocsparseL18bsric0_9_16_kernelILi64ELi128ELi16EdEEv20rocsparse_direction_iiPKiS3_PT2_S3_PiS3_S6_21rocsparse_index_base_.num_agpr, 0
	.set _ZN9rocsparseL18bsric0_9_16_kernelILi64ELi128ELi16EdEEv20rocsparse_direction_iiPKiS3_PT2_S3_PiS3_S6_21rocsparse_index_base_.numbered_sgpr, 54
	.set _ZN9rocsparseL18bsric0_9_16_kernelILi64ELi128ELi16EdEEv20rocsparse_direction_iiPKiS3_PT2_S3_PiS3_S6_21rocsparse_index_base_.num_named_barrier, 0
	.set _ZN9rocsparseL18bsric0_9_16_kernelILi64ELi128ELi16EdEEv20rocsparse_direction_iiPKiS3_PT2_S3_PiS3_S6_21rocsparse_index_base_.private_seg_size, 0
	.set _ZN9rocsparseL18bsric0_9_16_kernelILi64ELi128ELi16EdEEv20rocsparse_direction_iiPKiS3_PT2_S3_PiS3_S6_21rocsparse_index_base_.uses_vcc, 1
	.set _ZN9rocsparseL18bsric0_9_16_kernelILi64ELi128ELi16EdEEv20rocsparse_direction_iiPKiS3_PT2_S3_PiS3_S6_21rocsparse_index_base_.uses_flat_scratch, 0
	.set _ZN9rocsparseL18bsric0_9_16_kernelILi64ELi128ELi16EdEEv20rocsparse_direction_iiPKiS3_PT2_S3_PiS3_S6_21rocsparse_index_base_.has_dyn_sized_stack, 0
	.set _ZN9rocsparseL18bsric0_9_16_kernelILi64ELi128ELi16EdEEv20rocsparse_direction_iiPKiS3_PT2_S3_PiS3_S6_21rocsparse_index_base_.has_recursion, 0
	.set _ZN9rocsparseL18bsric0_9_16_kernelILi64ELi128ELi16EdEEv20rocsparse_direction_iiPKiS3_PT2_S3_PiS3_S6_21rocsparse_index_base_.has_indirect_call, 0
	.section	.AMDGPU.csdata,"",@progbits
; Kernel info:
; codeLenInByte = 3688
; TotalNumSgprs: 60
; NumVgprs: 32
; NumAgprs: 0
; TotalNumVgprs: 32
; ScratchSize: 0
; MemoryBound: 0
; FloatMode: 240
; IeeeMode: 1
; LDSByteSize: 10240 bytes/workgroup (compile time only)
; SGPRBlocks: 12
; VGPRBlocks: 12
; NumSGPRsForWavesPerEU: 102
; NumVGPRsForWavesPerEU: 97
; AccumOffset: 32
; Occupancy: 4
; WaveLimiterHint : 1
; COMPUTE_PGM_RSRC2:SCRATCH_EN: 0
; COMPUTE_PGM_RSRC2:USER_SGPR: 2
; COMPUTE_PGM_RSRC2:TRAP_HANDLER: 0
; COMPUTE_PGM_RSRC2:TGID_X_EN: 1
; COMPUTE_PGM_RSRC2:TGID_Y_EN: 0
; COMPUTE_PGM_RSRC2:TGID_Z_EN: 0
; COMPUTE_PGM_RSRC2:TIDIG_COMP_CNT: 1
; COMPUTE_PGM_RSRC3_GFX90A:ACCUM_OFFSET: 7
; COMPUTE_PGM_RSRC3_GFX90A:TG_SPLIT: 0
	.section	.text._ZN9rocsparseL19bsric0_17_32_kernelILi64ELi128ELi32EdEEv20rocsparse_direction_iiPKiS3_PT2_S3_PiS3_S6_21rocsparse_index_base_,"axG",@progbits,_ZN9rocsparseL19bsric0_17_32_kernelILi64ELi128ELi32EdEEv20rocsparse_direction_iiPKiS3_PT2_S3_PiS3_S6_21rocsparse_index_base_,comdat
	.globl	_ZN9rocsparseL19bsric0_17_32_kernelILi64ELi128ELi32EdEEv20rocsparse_direction_iiPKiS3_PT2_S3_PiS3_S6_21rocsparse_index_base_ ; -- Begin function _ZN9rocsparseL19bsric0_17_32_kernelILi64ELi128ELi32EdEEv20rocsparse_direction_iiPKiS3_PT2_S3_PiS3_S6_21rocsparse_index_base_
	.p2align	8
	.type	_ZN9rocsparseL19bsric0_17_32_kernelILi64ELi128ELi32EdEEv20rocsparse_direction_iiPKiS3_PT2_S3_PiS3_S6_21rocsparse_index_base_,@function
_ZN9rocsparseL19bsric0_17_32_kernelILi64ELi128ELi32EdEEv20rocsparse_direction_iiPKiS3_PT2_S3_PiS3_S6_21rocsparse_index_base_: ; @_ZN9rocsparseL19bsric0_17_32_kernelILi64ELi128ELi32EdEEv20rocsparse_direction_iiPKiS3_PT2_S3_PiS3_S6_21rocsparse_index_base_
; %bb.0:
	s_load_dwordx8 s[8:15], s[0:1], 0x28
	s_mov_b32 s3, 0
	s_lshl_b64 s[2:3], s[2:3], 2
	v_and_b32_e32 v1, 0x3ff, v0
	v_bfe_u32 v0, v0, 10, 10
	s_waitcnt lgkmcnt(0)
	s_add_u32 s2, s12, s2
	s_addc_u32 s3, s13, s3
	s_load_dword s12, s[2:3], 0x0
	s_waitcnt lgkmcnt(0)
	s_ashr_i32 s13, s12, 31
	s_lshl_b64 s[6:7], s[12:13], 2
	s_add_u32 s2, s8, s6
	s_addc_u32 s3, s9, s7
	s_load_dword s33, s[2:3], 0x0
	s_load_dword s13, s[0:1], 0x48
	s_waitcnt lgkmcnt(0)
	s_cmp_lg_u32 s33, -1
	s_cbranch_scc0 .LBB37_118
; %bb.1:
	s_load_dwordx4 s[16:19], s[0:1], 0x10
	s_load_dwordx2 s[20:21], s[0:1], 0x20
	v_lshlrev_b32_e32 v2, 1, v0
	v_lshlrev_b32_e32 v15, 3, v0
	s_waitcnt lgkmcnt(0)
	s_add_u32 s2, s16, s6
	s_addc_u32 s3, s17, s7
	s_load_dword s2, s[2:3], 0x0
	s_waitcnt lgkmcnt(0)
	s_sub_i32 s48, s2, s13
	v_add3_u32 v2, v2, v1, s48
	v_cmp_ge_i32_e32 vcc, s33, v2
	s_and_saveexec_b64 s[2:3], vcc
	s_cbranch_execz .LBB37_4
; %bb.2:
	v_lshlrev_b32_e32 v3, 2, v1
	s_movk_i32 s4, 0x6700
	v_add3_u32 v4, v15, v3, s4
	s_mov_b64 s[4:5], 0
.LBB37_3:                               ; =>This Inner Loop Header: Depth=1
	v_ashrrev_i32_e32 v3, 31, v2
	v_lshl_add_u64 v[6:7], v[2:3], 2, s[18:19]
	global_load_dword v3, v[6:7], off
	v_add_u32_e32 v2, 64, v2
	v_cmp_lt_i32_e32 vcc, s33, v2
	s_or_b64 s[4:5], vcc, s[4:5]
	s_waitcnt vmcnt(0)
	v_subrev_u32_e32 v3, s13, v3
	ds_write_b32 v4, v3
	v_add_u32_e32 v4, 0x100, v4
	s_andn2_b64 exec, exec, s[4:5]
	s_cbranch_execnz .LBB37_3
.LBB37_4:
	s_or_b64 exec, exec, s[2:3]
	v_cmp_gt_u32_e32 vcc, 32, v1
	v_lshlrev_b32_e32 v14, 3, v1
	s_and_saveexec_b64 s[2:3], vcc
	s_cbranch_execz .LBB37_7
; %bb.5:
	v_mul_u32_u24_e32 v3, 0x108, v0
	s_movk_i32 s4, 0x4200
	v_mov_b32_e32 v4, 0
	v_add_u32_e32 v2, -2, v1
	v_add3_u32 v3, v3, v14, s4
	s_mov_b64 s[4:5], 0
	v_mov_b32_e32 v5, v4
.LBB37_6:                               ; =>This Inner Loop Header: Depth=1
	v_add_u32_e32 v2, 2, v2
	v_cmp_lt_u32_e32 vcc, 29, v2
	ds_write_b64 v3, v[4:5]
	s_or_b64 s[4:5], vcc, s[4:5]
	v_add_u32_e32 v3, 16, v3
	s_andn2_b64 exec, exec, s[4:5]
	s_cbranch_execnz .LBB37_6
.LBB37_7:
	s_or_b64 exec, exec, s[2:3]
	s_load_dword s46, s[0:1], 0x8
	s_load_dword s47, s[0:1], 0x0
	s_cmp_ge_i32 s48, s33
	s_waitcnt lgkmcnt(0)
	v_cmp_gt_i32_e64 s[0:1], s46, v1
	s_cbranch_scc1 .LBB37_79
; %bb.8:
	s_cmp_eq_u32 s47, 0
	s_cselect_b64 s[22:23], -1, 0
	s_cmp_lg_u32 s47, 0
	s_movk_i32 s28, 0x108
	v_mov_b32_e32 v2, 0x2100
	v_or_b32_e32 v3, v1, v0
	s_mul_i32 s29, s46, s48
	s_cselect_b64 s[24:25], -1, 0
	v_mad_u32_u24 v17, v0, s28, v2
	s_cmp_gt_i32 s46, 0
	v_cmp_ne_u32_e64 s[4:5], 0, v3
	v_mad_u32_u24 v19, v0, s28, v14
	v_add_u32_e32 v3, s29, v0
	v_mad_u32_u24 v23, v1, s28, v2
	v_mov_b32_e32 v2, 0
	s_mul_i32 s49, s46, s46
	v_cmp_gt_i32_e64 s[2:3], s46, v0
	v_mul_u32_u24_e32 v16, 0x108, v0
	v_mul_lo_u32 v18, s46, v0
	s_cselect_b64 s[26:27], -1, 0
	v_mul_lo_u32 v21, s46, v3
	v_mul_lo_u32 v20, v1, s46
	s_lshl_b32 s50, s46, 1
	v_add_u32_e32 v22, 0x4200, v19
	v_add_u32_e32 v24, 0x2100, v19
	v_mov_b32_e32 v3, v2
	v_mov_b32_e32 v25, 0x3ff00000
	s_mov_b32 s28, s48
	s_branch .LBB37_10
.LBB37_9:                               ;   in Loop: Header=BB37_10 Depth=1
	s_or_b64 exec, exec, s[30:31]
	s_add_i32 s28, s28, 1
	s_cmp_ge_i32 s28, s33
	buffer_wbl2 sc1
	s_waitcnt vmcnt(0)
	buffer_inv sc1
	v_add_u32_e32 v21, s49, v21
	s_cselect_b64 s[30:31], -1, 0
	s_and_b64 vcc, exec, s[30:31]
	s_cbranch_vccnz .LBB37_79
.LBB37_10:                              ; =>This Loop Header: Depth=1
                                        ;     Child Loop BB37_14 Depth 2
                                        ;     Child Loop BB37_26 Depth 2
	;; [unrolled: 1-line block ×4, first 2 shown]
                                        ;       Child Loop BB37_43 Depth 3
                                        ;         Child Loop BB37_48 Depth 4
                                        ;     Child Loop BB37_57 Depth 2
                                        ;       Child Loop BB37_64 Depth 3
                                        ;       Child Loop BB37_68 Depth 3
                                        ;     Child Loop BB37_73 Depth 2
	s_ashr_i32 s29, s28, 31
	s_lshl_b64 s[30:31], s[28:29], 2
	s_add_u32 s30, s18, s30
	s_addc_u32 s31, s19, s31
	s_load_dword s51, s[30:31], 0x0
	s_waitcnt lgkmcnt(0)
	s_sub_i32 s34, s51, s13
	s_ashr_i32 s35, s34, 31
	s_lshl_b64 s[30:31], s[34:35], 2
	s_add_u32 s36, s8, s30
	s_addc_u32 s37, s9, s31
	s_load_dword s52, s[36:37], 0x0
	s_waitcnt lgkmcnt(0)
	s_cmp_eq_u32 s52, -1
	s_cbranch_scc1 .LBB37_78
; %bb.11:                               ;   in Loop: Header=BB37_10 Depth=1
	s_add_u32 s36, s16, s30
	s_addc_u32 s37, s17, s31
	s_load_dword s35, s[36:37], 0x0
	s_mul_i32 s29, s28, s46
	s_and_saveexec_b64 s[36:37], s[0:1]
	s_cbranch_execz .LBB37_24
; %bb.12:                               ;   in Loop: Header=BB37_10 Depth=1
	s_mov_b64 s[38:39], 0
	v_mov_b32_e32 v6, v19
	v_mov_b32_e32 v7, v1
	s_branch .LBB37_14
.LBB37_13:                              ;   in Loop: Header=BB37_14 Depth=2
	s_or_b64 exec, exec, s[42:43]
	v_add_u32_e32 v7, 2, v7
	v_cmp_le_i32_e32 vcc, s46, v7
	s_waitcnt vmcnt(0)
	ds_write_b64 v6, v[8:9] offset:8448
	ds_write_b64 v6, v[2:3]
	s_or_b64 s[38:39], vcc, s[38:39]
	v_add_u32_e32 v6, 16, v6
	s_andn2_b64 exec, exec, s[38:39]
	s_cbranch_execz .LBB37_24
.LBB37_14:                              ;   Parent Loop BB37_10 Depth=1
                                        ; =>  This Inner Loop Header: Depth=2
	s_mov_b64 s[42:43], -1
	s_and_b64 vcc, exec, s[24:25]
	s_mov_b64 s[40:41], 0
                                        ; implicit-def: $vgpr4
	s_cbranch_vccz .LBB37_19
; %bb.15:                               ;   in Loop: Header=BB37_14 Depth=2
	s_mov_b64 s[42:43], 0
                                        ; implicit-def: $vgpr4
	s_and_saveexec_b64 s[44:45], s[2:3]
	s_xor_b64 s[44:45], exec, s[44:45]
; %bb.16:                               ;   in Loop: Header=BB37_14 Depth=2
	v_add_u32_e32 v4, s29, v7
	s_mov_b64 s[40:41], exec
	v_mad_u64_u32 v[4:5], s[54:55], v4, s46, v[0:1]
; %bb.17:                               ;   in Loop: Header=BB37_14 Depth=2
	s_or_b64 exec, exec, s[44:45]
	s_and_b64 vcc, exec, s[42:43]
	s_cbranch_vccnz .LBB37_20
.LBB37_18:                              ;   in Loop: Header=BB37_14 Depth=2
	v_mov_b64_e32 v[8:9], 0
	s_and_saveexec_b64 s[42:43], s[40:41]
	s_cbranch_execz .LBB37_13
	s_branch .LBB37_23
.LBB37_19:                              ;   in Loop: Header=BB37_14 Depth=2
	s_and_b64 vcc, exec, s[42:43]
	s_cbranch_vccz .LBB37_18
.LBB37_20:                              ;   in Loop: Header=BB37_14 Depth=2
                                        ; implicit-def: $vgpr4
	s_and_saveexec_b64 s[42:43], s[2:3]
; %bb.21:                               ;   in Loop: Header=BB37_14 Depth=2
	v_add_u32_e32 v4, v21, v7
	s_or_b64 s[40:41], s[40:41], exec
; %bb.22:                               ;   in Loop: Header=BB37_14 Depth=2
	s_or_b64 exec, exec, s[42:43]
	v_mov_b64_e32 v[8:9], 0
	s_and_saveexec_b64 s[42:43], s[40:41]
	s_cbranch_execz .LBB37_13
.LBB37_23:                              ;   in Loop: Header=BB37_14 Depth=2
	v_ashrrev_i32_e32 v5, 31, v4
	v_lshl_add_u64 v[4:5], v[4:5], 3, s[20:21]
	global_load_dwordx2 v[8:9], v[4:5], off
	s_branch .LBB37_13
.LBB37_24:                              ;   in Loop: Header=BB37_10 Depth=1
	s_or_b64 exec, exec, s[36:37]
	ds_read_b32 v4, v2 offset:26368
	s_waitcnt lgkmcnt(0)
	s_sub_i32 s36, s35, s13
	s_cmp_le_i32 s36, s52
	s_cselect_b64 s[38:39], -1, 0
	s_mov_b32 s37, 0
	v_cmp_ge_i32_e32 vcc, s34, v4
	s_and_b64 s[38:39], s[38:39], vcc
	s_andn2_b64 vcc, exec, s[38:39]
	s_cbranch_vccnz .LBB37_36
; %bb.25:                               ;   in Loop: Header=BB37_10 Depth=1
	s_mov_b32 s35, 0
	s_mov_b32 s40, 0
.LBB37_26:                              ;   Parent Loop BB37_10 Depth=1
                                        ; =>  This Inner Loop Header: Depth=2
	s_ashr_i32 s37, s36, 31
	s_lshl_b64 s[38:39], s[36:37], 2
	s_add_u32 s38, s18, s38
	s_addc_u32 s39, s19, s39
	s_load_dword s37, s[38:39], 0x0
	s_lshl_b32 s38, s40, 2
	v_mov_b32_e32 v4, s38
	ds_read_b32 v4, v4 offset:26368
	s_mov_b64 s[38:39], -1
	s_waitcnt lgkmcnt(0)
	s_sub_i32 s44, s37, s13
                                        ; implicit-def: $sgpr37
                                        ; implicit-def: $sgpr43
                                        ; implicit-def: $sgpr42
	v_cmp_ge_i32_e32 vcc, s44, v4
	v_readfirstlane_b32 s41, v4
	s_cbranch_vccz .LBB37_32
; %bb.27:                               ;   in Loop: Header=BB37_26 Depth=2
	s_cmp_le_i32 s44, s41
                                        ; implicit-def: $sgpr37
                                        ; implicit-def: $sgpr43
                                        ; implicit-def: $sgpr42
	s_cbranch_scc0 .LBB37_29
; %bb.28:                               ;   in Loop: Header=BB37_26 Depth=2
	s_add_i32 s37, s40, s48
	s_mul_i32 s37, s37, s49
	s_lshl_b32 s38, s35, 2
	v_mov_b32_e32 v5, s37
	s_mul_i32 s37, s36, s49
	v_mov_b32_e32 v4, s38
	v_mov_b32_e32 v6, s37
	ds_write2st64_b32 v4, v6, v5 offset0:99 offset1:101
	s_add_i32 s42, s40, 1
	s_add_i32 s43, s36, 1
	;; [unrolled: 1-line block ×3, first 2 shown]
	s_mov_b64 s[38:39], 0
.LBB37_29:                              ;   in Loop: Header=BB37_26 Depth=2
	s_andn2_b64 vcc, exec, s[38:39]
	s_cbranch_vccnz .LBB37_31
; %bb.30:                               ;   in Loop: Header=BB37_26 Depth=2
	s_add_i32 s42, s40, 1
	s_mov_b32 s37, s35
	s_mov_b32 s43, s36
.LBB37_31:                              ;   in Loop: Header=BB37_26 Depth=2
	s_mov_b64 s[38:39], 0
.LBB37_32:                              ;   in Loop: Header=BB37_26 Depth=2
	s_andn2_b64 vcc, exec, s[38:39]
	s_cbranch_vccnz .LBB37_34
; %bb.33:                               ;   in Loop: Header=BB37_26 Depth=2
	s_add_i32 s43, s36, 1
	s_mov_b32 s42, s40
	s_mov_b32 s37, s35
.LBB37_34:                              ;   in Loop: Header=BB37_26 Depth=2
	s_cmp_le_i32 s43, s52
	s_cselect_b64 s[38:39], -1, 0
	s_cmp_le_i32 s41, s34
	s_cselect_b64 s[40:41], -1, 0
	s_and_b64 s[38:39], s[38:39], s[40:41]
	s_and_b64 vcc, exec, s[38:39]
	s_cbranch_vccz .LBB37_36
; %bb.35:                               ;   in Loop: Header=BB37_26 Depth=2
	s_mov_b32 s35, s37
	s_mov_b32 s36, s43
	;; [unrolled: 1-line block ×3, first 2 shown]
	s_branch .LBB37_26
.LBB37_36:                              ;   in Loop: Header=BB37_10 Depth=1
	s_add_u32 s30, s10, s30
	s_addc_u32 s31, s11, s31
	s_waitcnt lgkmcnt(0)
.LBB37_37:                              ;   Parent Loop BB37_10 Depth=1
                                        ; =>  This Inner Loop Header: Depth=2
	global_load_dword v4, v2, s[30:31] sc1
	s_waitcnt vmcnt(0)
	v_cmp_eq_u32_e32 vcc, 0, v4
	s_cbranch_vccnz .LBB37_37
; %bb.38:                               ;   in Loop: Header=BB37_10 Depth=1
	s_cmp_lt_i32 s37, 2
	buffer_inv sc1
	s_cbranch_scc1 .LBB37_54
; %bb.39:                               ;   in Loop: Header=BB37_10 Depth=1
	s_add_i32 s38, s37, -2
	s_mov_b32 s39, 0
	s_branch .LBB37_41
.LBB37_40:                              ;   in Loop: Header=BB37_41 Depth=2
	s_or_b64 exec, exec, s[30:31]
	s_add_i32 s30, s39, 1
	s_cmp_eq_u32 s39, s38
	s_mov_b32 s39, s30
	s_cbranch_scc1 .LBB37_54
.LBB37_41:                              ;   Parent Loop BB37_10 Depth=1
                                        ; =>  This Loop Header: Depth=2
                                        ;       Child Loop BB37_43 Depth 3
                                        ;         Child Loop BB37_48 Depth 4
	s_and_saveexec_b64 s[30:31], s[0:1]
	s_cbranch_execz .LBB37_40
; %bb.42:                               ;   in Loop: Header=BB37_41 Depth=2
	s_lshl_b32 s34, s39, 2
	v_mov_b32_e32 v4, s34
	ds_read2st64_b32 v[4:5], v4 offset0:99 offset1:101
	s_mov_b64 s[34:35], 0
	v_mov_b32_e32 v30, v1
	s_waitcnt lgkmcnt(0)
	v_add_u32_e32 v26, v5, v18
	v_add_u32_e32 v27, v0, v5
	;; [unrolled: 1-line block ×4, first 2 shown]
.LBB37_43:                              ;   Parent Loop BB37_10 Depth=1
                                        ;     Parent Loop BB37_41 Depth=2
                                        ; =>    This Loop Header: Depth=3
                                        ;         Child Loop BB37_48 Depth 4
	v_mov_b64_e32 v[8:9], 0
	s_mov_b32 s40, 0
	v_mov_b32_e32 v4, v28
	v_mov_b32_e32 v6, v27
	s_mov_b64 s[36:37], -1
	s_and_b64 vcc, exec, s[24:25]
                                        ; implicit-def: $vgpr10_vgpr11
	s_cbranch_vccz .LBB37_48
	s_branch .LBB37_45
.LBB37_44:                              ;   in Loop: Header=BB37_48 Depth=4
	v_mov_b64_e32 v[8:9], v[10:11]
	s_mov_b64 s[36:37], -1
	s_and_b64 vcc, exec, s[24:25]
                                        ; implicit-def: $vgpr10_vgpr11
	s_cbranch_vccz .LBB37_48
.LBB37_45:                              ;   in Loop: Header=BB37_43 Depth=3
	v_ashrrev_i32_e32 v5, 31, v4
	v_lshl_add_u64 v[10:11], v[4:5], 3, s[20:21]
	global_load_dwordx2 v[10:11], v[10:11], off
	v_mov_b64_e32 v[12:13], 0
	s_and_saveexec_b64 s[36:37], s[2:3]
	s_cbranch_execz .LBB37_47
; %bb.46:                               ;   in Loop: Header=BB37_43 Depth=3
	v_ashrrev_i32_e32 v7, 31, v6
	v_lshl_add_u64 v[12:13], v[6:7], 3, s[20:21]
	global_load_dwordx2 v[12:13], v[12:13], off
.LBB37_47:                              ;   in Loop: Header=BB37_43 Depth=3
	s_or_b64 exec, exec, s[36:37]
	s_waitcnt vmcnt(0)
	v_fma_f64 v[10:11], v[10:11], v[12:13], v[8:9]
	s_mov_b64 s[36:37], 0
.LBB37_48:                              ;   Parent Loop BB37_10 Depth=1
                                        ;     Parent Loop BB37_41 Depth=2
                                        ;       Parent Loop BB37_43 Depth=3
                                        ; =>      This Inner Loop Header: Depth=4
	s_and_b64 vcc, exec, s[36:37]
	s_cbranch_vccz .LBB37_52
; %bb.49:                               ;   in Loop: Header=BB37_48 Depth=4
	v_add_u32_e32 v10, s40, v29
	v_ashrrev_i32_e32 v11, 31, v10
	v_lshl_add_u64 v[10:11], v[10:11], 3, s[20:21]
	global_load_dwordx2 v[10:11], v[10:11], off
	v_mov_b64_e32 v[12:13], 0
	s_and_saveexec_b64 s[36:37], s[2:3]
	s_cbranch_execz .LBB37_51
; %bb.50:                               ;   in Loop: Header=BB37_48 Depth=4
	v_add_u32_e32 v12, s40, v26
	v_ashrrev_i32_e32 v13, 31, v12
	v_lshl_add_u64 v[12:13], v[12:13], 3, s[20:21]
	global_load_dwordx2 v[12:13], v[12:13], off
.LBB37_51:                              ;   in Loop: Header=BB37_48 Depth=4
	s_or_b64 exec, exec, s[36:37]
	s_waitcnt vmcnt(0)
	v_fmac_f64_e32 v[8:9], v[10:11], v[12:13]
	v_mov_b64_e32 v[10:11], v[8:9]
.LBB37_52:                              ;   in Loop: Header=BB37_48 Depth=4
	s_add_i32 s40, s40, 1
	v_add_u32_e32 v6, s46, v6
	s_cmp_eq_u32 s46, s40
	v_add_u32_e32 v4, s46, v4
	s_cbranch_scc0 .LBB37_44
; %bb.53:                               ;   in Loop: Header=BB37_43 Depth=3
	v_lshl_add_u32 v6, v30, 3, v16
	ds_read_b64 v[4:5], v6
	v_add_u32_e32 v30, 2, v30
	v_cmp_le_i32_e32 vcc, s46, v30
	v_add_u32_e32 v28, 2, v28
	s_or_b64 s[34:35], vcc, s[34:35]
	s_waitcnt lgkmcnt(0)
	v_add_f64 v[4:5], v[10:11], v[4:5]
	v_add_u32_e32 v29, s50, v29
	ds_write_b64 v6, v[4:5]
	s_andn2_b64 exec, exec, s[34:35]
	s_cbranch_execnz .LBB37_43
	s_branch .LBB37_40
.LBB37_54:                              ;   in Loop: Header=BB37_10 Depth=1
	s_andn2_b64 vcc, exec, s[26:27]
	s_waitcnt lgkmcnt(0)
	s_cbranch_vccnz .LBB37_69
; %bb.55:                               ;   in Loop: Header=BB37_10 Depth=1
	s_mul_i32 s36, s49, s52
	s_mov_b32 s37, 0
	v_mov_b32_e32 v13, s51
	v_mov_b32_e32 v10, v23
	s_mov_b32 s38, s36
	s_branch .LBB37_57
.LBB37_56:                              ;   in Loop: Header=BB37_57 Depth=2
	s_or_b64 exec, exec, s[30:31]
	s_add_i32 s37, s37, 1
	s_add_i32 s38, s38, 1
	s_cmp_eq_u32 s37, s46
	v_add_u32_e32 v10, 8, v10
	s_waitcnt lgkmcnt(0)
	s_cbranch_scc1 .LBB37_69
.LBB37_57:                              ;   Parent Loop BB37_10 Depth=1
                                        ; =>  This Loop Header: Depth=2
                                        ;       Child Loop BB37_64 Depth 3
                                        ;       Child Loop BB37_68 Depth 3
	s_mul_i32 s39, s37, s46
	s_add_i32 s39, s39, s36
	s_add_i32 s30, s39, s37
	s_ashr_i32 s31, s30, 31
	s_lshl_b64 s[30:31], s[30:31], 3
	s_add_u32 s30, s20, s30
	s_addc_u32 s31, s21, s31
	global_load_dwordx2 v[4:5], v2, s[30:31]
	v_lshl_add_u32 v11, s37, 3, v17
	ds_read_b64 v[6:7], v11
	s_waitcnt vmcnt(0)
	v_cmp_neq_f64_e32 vcc, 0, v[4:5]
	s_nop 1
	v_cndmask_b32_e32 v5, v25, v5, vcc
	s_nor_b64 s[34:35], vcc, s[4:5]
	v_cndmask_b32_e32 v4, 0, v4, vcc
	s_and_saveexec_b64 s[30:31], s[34:35]
	s_cbranch_execz .LBB37_61
; %bb.58:                               ;   in Loop: Header=BB37_57 Depth=2
	v_mbcnt_lo_u32_b32 v4, exec_lo, 0
	v_mbcnt_hi_u32_b32 v4, exec_hi, v4
	v_cmp_eq_u32_e32 vcc, 0, v4
	s_and_saveexec_b64 s[34:35], vcc
	s_cbranch_execz .LBB37_60
; %bb.59:                               ;   in Loop: Header=BB37_57 Depth=2
	global_atomic_smin v2, v13, s[14:15]
.LBB37_60:                              ;   in Loop: Header=BB37_57 Depth=2
	s_or_b64 exec, exec, s[34:35]
	v_mov_b64_e32 v[4:5], 1.0
.LBB37_61:                              ;   in Loop: Header=BB37_57 Depth=2
	s_or_b64 exec, exec, s[30:31]
	v_lshl_add_u32 v8, s37, 3, v16
	ds_read_b64 v[8:9], v8
	s_cmp_eq_u32 s37, 0
	s_cbranch_scc1 .LBB37_66
; %bb.62:                               ;   in Loop: Header=BB37_57 Depth=2
	s_mov_b32 s34, 0
	s_mov_b32 s35, s37
	;; [unrolled: 1-line block ×3, first 2 shown]
	v_mov_b32_e32 v12, v17
	s_branch .LBB37_64
.LBB37_63:                              ;   in Loop: Header=BB37_64 Depth=3
	s_ashr_i32 s31, s30, 31
	s_lshl_b64 s[30:31], s[30:31], 3
	s_add_u32 s30, s20, s30
	s_addc_u32 s31, s21, s31
	global_load_dwordx2 v[26:27], v2, s[30:31]
	ds_read_b64 v[28:29], v12
	s_add_i32 s34, s34, 1
	s_add_i32 s40, s40, s46
	s_add_i32 s35, s35, -1
	s_cmp_eq_u32 s35, 0
	v_add_u32_e32 v12, 8, v12
	s_waitcnt vmcnt(0) lgkmcnt(0)
	v_fmac_f64_e32 v[8:9], v[26:27], v[28:29]
	s_cbranch_scc1 .LBB37_66
.LBB37_64:                              ;   Parent Loop BB37_10 Depth=1
                                        ;     Parent Loop BB37_57 Depth=2
                                        ; =>    This Inner Loop Header: Depth=3
	s_andn2_b64 vcc, exec, s[22:23]
	s_mov_b32 s30, s40
	s_cbranch_vccnz .LBB37_63
; %bb.65:                               ;   in Loop: Header=BB37_64 Depth=3
	s_add_i32 s30, s34, s39
	s_branch .LBB37_63
.LBB37_66:                              ;   in Loop: Header=BB37_57 Depth=2
	s_waitcnt lgkmcnt(0)
	v_add_f64 v[6:7], v[6:7], -v[8:9]
	v_div_scale_f64 v[8:9], s[30:31], v[4:5], v[4:5], v[6:7]
	v_rcp_f64_e32 v[26:27], v[8:9]
	v_div_scale_f64 v[28:29], vcc, v[6:7], v[4:5], v[6:7]
	v_fma_f64 v[30:31], -v[8:9], v[26:27], 1.0
	v_fmac_f64_e32 v[26:27], v[26:27], v[30:31]
	v_fma_f64 v[30:31], -v[8:9], v[26:27], 1.0
	v_fmac_f64_e32 v[26:27], v[26:27], v[30:31]
	v_mul_f64 v[30:31], v[28:29], v[26:27]
	v_fma_f64 v[8:9], -v[8:9], v[30:31], v[28:29]
	v_div_fmas_f64 v[8:9], v[8:9], v[26:27], v[30:31]
	v_div_fixup_f64 v[4:5], v[8:9], v[4:5], v[6:7]
	ds_write_b64 v11, v[4:5]
	s_waitcnt lgkmcnt(0)
	s_and_saveexec_b64 s[30:31], s[0:1]
	s_cbranch_execz .LBB37_56
; %bb.67:                               ;   in Loop: Header=BB37_57 Depth=2
	s_mov_b64 s[34:35], 0
	v_mov_b32_e32 v6, v10
	v_mov_b32_e32 v7, v22
	;; [unrolled: 1-line block ×3, first 2 shown]
.LBB37_68:                              ;   Parent Loop BB37_10 Depth=1
                                        ;     Parent Loop BB37_57 Depth=2
                                        ; =>    This Inner Loop Header: Depth=3
	ds_read_b64 v[26:27], v6
	ds_read_b64 v[28:29], v7
	v_add_u32_e32 v8, 2, v8
	v_cmp_le_i32_e32 vcc, s46, v8
	s_or_b64 s[34:35], vcc, s[34:35]
	v_add_u32_e32 v6, 0x210, v6
	s_waitcnt lgkmcnt(0)
	v_fmac_f64_e32 v[28:29], v[4:5], v[26:27]
	ds_write_b64 v7, v[28:29]
	v_add_u32_e32 v7, 16, v7
	s_andn2_b64 exec, exec, s[34:35]
	s_cbranch_execnz .LBB37_68
	s_branch .LBB37_56
.LBB37_69:                              ;   in Loop: Header=BB37_10 Depth=1
	s_and_saveexec_b64 s[30:31], s[0:1]
	s_cbranch_execz .LBB37_9
; %bb.70:                               ;   in Loop: Header=BB37_10 Depth=1
	s_mov_b64 s[34:35], 0
	v_mov_b32_e32 v8, v24
	v_mov_b32_e32 v9, v1
	s_branch .LBB37_73
.LBB37_71:                              ;   in Loop: Header=BB37_73 Depth=2
	v_ashrrev_i32_e32 v7, 31, v6
	v_lshl_add_u64 v[6:7], v[6:7], 3, s[20:21]
	s_waitcnt lgkmcnt(0)
	global_store_dwordx2 v[6:7], v[4:5], off
.LBB37_72:                              ;   in Loop: Header=BB37_73 Depth=2
	s_or_b64 exec, exec, s[36:37]
	v_add_u32_e32 v9, 2, v9
	v_cmp_le_i32_e32 vcc, s46, v9
	s_or_b64 s[34:35], vcc, s[34:35]
	v_add_u32_e32 v8, 16, v8
	s_andn2_b64 exec, exec, s[34:35]
	s_cbranch_execz .LBB37_9
.LBB37_73:                              ;   Parent Loop BB37_10 Depth=1
                                        ; =>  This Inner Loop Header: Depth=2
	s_and_saveexec_b64 s[36:37], s[2:3]
	s_cbranch_execz .LBB37_72
; %bb.74:                               ;   in Loop: Header=BB37_73 Depth=2
	ds_read_b64 v[4:5], v8
	s_mov_b64 s[38:39], -1
	s_and_b64 vcc, exec, s[24:25]
                                        ; implicit-def: $vgpr6
	s_cbranch_vccz .LBB37_76
; %bb.75:                               ;   in Loop: Header=BB37_73 Depth=2
	v_add_u32_e32 v6, s29, v9
	v_mad_u64_u32 v[6:7], s[38:39], v6, s46, v[0:1]
	s_mov_b64 s[38:39], 0
.LBB37_76:                              ;   in Loop: Header=BB37_73 Depth=2
	s_andn2_b64 vcc, exec, s[38:39]
	s_cbranch_vccnz .LBB37_71
; %bb.77:                               ;   in Loop: Header=BB37_73 Depth=2
	v_add_u32_e32 v6, v21, v9
	s_branch .LBB37_71
.LBB37_78:                              ;   in Loop: Header=BB37_10 Depth=1
                                        ; implicit-def: $sgpr28
                                        ; implicit-def: $vgpr21
	s_cbranch_execz .LBB37_10
.LBB37_79:
	v_cmp_gt_i32_e64 s[0:1], s46, v1
	s_and_saveexec_b64 s[4:5], s[0:1]
	s_cbranch_execz .LBB37_92
; %bb.80:
	s_mul_i32 s26, s33, s46
	v_add_u32_e32 v2, s26, v0
	s_cmp_lg_u32 s47, 0
	v_mul_lo_u32 v4, v2, s46
	v_mul_u32_u24_e32 v2, 0x108, v0
	s_movk_i32 s16, 0x2100
	s_cselect_b64 s[8:9], -1, 0
	v_cmp_gt_i32_e64 s[2:3], s46, v0
	v_add3_u32 v5, v2, v14, s16
	s_mov_b64 s[16:17], 0
	v_mov_b32_e32 v6, v1
	s_branch .LBB37_82
.LBB37_81:                              ;   in Loop: Header=BB37_82 Depth=1
	s_or_b64 exec, exec, s[22:23]
	v_add_u32_e32 v6, 2, v6
	v_cmp_le_i32_e32 vcc, s46, v6
	s_waitcnt vmcnt(0)
	ds_write_b64 v5, v[8:9]
	s_or_b64 s[16:17], vcc, s[16:17]
	v_add_u32_e32 v5, 16, v5
	s_andn2_b64 exec, exec, s[16:17]
	s_cbranch_execz .LBB37_92
.LBB37_82:                              ; =>This Inner Loop Header: Depth=1
	s_and_b64 vcc, exec, s[8:9]
	s_cbranch_vccz .LBB37_89
; %bb.83:                               ;   in Loop: Header=BB37_82 Depth=1
	s_mov_b64 s[22:23], 0
	s_mov_b64 s[18:19], 0
                                        ; implicit-def: $vgpr2
	s_and_saveexec_b64 s[24:25], s[2:3]
	s_xor_b64 s[24:25], exec, s[24:25]
; %bb.84:                               ;   in Loop: Header=BB37_82 Depth=1
	v_add_u32_e32 v2, s26, v6
	s_mov_b64 s[18:19], exec
	v_mad_u64_u32 v[2:3], s[28:29], v2, s46, v[0:1]
; %bb.85:                               ;   in Loop: Header=BB37_82 Depth=1
	s_or_b64 exec, exec, s[24:25]
	s_and_b64 vcc, exec, s[22:23]
	s_cbranch_vccz .LBB37_90
.LBB37_86:                              ;   in Loop: Header=BB37_82 Depth=1
                                        ; implicit-def: $vgpr2
	s_and_saveexec_b64 s[22:23], s[2:3]
; %bb.87:                               ;   in Loop: Header=BB37_82 Depth=1
	v_add_u32_e32 v2, v4, v6
	s_or_b64 s[18:19], s[18:19], exec
; %bb.88:                               ;   in Loop: Header=BB37_82 Depth=1
	s_or_b64 exec, exec, s[22:23]
	v_mov_b64_e32 v[8:9], 0
	s_and_saveexec_b64 s[22:23], s[18:19]
	s_cbranch_execz .LBB37_81
	s_branch .LBB37_91
.LBB37_89:                              ;   in Loop: Header=BB37_82 Depth=1
	s_mov_b64 s[18:19], 0
                                        ; implicit-def: $vgpr2
	s_cbranch_execnz .LBB37_86
.LBB37_90:                              ;   in Loop: Header=BB37_82 Depth=1
	v_mov_b64_e32 v[8:9], 0
	s_and_saveexec_b64 s[22:23], s[18:19]
	s_cbranch_execz .LBB37_81
.LBB37_91:                              ;   in Loop: Header=BB37_82 Depth=1
	v_ashrrev_i32_e32 v3, 31, v2
	v_lshl_add_u64 v[2:3], v[2:3], 3, s[20:21]
	global_load_dwordx2 v[8:9], v[2:3], off
	s_branch .LBB37_81
.LBB37_92:
	s_or_b64 exec, exec, s[4:5]
	s_cmp_lt_i32 s46, 1
	s_waitcnt lgkmcnt(0)
	s_cbranch_scc1 .LBB37_105
; %bb.93:
	v_or_b32_e32 v4, v1, v0
	s_movk_i32 s4, 0x108
	v_mov_b32_e32 v2, 0x2100
	v_mul_u32_u24_e32 v3, 0x108, v0
	v_cmp_ne_u32_e64 s[2:3], 0, v4
	s_movk_i32 s5, 0x4200
	v_mov_b32_e32 v4, 0x4200
	v_mad_u32_u24 v6, v0, s4, v2
	s_add_i32 s8, s12, s13
	v_mad_u32_u24 v7, v0, s4, v4
	v_add3_u32 v10, v3, v14, s5
	v_mad_u32_u24 v11, v1, s4, v2
	s_mov_b32 s4, 0
	s_mov_b32 s18, 0
	v_add_u32_e32 v8, v6, v15
	v_add_u32_e32 v9, v7, v15
	s_brev_b32 s5, 8
	v_mov_b32_e32 v12, 0x260
	v_mov_b32_e32 v13, 0x3ff00000
	;; [unrolled: 1-line block ×6, first 2 shown]
	s_branch .LBB37_95
.LBB37_94:                              ;   in Loop: Header=BB37_95 Depth=1
	s_or_b64 exec, exec, s[8:9]
	s_add_i32 s18, s18, 1
	s_cmp_eq_u32 s18, s46
	v_add_u32_e32 v11, 8, v11
	s_waitcnt lgkmcnt(0)
	s_cbranch_scc1 .LBB37_105
.LBB37_95:                              ; =>This Loop Header: Depth=1
                                        ;     Child Loop BB37_104 Depth 2
	v_cmp_eq_u32_e32 vcc, s18, v0
	s_and_saveexec_b64 s[8:9], vcc
	s_cbranch_execz .LBB37_97
; %bb.96:                               ;   in Loop: Header=BB37_95 Depth=1
	ds_read_b64 v[2:3], v8
	ds_read_b64 v[4:5], v9
	s_waitcnt lgkmcnt(0)
	v_add_f64 v[2:3], v[2:3], -v[4:5]
	v_xor_b32_e32 v4, 0x80000000, v3
	v_cmp_gt_f64_e32 vcc, 0, v[2:3]
	s_nop 1
	v_cndmask_b32_e32 v3, v3, v4, vcc
	v_cmp_gt_f64_e32 vcc, s[4:5], v[2:3]
	s_nop 1
	v_cndmask_b32_e32 v4, 0, v16, vcc
	v_ldexp_f64 v[2:3], v[2:3], v4
	v_rsq_f64_e32 v[4:5], v[2:3]
	v_cndmask_b32_e32 v18, 0, v17, vcc
	v_cmp_class_f64_e32 vcc, v[2:3], v12
	v_mul_f64 v[20:21], v[2:3], v[4:5]
	v_mul_f64 v[4:5], v[4:5], 0.5
	v_fma_f64 v[22:23], -v[4:5], v[20:21], 0.5
	v_fmac_f64_e32 v[20:21], v[20:21], v[22:23]
	v_fmac_f64_e32 v[4:5], v[4:5], v[22:23]
	v_fma_f64 v[22:23], -v[20:21], v[20:21], v[2:3]
	v_fmac_f64_e32 v[20:21], v[22:23], v[4:5]
	v_fma_f64 v[22:23], -v[20:21], v[20:21], v[2:3]
	v_fmac_f64_e32 v[20:21], v[22:23], v[4:5]
	v_ldexp_f64 v[4:5], v[20:21], v18
	v_cndmask_b32_e32 v3, v5, v3, vcc
	v_cndmask_b32_e32 v2, v4, v2, vcc
	ds_write_b64 v8, v[2:3]
.LBB37_97:                              ;   in Loop: Header=BB37_95 Depth=1
	s_or_b64 exec, exec, s[8:9]
	s_lshl_b32 s8, s18, 3
	s_mul_i32 s9, s18, 0x108
	s_add_i32 s9, s9, s8
	v_mov_b32_e32 v2, s9
	s_waitcnt lgkmcnt(0)
	ds_read_b64 v[2:3], v2 offset:8448
	v_add_u32_e32 v18, s8, v6
	ds_read_b64 v[4:5], v18
	s_waitcnt lgkmcnt(1)
	v_cmp_neq_f64_e32 vcc, 0, v[2:3]
	s_nop 1
	v_cndmask_b32_e32 v3, v13, v3, vcc
	s_nor_b64 s[16:17], vcc, s[2:3]
	v_cndmask_b32_e32 v2, 0, v2, vcc
	s_and_saveexec_b64 s[8:9], s[16:17]
	s_cbranch_execz .LBB37_101
; %bb.98:                               ;   in Loop: Header=BB37_95 Depth=1
	v_mbcnt_lo_u32_b32 v2, exec_lo, 0
	v_mbcnt_hi_u32_b32 v2, exec_hi, v2
	v_cmp_eq_u32_e32 vcc, 0, v2
	s_and_saveexec_b64 s[16:17], vcc
	s_cbranch_execz .LBB37_100
; %bb.99:                               ;   in Loop: Header=BB37_95 Depth=1
	global_atomic_smin v15, v19, s[14:15]
.LBB37_100:                             ;   in Loop: Header=BB37_95 Depth=1
	s_or_b64 exec, exec, s[16:17]
	v_mov_b64_e32 v[2:3], 1.0
.LBB37_101:                             ;   in Loop: Header=BB37_95 Depth=1
	s_or_b64 exec, exec, s[8:9]
	v_cmp_lt_u32_e32 vcc, s18, v0
	s_and_saveexec_b64 s[8:9], vcc
	s_cbranch_execz .LBB37_94
; %bb.102:                              ;   in Loop: Header=BB37_95 Depth=1
	v_lshl_add_u32 v20, s18, 3, v7
	ds_read_b64 v[20:21], v20
	s_waitcnt lgkmcnt(0)
	v_add_f64 v[4:5], v[4:5], -v[20:21]
	v_div_scale_f64 v[20:21], s[16:17], v[2:3], v[2:3], v[4:5]
	v_rcp_f64_e32 v[22:23], v[20:21]
	v_div_scale_f64 v[24:25], vcc, v[4:5], v[2:3], v[4:5]
	v_fma_f64 v[26:27], -v[20:21], v[22:23], 1.0
	v_fmac_f64_e32 v[22:23], v[22:23], v[26:27]
	v_fma_f64 v[26:27], -v[20:21], v[22:23], 1.0
	v_fmac_f64_e32 v[22:23], v[22:23], v[26:27]
	v_mul_f64 v[26:27], v[24:25], v[22:23]
	v_fma_f64 v[20:21], -v[20:21], v[26:27], v[24:25]
	v_div_fmas_f64 v[20:21], v[20:21], v[22:23], v[26:27]
	v_div_fixup_f64 v[2:3], v[20:21], v[2:3], v[4:5]
	ds_write_b64 v18, v[2:3]
	s_waitcnt lgkmcnt(0)
	s_and_b64 exec, exec, s[0:1]
	s_cbranch_execz .LBB37_94
; %bb.103:                              ;   in Loop: Header=BB37_95 Depth=1
	s_mov_b64 s[16:17], 0
	v_mov_b32_e32 v4, v11
	v_mov_b32_e32 v5, v10
	;; [unrolled: 1-line block ×3, first 2 shown]
.LBB37_104:                             ;   Parent Loop BB37_95 Depth=1
                                        ; =>  This Inner Loop Header: Depth=2
	ds_read_b64 v[20:21], v4
	ds_read_b64 v[22:23], v5
	v_add_u32_e32 v18, 2, v18
	v_cmp_le_i32_e32 vcc, s46, v18
	s_or_b64 s[16:17], vcc, s[16:17]
	v_add_u32_e32 v4, 0x210, v4
	s_waitcnt lgkmcnt(0)
	v_fmac_f64_e32 v[22:23], v[2:3], v[20:21]
	ds_write_b64 v5, v[22:23]
	v_add_u32_e32 v5, 16, v5
	s_andn2_b64 exec, exec, s[16:17]
	s_cbranch_execnz .LBB37_104
	s_branch .LBB37_94
.LBB37_105:
	s_and_saveexec_b64 s[2:3], s[0:1]
	s_cbranch_execz .LBB37_114
; %bb.106:
	s_mul_i32 s33, s33, s46
	v_add_u32_e32 v2, s33, v0
	s_cmp_lg_u32 s47, 0
	v_mul_lo_u32 v6, v2, s46
	v_mul_u32_u24_e32 v2, 0x108, v0
	s_movk_i32 s8, 0x2100
	v_cmp_gt_i32_e64 s[0:1], s46, v0
	s_cselect_b64 s[4:5], -1, 0
	v_add3_u32 v7, v2, v14, s8
	s_mov_b64 s[8:9], 0
	v_mov_b32_e32 v8, v1
	s_branch .LBB37_110
.LBB37_107:                             ;   in Loop: Header=BB37_110 Depth=1
	v_add_u32_e32 v4, v6, v8
.LBB37_108:                             ;   in Loop: Header=BB37_110 Depth=1
	v_ashrrev_i32_e32 v5, 31, v4
	v_lshl_add_u64 v[4:5], v[4:5], 3, s[20:21]
	s_waitcnt lgkmcnt(0)
	global_store_dwordx2 v[4:5], v[2:3], off
.LBB37_109:                             ;   in Loop: Header=BB37_110 Depth=1
	s_or_b64 exec, exec, s[16:17]
	v_add_u32_e32 v8, 2, v8
	v_cmp_le_i32_e32 vcc, s46, v8
	s_or_b64 s[8:9], vcc, s[8:9]
	v_add_u32_e32 v7, 16, v7
	s_andn2_b64 exec, exec, s[8:9]
	s_cbranch_execz .LBB37_114
.LBB37_110:                             ; =>This Inner Loop Header: Depth=1
	s_and_saveexec_b64 s[16:17], s[0:1]
	s_cbranch_execz .LBB37_109
; %bb.111:                              ;   in Loop: Header=BB37_110 Depth=1
	ds_read_b64 v[2:3], v7
	s_and_b64 vcc, exec, s[4:5]
	s_cbranch_vccz .LBB37_113
; %bb.112:                              ;   in Loop: Header=BB37_110 Depth=1
	v_add_u32_e32 v4, s33, v8
	v_mad_u64_u32 v[4:5], s[18:19], v4, s46, v[0:1]
	s_cbranch_execnz .LBB37_108
	s_branch .LBB37_107
.LBB37_113:                             ;   in Loop: Header=BB37_110 Depth=1
                                        ; implicit-def: $vgpr4
	s_branch .LBB37_107
.LBB37_114:
	s_or_b64 exec, exec, s[2:3]
	v_or_b32_e32 v2, v1, v0
	v_cmp_eq_u32_e32 vcc, 0, v2
	s_and_saveexec_b64 s[0:1], vcc
	s_cbranch_execz .LBB37_116
; %bb.115:
	s_add_u32 s2, s10, s6
	s_addc_u32 s3, s11, s7
	v_mov_b32_e32 v2, 0
	v_mov_b32_e32 v3, 1
	buffer_wbl2 sc1
	s_waitcnt vmcnt(0)
	global_store_dword v2, v3, s[2:3] sc1
.LBB37_116:
	s_or_b64 exec, exec, s[0:1]
.LBB37_117:
	s_endpgm
.LBB37_118:
	s_cbranch_execz .LBB37_117
; %bb.119:
	v_or_b32_e32 v0, v1, v0
	v_cmp_eq_u32_e32 vcc, 0, v0
	s_and_saveexec_b64 s[0:1], vcc
	s_cbranch_execz .LBB37_117
; %bb.120:
	v_mbcnt_lo_u32_b32 v0, exec_lo, 0
	v_mbcnt_hi_u32_b32 v0, exec_hi, v0
	v_cmp_eq_u32_e32 vcc, 0, v0
	s_and_saveexec_b64 s[0:1], vcc
	s_cbranch_execz .LBB37_122
; %bb.121:
	s_add_i32 s2, s12, s13
	v_mov_b32_e32 v0, 0
	v_mov_b32_e32 v1, s2
	global_atomic_smin v0, v1, s[14:15]
.LBB37_122:
	s_or_b64 exec, exec, s[0:1]
	s_add_u32 s0, s10, s6
	s_addc_u32 s1, s11, s7
	v_mov_b32_e32 v0, 0
	v_mov_b32_e32 v1, 1
	buffer_wbl2 sc1
	s_waitcnt vmcnt(0)
	global_store_dword v0, v1, s[0:1] sc1
	s_endpgm
	.section	.rodata,"a",@progbits
	.p2align	6, 0x0
	.amdhsa_kernel _ZN9rocsparseL19bsric0_17_32_kernelILi64ELi128ELi32EdEEv20rocsparse_direction_iiPKiS3_PT2_S3_PiS3_S6_21rocsparse_index_base_
		.amdhsa_group_segment_fixed_size 26880
		.amdhsa_private_segment_fixed_size 0
		.amdhsa_kernarg_size 76
		.amdhsa_user_sgpr_count 2
		.amdhsa_user_sgpr_dispatch_ptr 0
		.amdhsa_user_sgpr_queue_ptr 0
		.amdhsa_user_sgpr_kernarg_segment_ptr 1
		.amdhsa_user_sgpr_dispatch_id 0
		.amdhsa_user_sgpr_kernarg_preload_length 0
		.amdhsa_user_sgpr_kernarg_preload_offset 0
		.amdhsa_user_sgpr_private_segment_size 0
		.amdhsa_uses_dynamic_stack 0
		.amdhsa_enable_private_segment 0
		.amdhsa_system_sgpr_workgroup_id_x 1
		.amdhsa_system_sgpr_workgroup_id_y 0
		.amdhsa_system_sgpr_workgroup_id_z 0
		.amdhsa_system_sgpr_workgroup_info 0
		.amdhsa_system_vgpr_workitem_id 1
		.amdhsa_next_free_vgpr 169
		.amdhsa_next_free_sgpr 96
		.amdhsa_accum_offset 32
		.amdhsa_reserve_vcc 1
		.amdhsa_float_round_mode_32 0
		.amdhsa_float_round_mode_16_64 0
		.amdhsa_float_denorm_mode_32 3
		.amdhsa_float_denorm_mode_16_64 3
		.amdhsa_dx10_clamp 1
		.amdhsa_ieee_mode 1
		.amdhsa_fp16_overflow 0
		.amdhsa_tg_split 0
		.amdhsa_exception_fp_ieee_invalid_op 0
		.amdhsa_exception_fp_denorm_src 0
		.amdhsa_exception_fp_ieee_div_zero 0
		.amdhsa_exception_fp_ieee_overflow 0
		.amdhsa_exception_fp_ieee_underflow 0
		.amdhsa_exception_fp_ieee_inexact 0
		.amdhsa_exception_int_div_zero 0
	.end_amdhsa_kernel
	.section	.text._ZN9rocsparseL19bsric0_17_32_kernelILi64ELi128ELi32EdEEv20rocsparse_direction_iiPKiS3_PT2_S3_PiS3_S6_21rocsparse_index_base_,"axG",@progbits,_ZN9rocsparseL19bsric0_17_32_kernelILi64ELi128ELi32EdEEv20rocsparse_direction_iiPKiS3_PT2_S3_PiS3_S6_21rocsparse_index_base_,comdat
.Lfunc_end37:
	.size	_ZN9rocsparseL19bsric0_17_32_kernelILi64ELi128ELi32EdEEv20rocsparse_direction_iiPKiS3_PT2_S3_PiS3_S6_21rocsparse_index_base_, .Lfunc_end37-_ZN9rocsparseL19bsric0_17_32_kernelILi64ELi128ELi32EdEEv20rocsparse_direction_iiPKiS3_PT2_S3_PiS3_S6_21rocsparse_index_base_
                                        ; -- End function
	.set _ZN9rocsparseL19bsric0_17_32_kernelILi64ELi128ELi32EdEEv20rocsparse_direction_iiPKiS3_PT2_S3_PiS3_S6_21rocsparse_index_base_.num_vgpr, 32
	.set _ZN9rocsparseL19bsric0_17_32_kernelILi64ELi128ELi32EdEEv20rocsparse_direction_iiPKiS3_PT2_S3_PiS3_S6_21rocsparse_index_base_.num_agpr, 0
	.set _ZN9rocsparseL19bsric0_17_32_kernelILi64ELi128ELi32EdEEv20rocsparse_direction_iiPKiS3_PT2_S3_PiS3_S6_21rocsparse_index_base_.numbered_sgpr, 56
	.set _ZN9rocsparseL19bsric0_17_32_kernelILi64ELi128ELi32EdEEv20rocsparse_direction_iiPKiS3_PT2_S3_PiS3_S6_21rocsparse_index_base_.num_named_barrier, 0
	.set _ZN9rocsparseL19bsric0_17_32_kernelILi64ELi128ELi32EdEEv20rocsparse_direction_iiPKiS3_PT2_S3_PiS3_S6_21rocsparse_index_base_.private_seg_size, 0
	.set _ZN9rocsparseL19bsric0_17_32_kernelILi64ELi128ELi32EdEEv20rocsparse_direction_iiPKiS3_PT2_S3_PiS3_S6_21rocsparse_index_base_.uses_vcc, 1
	.set _ZN9rocsparseL19bsric0_17_32_kernelILi64ELi128ELi32EdEEv20rocsparse_direction_iiPKiS3_PT2_S3_PiS3_S6_21rocsparse_index_base_.uses_flat_scratch, 0
	.set _ZN9rocsparseL19bsric0_17_32_kernelILi64ELi128ELi32EdEEv20rocsparse_direction_iiPKiS3_PT2_S3_PiS3_S6_21rocsparse_index_base_.has_dyn_sized_stack, 0
	.set _ZN9rocsparseL19bsric0_17_32_kernelILi64ELi128ELi32EdEEv20rocsparse_direction_iiPKiS3_PT2_S3_PiS3_S6_21rocsparse_index_base_.has_recursion, 0
	.set _ZN9rocsparseL19bsric0_17_32_kernelILi64ELi128ELi32EdEEv20rocsparse_direction_iiPKiS3_PT2_S3_PiS3_S6_21rocsparse_index_base_.has_indirect_call, 0
	.section	.AMDGPU.csdata,"",@progbits
; Kernel info:
; codeLenInByte = 3544
; TotalNumSgprs: 62
; NumVgprs: 32
; NumAgprs: 0
; TotalNumVgprs: 32
; ScratchSize: 0
; MemoryBound: 0
; FloatMode: 240
; IeeeMode: 1
; LDSByteSize: 26880 bytes/workgroup (compile time only)
; SGPRBlocks: 12
; VGPRBlocks: 21
; NumSGPRsForWavesPerEU: 102
; NumVGPRsForWavesPerEU: 169
; AccumOffset: 32
; Occupancy: 2
; WaveLimiterHint : 1
; COMPUTE_PGM_RSRC2:SCRATCH_EN: 0
; COMPUTE_PGM_RSRC2:USER_SGPR: 2
; COMPUTE_PGM_RSRC2:TRAP_HANDLER: 0
; COMPUTE_PGM_RSRC2:TGID_X_EN: 1
; COMPUTE_PGM_RSRC2:TGID_Y_EN: 0
; COMPUTE_PGM_RSRC2:TGID_Z_EN: 0
; COMPUTE_PGM_RSRC2:TIDIG_COMP_CNT: 1
; COMPUTE_PGM_RSRC3_GFX90A:ACCUM_OFFSET: 7
; COMPUTE_PGM_RSRC3_GFX90A:TG_SPLIT: 0
	.section	.text._ZN9rocsparseL23bsric0_binsearch_kernelILj32ELj32ELb0E21rocsparse_complex_numIfEEEv20rocsparse_direction_iiPKiS5_PT2_S5_PiS5_S8_21rocsparse_index_base_,"axG",@progbits,_ZN9rocsparseL23bsric0_binsearch_kernelILj32ELj32ELb0E21rocsparse_complex_numIfEEEv20rocsparse_direction_iiPKiS5_PT2_S5_PiS5_S8_21rocsparse_index_base_,comdat
	.globl	_ZN9rocsparseL23bsric0_binsearch_kernelILj32ELj32ELb0E21rocsparse_complex_numIfEEEv20rocsparse_direction_iiPKiS5_PT2_S5_PiS5_S8_21rocsparse_index_base_ ; -- Begin function _ZN9rocsparseL23bsric0_binsearch_kernelILj32ELj32ELb0E21rocsparse_complex_numIfEEEv20rocsparse_direction_iiPKiS5_PT2_S5_PiS5_S8_21rocsparse_index_base_
	.p2align	8
	.type	_ZN9rocsparseL23bsric0_binsearch_kernelILj32ELj32ELb0E21rocsparse_complex_numIfEEEv20rocsparse_direction_iiPKiS5_PT2_S5_PiS5_S8_21rocsparse_index_base_,@function
_ZN9rocsparseL23bsric0_binsearch_kernelILj32ELj32ELb0E21rocsparse_complex_numIfEEEv20rocsparse_direction_iiPKiS5_PT2_S5_PiS5_S8_21rocsparse_index_base_: ; @_ZN9rocsparseL23bsric0_binsearch_kernelILj32ELj32ELb0E21rocsparse_complex_numIfEEEv20rocsparse_direction_iiPKiS5_PT2_S5_PiS5_S8_21rocsparse_index_base_
; %bb.0:
	s_load_dwordx8 s[16:23], s[0:1], 0x28
	s_ashr_i32 s3, s2, 31
	s_lshl_b64 s[2:3], s[2:3], 2
	v_mov_b32_e32 v1, 0
	s_load_dword s33, s[0:1], 0x48
	s_waitcnt lgkmcnt(0)
	s_add_u32 s2, s20, s2
	s_addc_u32 s3, s21, s3
	global_load_dword v2, v1, s[2:3]
	s_waitcnt vmcnt(0)
	v_ashrrev_i32_e32 v3, 31, v2
	v_lshlrev_b64 v[4:5], 2, v[2:3]
	v_lshl_add_u64 v[4:5], s[16:17], 0, v[4:5]
	global_load_dword v1, v[4:5], off
	s_waitcnt vmcnt(0)
	v_readfirstlane_b32 s2, v1
	s_cmp_lg_u32 s2, -1
	s_cselect_b64 s[2:3], -1, 0
	s_and_saveexec_b64 s[4:5], s[2:3]
	s_xor_b64 s[14:15], exec, s[4:5]
	s_cbranch_execz .LBB38_76
; %bb.1:
	s_load_dword s50, s[0:1], 0x8
	s_waitcnt lgkmcnt(0)
	v_cmp_gt_i32_e32 vcc, s50, v0
	s_and_saveexec_b64 s[20:21], vcc
	s_cbranch_execz .LBB38_73
; %bb.2:
	s_load_dwordx4 s[24:27], s[0:1], 0x10
	s_load_dword s4, s[0:1], 0x0
	s_load_dwordx2 s[28:29], s[0:1], 0x20
	s_mul_i32 s51, s50, s50
	v_cmp_ne_u32_e64 s[0:1], 0, v0
	s_waitcnt lgkmcnt(0)
	v_lshl_add_u64 v[4:5], v[2:3], 2, s[24:25]
	global_load_dwordx2 v[6:7], v[4:5], off
	s_cmp_eq_u32 s4, 0
	s_cselect_b64 s[2:3], -1, 0
	s_cmp_lg_u32 s4, 0
	v_add_u32_e32 v30, s33, v2
	s_mov_b64 s[30:31], 0
	v_mov_b32_e32 v4, 0
	s_mov_b32 s52, 0xf800000
	v_mov_b32_e32 v31, 0x260
	v_mul_lo_u32 v32, v1, s51
	s_cselect_b64 s[34:35], -1, 0
	s_waitcnt vmcnt(0)
	v_subrev_u32_e32 v33, s33, v6
	v_xad_u32 v34, s33, -1, v7
	v_add_u32_e32 v5, v34, v33
	v_ashrrev_i32_e32 v6, 1, v5
	v_mul_lo_u32 v35, s51, v33
	v_ashrrev_i32_e32 v7, 31, v6
	v_cmp_lt_i32_e64 s[4:5], v33, v1
	v_cmp_ge_i32_e64 s[6:7], v33, v1
	v_cmp_lt_i32_e64 s[8:9], v33, v34
	v_add_u32_e32 v36, v35, v0
	v_lshl_add_u64 v[8:9], v[6:7], 2, s[26:27]
	v_mov_b32_e32 v7, v0
	s_branch .LBB38_4
.LBB38_3:                               ;   in Loop: Header=BB38_4 Depth=1
	v_add_u32_e32 v7, 32, v7
	v_cmp_le_i32_e32 vcc, s50, v7
	s_or_b64 s[30:31], vcc, s[30:31]
	v_add_u32_e32 v36, 32, v36
	s_andn2_b64 exec, exec, s[30:31]
	s_cbranch_execz .LBB38_73
.LBB38_4:                               ; =>This Loop Header: Depth=1
                                        ;     Child Loop BB38_10 Depth 2
                                        ;       Child Loop BB38_13 Depth 3
                                        ;       Child Loop BB38_17 Depth 3
                                        ;         Child Loop BB38_19 Depth 4
                                        ;         Child Loop BB38_26 Depth 4
                                        ;           Child Loop BB38_28 Depth 5
                                        ;           Child Loop BB38_34 Depth 5
                                        ;     Child Loop BB38_41 Depth 2
                                        ;       Child Loop BB38_51 Depth 3
                                        ;       Child Loop BB38_59 Depth 3
                                        ;         Child Loop BB38_61 Depth 4
                                        ;       Child Loop BB38_69 Depth 3
	v_mul_lo_u32 v37, v7, s50
	s_and_saveexec_b64 s[10:11], s[6:7]
	s_xor_b64 s[10:11], exec, s[10:11]
; %bb.5:                                ;   in Loop: Header=BB38_4 Depth=1
	v_mul_lo_u32 v37, v7, s50
; %bb.6:                                ;   in Loop: Header=BB38_4 Depth=1
	s_or_saveexec_b64 s[36:37], s[10:11]
	v_mov_b32_e32 v5, v4
	v_mov_b64_e32 v[10:11], v[4:5]
	s_xor_b64 exec, exec, s[36:37]
	s_cbranch_execz .LBB38_38
; %bb.7:                                ;   in Loop: Header=BB38_4 Depth=1
	v_mov_b32_e32 v5, v4
	s_mov_b64 s[38:39], 0
	v_mov_b32_e32 v12, v33
	v_mov_b64_e32 v[10:11], v[4:5]
                                        ; implicit-def: $sgpr40_sgpr41
	s_branch .LBB38_10
.LBB38_8:                               ;   in Loop: Header=BB38_10 Depth=2
	v_add_u32_e32 v12, 1, v12
	v_cmp_ge_i32_e32 vcc, v12, v1
	s_andn2_b64 s[10:11], s[40:41], exec
	s_and_b64 s[12:13], vcc, exec
	s_or_b64 s[40:41], s[10:11], s[12:13]
.LBB38_9:                               ;   in Loop: Header=BB38_10 Depth=2
	s_or_b64 exec, exec, s[42:43]
	s_and_b64 s[10:11], exec, s[40:41]
	s_or_b64 s[38:39], s[10:11], s[38:39]
	s_andn2_b64 exec, exec, s[38:39]
	s_cbranch_execz .LBB38_37
.LBB38_10:                              ;   Parent Loop BB38_4 Depth=1
                                        ; =>  This Loop Header: Depth=2
                                        ;       Child Loop BB38_13 Depth 3
                                        ;       Child Loop BB38_17 Depth 3
                                        ;         Child Loop BB38_19 Depth 4
                                        ;         Child Loop BB38_26 Depth 4
                                        ;           Child Loop BB38_28 Depth 5
                                        ;           Child Loop BB38_34 Depth 5
	v_ashrrev_i32_e32 v13, 31, v12
	v_lshl_add_u64 v[14:15], v[12:13], 2, s[26:27]
	global_load_dword v13, v[14:15], off
	s_or_b64 s[40:41], s[40:41], exec
	s_waitcnt vmcnt(0)
	v_subrev_u32_e32 v14, s33, v13
	v_ashrrev_i32_e32 v15, 31, v14
	v_lshl_add_u64 v[16:17], v[14:15], 2, s[16:17]
	global_load_dword v38, v[16:17], off
	s_waitcnt vmcnt(0)
	v_cmp_ne_u32_e32 vcc, -1, v38
	s_and_saveexec_b64 s[42:43], vcc
	s_cbranch_execz .LBB38_9
; %bb.11:                               ;   in Loop: Header=BB38_10 Depth=2
	v_lshlrev_b64 v[16:17], 2, v[14:15]
	v_lshl_add_u64 v[18:19], s[24:25], 0, v[16:17]
	v_lshl_add_u64 v[16:17], s[18:19], 0, v[16:17]
	global_load_dword v5, v[18:19], off
	global_load_dword v15, v[16:17], off sc1
	s_waitcnt vmcnt(0)
	v_cmp_eq_u32_e32 vcc, 0, v15
	s_and_saveexec_b64 s[10:11], vcc
	s_cbranch_execz .LBB38_14
; %bb.12:                               ;   in Loop: Header=BB38_10 Depth=2
	s_mov_b64 s[12:13], 0
.LBB38_13:                              ;   Parent Loop BB38_4 Depth=1
                                        ;     Parent Loop BB38_10 Depth=2
                                        ; =>    This Inner Loop Header: Depth=3
	global_load_dword v15, v[16:17], off sc1
	s_waitcnt vmcnt(0)
	v_cmp_ne_u32_e32 vcc, 0, v15
	s_or_b64 s[12:13], vcc, s[12:13]
	s_andn2_b64 exec, exec, s[12:13]
	s_cbranch_execnz .LBB38_13
.LBB38_14:                              ;   in Loop: Header=BB38_10 Depth=2
	s_or_b64 exec, exec, s[10:11]
	v_subrev_u32_e32 v15, s33, v5
	v_mul_lo_u32 v5, v12, s51
	v_mul_lo_u32 v17, v14, s50
	v_mul_lo_u32 v39, v38, s51
	v_add_u32_e32 v40, v5, v7
	v_add_u32_e32 v41, v5, v37
	v_cmp_le_i32_e64 s[10:11], v15, v38
	v_mul_lo_u32 v42, s51, v15
	s_mov_b32 s53, 0
	buffer_inv sc1
	s_branch .LBB38_17
.LBB38_15:                              ;   in Loop: Header=BB38_17 Depth=3
	s_or_b64 exec, exec, s[44:45]
.LBB38_16:                              ;   in Loop: Header=BB38_17 Depth=3
	s_or_b64 exec, exec, s[12:13]
	v_mul_f32_e32 v5, v16, v16
	v_fmac_f32_e32 v5, v14, v14
	v_div_scale_f32 v24, s[12:13], v5, v5, 1.0
	v_rcp_f32_e32 v25, v24
	s_waitcnt vmcnt(0)
	v_pk_add_f32 v[20:21], v[20:21], v[22:23] neg_lo:[0,1] neg_hi:[0,1]
	s_add_i32 s53, s53, 1
	s_cmp_eq_u32 s53, s50
	v_fma_f32 v22, -v24, v25, 1.0
	v_fmac_f32_e32 v25, v22, v25
	v_div_scale_f32 v22, vcc, 1.0, v5, 1.0
	v_mul_f32_e32 v23, v22, v25
	v_fma_f32 v26, -v24, v23, v22
	v_fmac_f32_e32 v23, v26, v25
	v_fma_f32 v22, -v24, v23, v22
	v_div_fmas_f32 v22, v22, v25, v23
	v_xor_b32_e32 v25, 0x80000000, v20
	v_mov_b32_e32 v24, v21
	v_pk_mul_f32 v[24:25], v[16:17], v[24:25] op_sel_hi:[0,1]
	v_div_fixup_f32 v22, v22, v5, 1.0
	v_pk_fma_f32 v[20:21], v[20:21], v[14:15], v[24:25] op_sel_hi:[1,0,1]
	v_add_u32_e32 v42, 1, v42
	v_pk_mul_f32 v[20:21], v[22:23], v[20:21] op_sel_hi:[0,1]
	v_xor_b32_e32 v22, 0x80000000, v21
	v_pk_fma_f32 v[10:11], v[20:21], v[20:21], v[10:11] op_sel:[1,0,0] op_sel_hi:[0,0,1]
	v_mov_b32_e32 v23, v21
	v_pk_fma_f32 v[10:11], v[20:21], v[22:23], v[10:11]
	global_store_dwordx2 v[18:19], v[20:21], off
	s_cbranch_scc1 .LBB38_8
.LBB38_17:                              ;   Parent Loop BB38_4 Depth=1
                                        ;     Parent Loop BB38_10 Depth=2
                                        ; =>    This Loop Header: Depth=3
                                        ;         Child Loop BB38_19 Depth 4
                                        ;         Child Loop BB38_26 Depth 4
                                        ;           Child Loop BB38_28 Depth 5
                                        ;           Child Loop BB38_34 Depth 5
	s_mul_i32 s54, s53, s50
	s_add_i32 s12, s54, s53
	v_add_u32_e32 v18, s12, v39
	v_ashrrev_i32_e32 v19, 31, v18
	v_lshl_add_u64 v[18:19], v[18:19], 3, s[28:29]
	global_load_dwordx2 v[18:19], v[18:19], off
	s_waitcnt vmcnt(0)
	v_cmp_neq_f32_e32 vcc, 0, v18
	v_cmp_neq_f32_e64 s[12:13], 0, v19
	s_or_b64 vcc, vcc, s[12:13]
	v_cndmask_b32_e32 v14, 1.0, v18, vcc
	s_nor_b64 s[44:45], vcc, s[0:1]
	v_cndmask_b32_e32 v16, 0, v19, vcc
	s_and_saveexec_b64 s[12:13], s[44:45]
	s_cbranch_execz .LBB38_23
; %bb.18:                               ;   in Loop: Header=BB38_17 Depth=3
	s_mov_b64 s[44:45], exec
	s_brev_b32 s46, -2
.LBB38_19:                              ;   Parent Loop BB38_4 Depth=1
                                        ;     Parent Loop BB38_10 Depth=2
                                        ;       Parent Loop BB38_17 Depth=3
                                        ; =>      This Inner Loop Header: Depth=4
	s_ff1_i32_b64 s47, s[44:45]
	v_readlane_b32 s55, v13, s47
	s_lshl_b64 s[48:49], 1, s47
	s_min_i32 s46, s46, s55
	s_andn2_b64 s[44:45], s[44:45], s[48:49]
	s_cmp_lg_u64 s[44:45], 0
	s_cbranch_scc1 .LBB38_19
; %bb.20:                               ;   in Loop: Header=BB38_17 Depth=3
	v_mbcnt_lo_u32_b32 v5, exec_lo, 0
	v_mbcnt_hi_u32_b32 v5, exec_hi, v5
	v_cmp_eq_u32_e32 vcc, 0, v5
	s_and_saveexec_b64 s[44:45], vcc
	s_xor_b64 s[44:45], exec, s[44:45]
	s_cbranch_execz .LBB38_22
; %bb.21:                               ;   in Loop: Header=BB38_17 Depth=3
	v_mov_b32_e32 v5, s46
	global_atomic_smin v4, v5, s[22:23]
.LBB38_22:                              ;   in Loop: Header=BB38_17 Depth=3
	s_or_b64 exec, exec, s[44:45]
	v_mov_b32_e32 v14, 1.0
	v_mov_b32_e32 v16, 0
.LBB38_23:                              ;   in Loop: Header=BB38_17 Depth=3
	s_or_b64 exec, exec, s[12:13]
	v_add_u32_e32 v5, s53, v41
	v_add_u32_e32 v18, s54, v40
	v_cndmask_b32_e64 v18, v18, v5, s[2:3]
	v_ashrrev_i32_e32 v19, 31, v18
	v_lshl_add_u64 v[18:19], v[18:19], 3, s[28:29]
	global_load_dwordx2 v[20:21], v[18:19], off
	v_mov_b32_e32 v5, v4
	v_mov_b64_e32 v[22:23], v[4:5]
	s_and_saveexec_b64 s[12:13], s[10:11]
	s_cbranch_execz .LBB38_16
; %bb.24:                               ;   in Loop: Header=BB38_17 Depth=3
	global_load_dword v43, v[8:9], off
	v_mov_b32_e32 v5, v4
	v_add_u32_e32 v44, s53, v17
	s_mov_b64 s[44:45], 0
	v_mov_b32_e32 v45, v42
	v_mov_b32_e32 v24, v15
	v_mov_b64_e32 v[22:23], v[4:5]
	s_branch .LBB38_26
.LBB38_25:                              ;   in Loop: Header=BB38_26 Depth=4
	s_or_b64 exec, exec, s[46:47]
	v_add_u32_e32 v5, 1, v24
	v_cmp_ge_i32_e32 vcc, v24, v38
	v_add_u32_e32 v45, s51, v45
	s_or_b64 s[44:45], vcc, s[44:45]
	v_mov_b32_e32 v24, v5
	s_andn2_b64 exec, exec, s[44:45]
	s_cbranch_execz .LBB38_15
.LBB38_26:                              ;   Parent Loop BB38_4 Depth=1
                                        ;     Parent Loop BB38_10 Depth=2
                                        ;       Parent Loop BB38_17 Depth=3
                                        ; =>      This Loop Header: Depth=4
                                        ;           Child Loop BB38_28 Depth 5
                                        ;           Child Loop BB38_34 Depth 5
	v_ashrrev_i32_e32 v25, 31, v24
	v_lshl_add_u64 v[26:27], v[24:25], 2, s[26:27]
	global_load_dword v5, v[26:27], off
	s_waitcnt vmcnt(1)
	v_mov_b32_e32 v25, v43
	v_mov_b32_e32 v26, v6
	s_and_saveexec_b64 s[46:47], s[8:9]
	s_cbranch_execz .LBB38_30
; %bb.27:                               ;   in Loop: Header=BB38_26 Depth=4
	s_mov_b64 s[48:49], 0
	v_mov_b32_e32 v25, v43
	v_mov_b32_e32 v26, v6
	;; [unrolled: 1-line block ×4, first 2 shown]
.LBB38_28:                              ;   Parent Loop BB38_4 Depth=1
                                        ;     Parent Loop BB38_10 Depth=2
                                        ;       Parent Loop BB38_17 Depth=3
                                        ;         Parent Loop BB38_26 Depth=4
                                        ; =>        This Inner Loop Header: Depth=5
	v_add_u32_e32 v27, 1, v26
	s_waitcnt vmcnt(0)
	v_cmp_lt_i32_e32 vcc, v25, v5
	s_nop 1
	v_cndmask_b32_e32 v29, v26, v29, vcc
	v_cndmask_b32_e32 v28, v28, v27, vcc
	v_add_u32_e32 v25, v29, v28
	v_ashrrev_i32_e32 v26, 1, v25
	v_ashrrev_i32_e32 v27, 31, v26
	v_lshl_add_u64 v[46:47], v[26:27], 2, s[26:27]
	global_load_dword v25, v[46:47], off
	v_cmp_ge_i32_e32 vcc, v28, v29
	s_or_b64 s[48:49], vcc, s[48:49]
	s_andn2_b64 exec, exec, s[48:49]
	s_cbranch_execnz .LBB38_28
; %bb.29:                               ;   in Loop: Header=BB38_26 Depth=4
	s_or_b64 exec, exec, s[48:49]
.LBB38_30:                              ;   in Loop: Header=BB38_26 Depth=4
	s_or_b64 exec, exec, s[46:47]
	s_waitcnt vmcnt(0)
	v_cmp_eq_u32_e32 vcc, v25, v5
	s_and_saveexec_b64 s[46:47], vcc
	s_cbranch_execz .LBB38_25
; %bb.31:                               ;   in Loop: Header=BB38_26 Depth=4
	v_subrev_u32_e32 v5, s33, v5
	v_mul_lo_u32 v25, v24, s51
	v_mul_lo_u32 v26, v26, s51
	v_mul_lo_u32 v5, v5, s50
	v_add_u32_e32 v25, s54, v25
	v_add_u32_e32 v46, v26, v37
	;; [unrolled: 1-line block ×3, first 2 shown]
	s_mov_b32 s55, 0
	v_mov_b32_e32 v48, v45
	s_branch .LBB38_34
.LBB38_32:                              ;   in Loop: Header=BB38_34 Depth=5
	v_ashrrev_i32_e32 v29, 31, v28
	v_ashrrev_i32_e32 v27, 31, v26
	v_lshl_add_u64 v[28:29], v[28:29], 3, s[28:29]
	v_lshl_add_u64 v[26:27], v[26:27], 3, s[28:29]
	global_load_dwordx2 v[26:27], v[26:27], off
	s_nop 0
	global_load_dwordx2 v[28:29], v[28:29], off
	s_waitcnt vmcnt(0)
	v_pk_fma_f32 v[22:23], v[28:29], v[26:27], v[22:23] op_sel_hi:[1,0,1]
	s_nop 0
	v_pk_fma_f32 v[22:23], v[28:29], v[26:27], v[22:23] op_sel:[1,1,0] op_sel_hi:[0,1,1] neg_hi:[0,1,0]
.LBB38_33:                              ;   in Loop: Header=BB38_34 Depth=5
	s_or_b64 exec, exec, s[48:49]
	s_add_i32 s55, s55, 1
	v_add_u32_e32 v47, s50, v47
	s_cmp_lg_u32 s50, s55
	v_add_u32_e32 v48, s50, v48
	s_cbranch_scc0 .LBB38_25
.LBB38_34:                              ;   Parent Loop BB38_4 Depth=1
                                        ;     Parent Loop BB38_10 Depth=2
                                        ;       Parent Loop BB38_17 Depth=3
                                        ;         Parent Loop BB38_26 Depth=4
                                        ; =>        This Inner Loop Header: Depth=5
	v_add_u32_e32 v26, s55, v5
	v_cmp_lt_i32_e32 vcc, v26, v44
	s_and_saveexec_b64 s[48:49], vcc
	s_cbranch_execz .LBB38_33
; %bb.35:                               ;   in Loop: Header=BB38_34 Depth=5
	s_andn2_b64 vcc, exec, s[2:3]
	v_mov_b32_e32 v28, v48
	v_mov_b32_e32 v26, v47
	s_cbranch_vccnz .LBB38_32
; %bb.36:                               ;   in Loop: Header=BB38_34 Depth=5
	v_add_u32_e32 v28, s55, v25
	v_add_u32_e32 v26, s55, v46
	s_branch .LBB38_32
.LBB38_37:                              ;   in Loop: Header=BB38_4 Depth=1
	s_or_b64 exec, exec, s[38:39]
.LBB38_38:                              ;   in Loop: Header=BB38_4 Depth=1
	s_or_b64 exec, exec, s[36:37]
	v_add_u32_e32 v15, v37, v32
	s_mov_b32 s40, 0
	v_mov_b32_e32 v26, v35
	s_branch .LBB38_41
.LBB38_39:                              ;   in Loop: Header=BB38_41 Depth=2
	v_mul_f32_e32 v5, v12, v12
	v_fmac_f32_e32 v5, v14, v14
	v_div_scale_f32 v13, s[12:13], v5, v5, 1.0
	v_rcp_f32_e32 v22, v13
	s_waitcnt vmcnt(0)
	v_pk_add_f32 v[18:19], v[18:19], v[20:21] neg_lo:[0,1] neg_hi:[0,1]
	v_fma_f32 v20, -v13, v22, 1.0
	v_fmac_f32_e32 v22, v20, v22
	v_div_scale_f32 v20, vcc, 1.0, v5, 1.0
	v_mul_f32_e32 v21, v20, v22
	v_fma_f32 v23, -v13, v21, v20
	v_fmac_f32_e32 v21, v23, v22
	v_fma_f32 v13, -v13, v21, v20
	v_div_fmas_f32 v13, v13, v22, v21
	v_xor_b32_e32 v23, 0x80000000, v18
	v_mov_b32_e32 v22, v19
	v_div_fixup_f32 v20, v13, v5, 1.0
	v_pk_mul_f32 v[12:13], v[12:13], v[22:23] op_sel_hi:[0,1]
	v_pk_fma_f32 v[12:13], v[18:19], v[14:15], v[12:13] op_sel_hi:[1,0,1]
	s_nop 0
	v_pk_mul_f32 v[12:13], v[20:21], v[12:13] op_sel_hi:[0,1]
	v_xor_b32_e32 v18, 0x80000000, v13
	v_pk_fma_f32 v[10:11], v[12:13], v[12:13], v[10:11] op_sel:[1,0,0] op_sel_hi:[0,0,1]
	v_mov_b32_e32 v19, v13
	v_pk_fma_f32 v[10:11], v[12:13], v[18:19], v[10:11]
	global_store_dwordx2 v[16:17], v[12:13], off
.LBB38_40:                              ;   in Loop: Header=BB38_41 Depth=2
	s_or_b64 exec, exec, s[10:11]
	s_add_i32 s40, s40, 1
	s_cmp_eq_u32 s40, s50
	v_add_u32_e32 v26, 1, v26
	buffer_wbl2 sc1
	s_waitcnt vmcnt(0)
	buffer_inv sc1
	s_cbranch_scc1 .LBB38_3
.LBB38_41:                              ;   Parent Loop BB38_4 Depth=1
                                        ; =>  This Loop Header: Depth=2
                                        ;       Child Loop BB38_51 Depth 3
                                        ;       Child Loop BB38_59 Depth 3
                                        ;         Child Loop BB38_61 Depth 4
                                        ;       Child Loop BB38_69 Depth 3
	s_mul_i32 s41, s40, s50
	v_add_u32_e32 v27, s41, v32
	v_add_u32_e32 v12, s40, v27
	v_ashrrev_i32_e32 v13, 31, v12
	v_cmp_eq_u32_e32 vcc, s40, v7
	v_lshl_add_u64 v[12:13], v[12:13], 3, s[28:29]
	s_and_saveexec_b64 s[12:13], vcc
	s_cbranch_execz .LBB38_49
; %bb.42:                               ;   in Loop: Header=BB38_41 Depth=2
	global_load_dwordx2 v[16:17], v[12:13], off
	s_waitcnt vmcnt(0)
	v_sub_f32_e32 v5, v16, v11
	v_sub_f32_e32 v17, v17, v10
	v_cmp_gt_f32_e32 vcc, 0, v5
                                        ; implicit-def: $vgpr16
	s_nop 1
	v_cndmask_b32_e64 v5, v5, -v5, vcc
	v_cmp_gt_f32_e32 vcc, 0, v17
	s_nop 1
	v_cndmask_b32_e64 v14, v17, -v17, vcc
	v_cmp_ngt_f32_e32 vcc, v5, v14
	s_and_saveexec_b64 s[10:11], vcc
	s_xor_b64 s[36:37], exec, s[10:11]
	s_cbranch_execz .LBB38_46
; %bb.43:                               ;   in Loop: Header=BB38_41 Depth=2
	v_mov_b32_e32 v16, 0
	v_cmp_neq_f32_e32 vcc, 0, v17
	s_and_saveexec_b64 s[38:39], vcc
	s_cbranch_execz .LBB38_45
; %bb.44:                               ;   in Loop: Header=BB38_41 Depth=2
	v_div_scale_f32 v16, s[10:11], v14, v14, v5
	v_rcp_f32_e32 v17, v16
	v_div_scale_f32 v18, vcc, v5, v14, v5
	v_fma_f32 v19, -v16, v17, 1.0
	v_fmac_f32_e32 v17, v19, v17
	v_mul_f32_e32 v19, v18, v17
	v_fma_f32 v20, -v16, v19, v18
	v_fmac_f32_e32 v19, v20, v17
	v_fma_f32 v16, -v16, v19, v18
	v_div_fmas_f32 v16, v16, v17, v19
	v_div_fixup_f32 v5, v16, v14, v5
	v_fma_f32 v5, v5, v5, 1.0
	v_mul_f32_e32 v16, 0x4f800000, v5
	v_cmp_gt_f32_e32 vcc, s52, v5
	s_nop 1
	v_cndmask_b32_e32 v5, v5, v16, vcc
	v_sqrt_f32_e32 v16, v5
	s_nop 0
	v_add_u32_e32 v17, -1, v16
	v_fma_f32 v18, -v17, v16, v5
	v_cmp_ge_f32_e64 s[10:11], 0, v18
	v_add_u32_e32 v18, 1, v16
	s_nop 0
	v_cndmask_b32_e64 v17, v16, v17, s[10:11]
	v_fma_f32 v16, -v18, v16, v5
	v_cmp_lt_f32_e64 s[10:11], 0, v16
	s_nop 1
	v_cndmask_b32_e64 v16, v17, v18, s[10:11]
	v_mul_f32_e32 v17, 0x37800000, v16
	v_cndmask_b32_e32 v16, v16, v17, vcc
	v_cmp_class_f32_e32 vcc, v5, v31
	s_nop 1
	v_cndmask_b32_e32 v5, v16, v5, vcc
	v_mul_f32_e32 v16, v14, v5
.LBB38_45:                              ;   in Loop: Header=BB38_41 Depth=2
	s_or_b64 exec, exec, s[38:39]
                                        ; implicit-def: $vgpr5
                                        ; implicit-def: $vgpr14
.LBB38_46:                              ;   in Loop: Header=BB38_41 Depth=2
	s_andn2_saveexec_b64 s[36:37], s[36:37]
	s_cbranch_execz .LBB38_48
; %bb.47:                               ;   in Loop: Header=BB38_41 Depth=2
	v_div_scale_f32 v16, s[10:11], v5, v5, v14
	v_rcp_f32_e32 v17, v16
	v_div_scale_f32 v18, vcc, v14, v5, v14
	v_fma_f32 v19, -v16, v17, 1.0
	v_fmac_f32_e32 v17, v19, v17
	v_mul_f32_e32 v19, v18, v17
	v_fma_f32 v20, -v16, v19, v18
	v_fmac_f32_e32 v19, v20, v17
	v_fma_f32 v16, -v16, v19, v18
	v_div_fmas_f32 v16, v16, v17, v19
	v_div_fixup_f32 v14, v16, v5, v14
	v_fma_f32 v14, v14, v14, 1.0
	v_mul_f32_e32 v16, 0x4f800000, v14
	v_cmp_gt_f32_e32 vcc, s52, v14
	s_nop 1
	v_cndmask_b32_e32 v14, v14, v16, vcc
	v_sqrt_f32_e32 v16, v14
	s_nop 0
	v_add_u32_e32 v17, -1, v16
	v_fma_f32 v18, -v17, v16, v14
	v_cmp_ge_f32_e64 s[10:11], 0, v18
	v_add_u32_e32 v18, 1, v16
	s_nop 0
	v_cndmask_b32_e64 v17, v16, v17, s[10:11]
	v_fma_f32 v16, -v18, v16, v14
	v_cmp_lt_f32_e64 s[10:11], 0, v16
	s_nop 1
	v_cndmask_b32_e64 v16, v17, v18, s[10:11]
	v_mul_f32_e32 v17, 0x37800000, v16
	v_cndmask_b32_e32 v16, v16, v17, vcc
	v_cmp_class_f32_e32 vcc, v14, v31
	s_nop 1
	v_cndmask_b32_e32 v14, v16, v14, vcc
	v_mul_f32_e32 v16, v5, v14
.LBB38_48:                              ;   in Loop: Header=BB38_41 Depth=2
	s_or_b64 exec, exec, s[36:37]
	v_mul_f32_e32 v5, 0x4f800000, v16
	v_cmp_gt_f32_e32 vcc, s52, v16
	s_nop 1
	v_cndmask_b32_e32 v5, v16, v5, vcc
	v_sqrt_f32_e32 v14, v5
	s_nop 0
	v_add_u32_e32 v16, -1, v14
	v_fma_f32 v18, -v16, v14, v5
	v_add_u32_e32 v17, 1, v14
	v_cmp_ge_f32_e64 s[10:11], 0, v18
	s_nop 1
	v_cndmask_b32_e64 v16, v14, v16, s[10:11]
	v_fma_f32 v14, -v17, v14, v5
	v_cmp_lt_f32_e64 s[10:11], 0, v14
	s_nop 1
	v_cndmask_b32_e64 v14, v16, v17, s[10:11]
	v_mul_f32_e32 v16, 0x37800000, v14
	v_cndmask_b32_e32 v14, v14, v16, vcc
	v_cmp_class_f32_e32 vcc, v5, v31
	v_mov_b32_e32 v17, v4
	s_nop 0
	v_cndmask_b32_e32 v16, v14, v5, vcc
	global_store_dwordx2 v[12:13], v[16:17], off
.LBB38_49:                              ;   in Loop: Header=BB38_41 Depth=2
	s_or_b64 exec, exec, s[12:13]
	buffer_wbl2 sc1
	s_waitcnt vmcnt(0)
	buffer_inv sc1
	global_load_dwordx2 v[16:17], v[12:13], off
	s_waitcnt vmcnt(0)
	v_cmp_neq_f32_e32 vcc, 0, v16
	v_cmp_neq_f32_e64 s[10:11], 0, v17
	s_or_b64 vcc, vcc, s[10:11]
	v_cndmask_b32_e32 v12, 0, v17, vcc
	s_nor_b64 s[12:13], vcc, s[0:1]
	v_cndmask_b32_e32 v14, 1.0, v16, vcc
	s_and_saveexec_b64 s[10:11], s[12:13]
	s_cbranch_execz .LBB38_55
; %bb.50:                               ;   in Loop: Header=BB38_41 Depth=2
	s_mov_b64 s[12:13], exec
	s_brev_b32 s36, -2
.LBB38_51:                              ;   Parent Loop BB38_4 Depth=1
                                        ;     Parent Loop BB38_41 Depth=2
                                        ; =>    This Inner Loop Header: Depth=3
	s_ff1_i32_b64 s37, s[12:13]
	v_readlane_b32 s42, v30, s37
	s_lshl_b64 s[38:39], 1, s37
	s_min_i32 s36, s36, s42
	s_andn2_b64 s[12:13], s[12:13], s[38:39]
	s_cmp_lg_u64 s[12:13], 0
	s_cbranch_scc1 .LBB38_51
; %bb.52:                               ;   in Loop: Header=BB38_41 Depth=2
	v_mbcnt_lo_u32_b32 v5, exec_lo, 0
	v_mbcnt_hi_u32_b32 v5, exec_hi, v5
	v_cmp_eq_u32_e32 vcc, 0, v5
	s_and_saveexec_b64 s[12:13], vcc
	s_xor_b64 s[12:13], exec, s[12:13]
	s_cbranch_execz .LBB38_54
; %bb.53:                               ;   in Loop: Header=BB38_41 Depth=2
	v_mov_b32_e32 v5, s36
	global_atomic_smin v4, v5, s[22:23]
.LBB38_54:                              ;   in Loop: Header=BB38_41 Depth=2
	s_or_b64 exec, exec, s[12:13]
	v_mov_b32_e32 v12, 0
	v_mov_b32_e32 v14, 1.0
.LBB38_55:                              ;   in Loop: Header=BB38_41 Depth=2
	s_or_b64 exec, exec, s[10:11]
	v_cmp_lt_i32_e32 vcc, s40, v7
	s_and_saveexec_b64 s[10:11], vcc
	s_cbranch_execz .LBB38_40
; %bb.56:                               ;   in Loop: Header=BB38_41 Depth=2
	v_add_u32_e32 v5, s40, v15
	v_add_u32_e32 v13, v27, v7
	v_cndmask_b32_e64 v16, v13, v5, s[2:3]
	v_ashrrev_i32_e32 v17, 31, v16
	v_lshl_add_u64 v[16:17], v[16:17], 3, s[28:29]
	global_load_dwordx2 v[18:19], v[16:17], off
	v_mov_b32_e32 v5, v4
	v_mov_b64_e32 v[20:21], v[4:5]
	s_and_saveexec_b64 s[12:13], s[4:5]
	s_cbranch_execz .LBB38_66
; %bb.57:                               ;   in Loop: Header=BB38_41 Depth=2
	v_mov_b32_e32 v20, 0
	s_mov_b64 s[36:37], 0
	v_mov_b32_e32 v5, v26
	v_mov_b32_e32 v13, v36
	;; [unrolled: 1-line block ×4, first 2 shown]
	s_branch .LBB38_59
.LBB38_58:                              ;   in Loop: Header=BB38_59 Depth=3
	v_add_u32_e32 v28, 1, v28
	v_cmp_ge_i32_e32 vcc, v28, v1
	v_add_u32_e32 v13, s51, v13
	s_or_b64 s[36:37], vcc, s[36:37]
	v_add_u32_e32 v5, s51, v5
	s_andn2_b64 exec, exec, s[36:37]
	s_cbranch_execz .LBB38_65
.LBB38_59:                              ;   Parent Loop BB38_4 Depth=1
                                        ;     Parent Loop BB38_41 Depth=2
                                        ; =>    This Loop Header: Depth=3
                                        ;         Child Loop BB38_61 Depth 4
	v_mul_lo_u32 v22, v28, s51
	v_add_u32_e32 v29, s41, v22
	v_add_u32_e32 v38, v22, v37
	s_mov_b32 s42, 0
	s_mov_b32 s43, s50
	;; [unrolled: 1-line block ×3, first 2 shown]
	s_branch .LBB38_61
.LBB38_60:                              ;   in Loop: Header=BB38_61 Depth=4
	v_ashrrev_i32_e32 v23, 31, v22
	v_ashrrev_i32_e32 v25, 31, v24
	v_lshl_add_u64 v[22:23], v[22:23], 3, s[28:29]
	v_lshl_add_u64 v[24:25], v[24:25], 3, s[28:29]
	global_load_dwordx2 v[40:41], v[22:23], off
	global_load_dwordx2 v[42:43], v[24:25], off
	s_add_i32 s44, s44, 1
	s_add_i32 s42, s42, s50
	s_add_i32 s43, s43, -1
	s_cmp_eq_u32 s43, 0
	s_waitcnt vmcnt(0)
	v_pk_fma_f32 v[20:21], v[42:43], v[40:41], v[20:21] op_sel_hi:[1,0,1]
	s_nop 0
	v_pk_fma_f32 v[20:21], v[42:43], v[40:41], v[20:21] op_sel:[1,1,0] op_sel_hi:[0,1,1] neg_hi:[0,1,0]
	s_cbranch_scc1 .LBB38_58
.LBB38_61:                              ;   Parent Loop BB38_4 Depth=1
                                        ;     Parent Loop BB38_41 Depth=2
                                        ;       Parent Loop BB38_59 Depth=3
                                        ; =>      This Inner Loop Header: Depth=4
	s_mov_b64 s[38:39], -1
	s_and_b64 vcc, exec, s[34:35]
                                        ; implicit-def: $vgpr22
                                        ; implicit-def: $vgpr24
	s_cbranch_vccz .LBB38_63
; %bb.62:                               ;   in Loop: Header=BB38_61 Depth=4
	v_add_u32_e32 v24, s42, v5
	v_add_u32_e32 v22, s42, v13
	s_mov_b64 s[38:39], 0
.LBB38_63:                              ;   in Loop: Header=BB38_61 Depth=4
	s_andn2_b64 vcc, exec, s[38:39]
	s_cbranch_vccnz .LBB38_60
; %bb.64:                               ;   in Loop: Header=BB38_61 Depth=4
	v_add_u32_e32 v24, s44, v29
	v_add_u32_e32 v22, s44, v38
	s_branch .LBB38_60
.LBB38_65:                              ;   in Loop: Header=BB38_41 Depth=2
	s_or_b64 exec, exec, s[36:37]
.LBB38_66:                              ;   in Loop: Header=BB38_41 Depth=2
	s_or_b64 exec, exec, s[12:13]
	s_cmp_eq_u32 s40, 0
	s_cbranch_scc1 .LBB38_39
; %bb.67:                               ;   in Loop: Header=BB38_41 Depth=2
	s_mov_b32 s36, 0
	v_mov_b32_e32 v5, v32
	s_branch .LBB38_69
.LBB38_68:                              ;   in Loop: Header=BB38_69 Depth=3
	v_ashrrev_i32_e32 v23, 31, v22
	v_ashrrev_i32_e32 v25, 31, v24
	v_lshl_add_u64 v[22:23], v[22:23], 3, s[28:29]
	v_lshl_add_u64 v[24:25], v[24:25], 3, s[28:29]
	global_load_dwordx2 v[28:29], v[22:23], off
	global_load_dwordx2 v[38:39], v[24:25], off
	s_add_i32 s36, s36, 1
	s_cmp_eq_u32 s40, s36
	v_add_u32_e32 v5, s50, v5
	s_waitcnt vmcnt(0)
	v_pk_fma_f32 v[20:21], v[38:39], v[28:29], v[20:21] op_sel_hi:[1,0,1]
	s_nop 0
	v_pk_fma_f32 v[20:21], v[38:39], v[28:29], v[20:21] op_sel:[1,1,0] op_sel_hi:[0,1,1] neg_hi:[0,1,0]
	s_cbranch_scc1 .LBB38_39
.LBB38_69:                              ;   Parent Loop BB38_4 Depth=1
                                        ;     Parent Loop BB38_41 Depth=2
                                        ; =>    This Inner Loop Header: Depth=3
	s_mov_b64 s[12:13], -1
	s_and_b64 vcc, exec, s[34:35]
                                        ; implicit-def: $vgpr22
                                        ; implicit-def: $vgpr24
	s_cbranch_vccz .LBB38_71
; %bb.70:                               ;   in Loop: Header=BB38_69 Depth=3
	v_add_u32_e32 v24, s40, v5
	v_add_u32_e32 v22, v7, v5
	s_mov_b64 s[12:13], 0
.LBB38_71:                              ;   in Loop: Header=BB38_69 Depth=3
	s_andn2_b64 vcc, exec, s[12:13]
	s_cbranch_vccnz .LBB38_68
; %bb.72:                               ;   in Loop: Header=BB38_69 Depth=3
	v_add_u32_e32 v24, s36, v27
	v_add_u32_e32 v22, s36, v15
	s_branch .LBB38_68
.LBB38_73:
	s_or_b64 exec, exec, s[20:21]
	v_cmp_eq_u32_e32 vcc, 31, v0
	s_and_saveexec_b64 s[0:1], vcc
	s_cbranch_execz .LBB38_75
; %bb.74:
	v_lshl_add_u64 v[0:1], v[2:3], 2, s[18:19]
	v_mov_b32_e32 v2, 1
	buffer_wbl2 sc1
	global_store_dword v[0:1], v2, off sc1
.LBB38_75:
	s_or_b64 exec, exec, s[0:1]
                                        ; implicit-def: $vgpr0
                                        ; implicit-def: $vgpr2_vgpr3
.LBB38_76:
	s_andn2_saveexec_b64 s[0:1], s[14:15]
	s_cbranch_execz .LBB38_83
; %bb.77:
	v_cmp_eq_u32_e32 vcc, 31, v0
	s_and_saveexec_b64 s[0:1], vcc
	s_cbranch_execz .LBB38_83
; %bb.78:
	s_mov_b64 s[0:1], exec
	v_add_u32_e32 v0, s33, v2
	s_brev_b32 s2, -2
.LBB38_79:                              ; =>This Inner Loop Header: Depth=1
	s_ff1_i32_b64 s3, s[0:1]
	v_readlane_b32 s6, v0, s3
	s_lshl_b64 s[4:5], 1, s3
	s_min_i32 s2, s2, s6
	s_andn2_b64 s[0:1], s[0:1], s[4:5]
	s_cmp_lg_u64 s[0:1], 0
	s_cbranch_scc1 .LBB38_79
; %bb.80:
	v_mbcnt_lo_u32_b32 v0, exec_lo, 0
	v_mbcnt_hi_u32_b32 v0, exec_hi, v0
	v_cmp_eq_u32_e32 vcc, 0, v0
	s_and_saveexec_b64 s[0:1], vcc
	s_xor_b64 s[0:1], exec, s[0:1]
	s_cbranch_execz .LBB38_82
; %bb.81:
	v_mov_b32_e32 v0, 0
	v_mov_b32_e32 v1, s2
	global_atomic_smin v0, v1, s[22:23]
.LBB38_82:
	s_or_b64 exec, exec, s[0:1]
	v_lshl_add_u64 v[0:1], v[2:3], 2, s[18:19]
	v_mov_b32_e32 v2, 1
	buffer_wbl2 sc1
	s_waitcnt vmcnt(0)
	global_store_dword v[0:1], v2, off sc1
.LBB38_83:
	s_endpgm
	.section	.rodata,"a",@progbits
	.p2align	6, 0x0
	.amdhsa_kernel _ZN9rocsparseL23bsric0_binsearch_kernelILj32ELj32ELb0E21rocsparse_complex_numIfEEEv20rocsparse_direction_iiPKiS5_PT2_S5_PiS5_S8_21rocsparse_index_base_
		.amdhsa_group_segment_fixed_size 0
		.amdhsa_private_segment_fixed_size 0
		.amdhsa_kernarg_size 76
		.amdhsa_user_sgpr_count 2
		.amdhsa_user_sgpr_dispatch_ptr 0
		.amdhsa_user_sgpr_queue_ptr 0
		.amdhsa_user_sgpr_kernarg_segment_ptr 1
		.amdhsa_user_sgpr_dispatch_id 0
		.amdhsa_user_sgpr_kernarg_preload_length 0
		.amdhsa_user_sgpr_kernarg_preload_offset 0
		.amdhsa_user_sgpr_private_segment_size 0
		.amdhsa_uses_dynamic_stack 0
		.amdhsa_enable_private_segment 0
		.amdhsa_system_sgpr_workgroup_id_x 1
		.amdhsa_system_sgpr_workgroup_id_y 0
		.amdhsa_system_sgpr_workgroup_id_z 0
		.amdhsa_system_sgpr_workgroup_info 0
		.amdhsa_system_vgpr_workitem_id 0
		.amdhsa_next_free_vgpr 49
		.amdhsa_next_free_sgpr 56
		.amdhsa_accum_offset 52
		.amdhsa_reserve_vcc 1
		.amdhsa_float_round_mode_32 0
		.amdhsa_float_round_mode_16_64 0
		.amdhsa_float_denorm_mode_32 3
		.amdhsa_float_denorm_mode_16_64 3
		.amdhsa_dx10_clamp 1
		.amdhsa_ieee_mode 1
		.amdhsa_fp16_overflow 0
		.amdhsa_tg_split 0
		.amdhsa_exception_fp_ieee_invalid_op 0
		.amdhsa_exception_fp_denorm_src 0
		.amdhsa_exception_fp_ieee_div_zero 0
		.amdhsa_exception_fp_ieee_overflow 0
		.amdhsa_exception_fp_ieee_underflow 0
		.amdhsa_exception_fp_ieee_inexact 0
		.amdhsa_exception_int_div_zero 0
	.end_amdhsa_kernel
	.section	.text._ZN9rocsparseL23bsric0_binsearch_kernelILj32ELj32ELb0E21rocsparse_complex_numIfEEEv20rocsparse_direction_iiPKiS5_PT2_S5_PiS5_S8_21rocsparse_index_base_,"axG",@progbits,_ZN9rocsparseL23bsric0_binsearch_kernelILj32ELj32ELb0E21rocsparse_complex_numIfEEEv20rocsparse_direction_iiPKiS5_PT2_S5_PiS5_S8_21rocsparse_index_base_,comdat
.Lfunc_end38:
	.size	_ZN9rocsparseL23bsric0_binsearch_kernelILj32ELj32ELb0E21rocsparse_complex_numIfEEEv20rocsparse_direction_iiPKiS5_PT2_S5_PiS5_S8_21rocsparse_index_base_, .Lfunc_end38-_ZN9rocsparseL23bsric0_binsearch_kernelILj32ELj32ELb0E21rocsparse_complex_numIfEEEv20rocsparse_direction_iiPKiS5_PT2_S5_PiS5_S8_21rocsparse_index_base_
                                        ; -- End function
	.set _ZN9rocsparseL23bsric0_binsearch_kernelILj32ELj32ELb0E21rocsparse_complex_numIfEEEv20rocsparse_direction_iiPKiS5_PT2_S5_PiS5_S8_21rocsparse_index_base_.num_vgpr, 49
	.set _ZN9rocsparseL23bsric0_binsearch_kernelILj32ELj32ELb0E21rocsparse_complex_numIfEEEv20rocsparse_direction_iiPKiS5_PT2_S5_PiS5_S8_21rocsparse_index_base_.num_agpr, 0
	.set _ZN9rocsparseL23bsric0_binsearch_kernelILj32ELj32ELb0E21rocsparse_complex_numIfEEEv20rocsparse_direction_iiPKiS5_PT2_S5_PiS5_S8_21rocsparse_index_base_.numbered_sgpr, 56
	.set _ZN9rocsparseL23bsric0_binsearch_kernelILj32ELj32ELb0E21rocsparse_complex_numIfEEEv20rocsparse_direction_iiPKiS5_PT2_S5_PiS5_S8_21rocsparse_index_base_.num_named_barrier, 0
	.set _ZN9rocsparseL23bsric0_binsearch_kernelILj32ELj32ELb0E21rocsparse_complex_numIfEEEv20rocsparse_direction_iiPKiS5_PT2_S5_PiS5_S8_21rocsparse_index_base_.private_seg_size, 0
	.set _ZN9rocsparseL23bsric0_binsearch_kernelILj32ELj32ELb0E21rocsparse_complex_numIfEEEv20rocsparse_direction_iiPKiS5_PT2_S5_PiS5_S8_21rocsparse_index_base_.uses_vcc, 1
	.set _ZN9rocsparseL23bsric0_binsearch_kernelILj32ELj32ELb0E21rocsparse_complex_numIfEEEv20rocsparse_direction_iiPKiS5_PT2_S5_PiS5_S8_21rocsparse_index_base_.uses_flat_scratch, 0
	.set _ZN9rocsparseL23bsric0_binsearch_kernelILj32ELj32ELb0E21rocsparse_complex_numIfEEEv20rocsparse_direction_iiPKiS5_PT2_S5_PiS5_S8_21rocsparse_index_base_.has_dyn_sized_stack, 0
	.set _ZN9rocsparseL23bsric0_binsearch_kernelILj32ELj32ELb0E21rocsparse_complex_numIfEEEv20rocsparse_direction_iiPKiS5_PT2_S5_PiS5_S8_21rocsparse_index_base_.has_recursion, 0
	.set _ZN9rocsparseL23bsric0_binsearch_kernelILj32ELj32ELb0E21rocsparse_complex_numIfEEEv20rocsparse_direction_iiPKiS5_PT2_S5_PiS5_S8_21rocsparse_index_base_.has_indirect_call, 0
	.section	.AMDGPU.csdata,"",@progbits
; Kernel info:
; codeLenInByte = 3196
; TotalNumSgprs: 62
; NumVgprs: 49
; NumAgprs: 0
; TotalNumVgprs: 49
; ScratchSize: 0
; MemoryBound: 0
; FloatMode: 240
; IeeeMode: 1
; LDSByteSize: 0 bytes/workgroup (compile time only)
; SGPRBlocks: 7
; VGPRBlocks: 6
; NumSGPRsForWavesPerEU: 62
; NumVGPRsForWavesPerEU: 49
; AccumOffset: 52
; Occupancy: 8
; WaveLimiterHint : 1
; COMPUTE_PGM_RSRC2:SCRATCH_EN: 0
; COMPUTE_PGM_RSRC2:USER_SGPR: 2
; COMPUTE_PGM_RSRC2:TRAP_HANDLER: 0
; COMPUTE_PGM_RSRC2:TGID_X_EN: 1
; COMPUTE_PGM_RSRC2:TGID_Y_EN: 0
; COMPUTE_PGM_RSRC2:TGID_Z_EN: 0
; COMPUTE_PGM_RSRC2:TIDIG_COMP_CNT: 0
; COMPUTE_PGM_RSRC3_GFX90A:ACCUM_OFFSET: 12
; COMPUTE_PGM_RSRC3_GFX90A:TG_SPLIT: 0
	.section	.text._ZN9rocsparseL23bsric0_binsearch_kernelILj64ELj64ELb1E21rocsparse_complex_numIfEEEv20rocsparse_direction_iiPKiS5_PT2_S5_PiS5_S8_21rocsparse_index_base_,"axG",@progbits,_ZN9rocsparseL23bsric0_binsearch_kernelILj64ELj64ELb1E21rocsparse_complex_numIfEEEv20rocsparse_direction_iiPKiS5_PT2_S5_PiS5_S8_21rocsparse_index_base_,comdat
	.globl	_ZN9rocsparseL23bsric0_binsearch_kernelILj64ELj64ELb1E21rocsparse_complex_numIfEEEv20rocsparse_direction_iiPKiS5_PT2_S5_PiS5_S8_21rocsparse_index_base_ ; -- Begin function _ZN9rocsparseL23bsric0_binsearch_kernelILj64ELj64ELb1E21rocsparse_complex_numIfEEEv20rocsparse_direction_iiPKiS5_PT2_S5_PiS5_S8_21rocsparse_index_base_
	.p2align	8
	.type	_ZN9rocsparseL23bsric0_binsearch_kernelILj64ELj64ELb1E21rocsparse_complex_numIfEEEv20rocsparse_direction_iiPKiS5_PT2_S5_PiS5_S8_21rocsparse_index_base_,@function
_ZN9rocsparseL23bsric0_binsearch_kernelILj64ELj64ELb1E21rocsparse_complex_numIfEEEv20rocsparse_direction_iiPKiS5_PT2_S5_PiS5_S8_21rocsparse_index_base_: ; @_ZN9rocsparseL23bsric0_binsearch_kernelILj64ELj64ELb1E21rocsparse_complex_numIfEEEv20rocsparse_direction_iiPKiS5_PT2_S5_PiS5_S8_21rocsparse_index_base_
; %bb.0:
	s_load_dwordx8 s[16:23], s[0:1], 0x28
	s_ashr_i32 s3, s2, 31
	s_lshl_b64 s[2:3], s[2:3], 2
	v_mov_b32_e32 v1, 0
	s_load_dword s33, s[0:1], 0x48
	s_waitcnt lgkmcnt(0)
	s_add_u32 s2, s20, s2
	s_addc_u32 s3, s21, s3
	global_load_dword v2, v1, s[2:3]
	s_waitcnt vmcnt(0)
	v_ashrrev_i32_e32 v3, 31, v2
	v_lshlrev_b64 v[4:5], 2, v[2:3]
	v_lshl_add_u64 v[4:5], s[16:17], 0, v[4:5]
	global_load_dword v1, v[4:5], off
	s_waitcnt vmcnt(0)
	v_readfirstlane_b32 s2, v1
	s_cmp_lg_u32 s2, -1
	s_cselect_b64 s[2:3], -1, 0
	s_and_saveexec_b64 s[4:5], s[2:3]
	s_xor_b64 s[14:15], exec, s[4:5]
	s_cbranch_execz .LBB39_78
; %bb.1:
	s_load_dword s50, s[0:1], 0x8
	s_waitcnt lgkmcnt(0)
	v_cmp_gt_i32_e32 vcc, s50, v0
	s_and_saveexec_b64 s[20:21], vcc
	s_cbranch_execz .LBB39_75
; %bb.2:
	s_load_dwordx4 s[24:27], s[0:1], 0x10
	s_load_dword s4, s[0:1], 0x0
	s_load_dwordx2 s[28:29], s[0:1], 0x20
	s_mul_i32 s51, s50, s50
	v_cmp_ne_u32_e64 s[0:1], 0, v0
	s_waitcnt lgkmcnt(0)
	v_lshl_add_u64 v[4:5], v[2:3], 2, s[24:25]
	global_load_dwordx2 v[6:7], v[4:5], off
	s_cmp_eq_u32 s4, 0
	s_cselect_b64 s[2:3], -1, 0
	s_cmp_lg_u32 s4, 0
	v_add_u32_e32 v30, s33, v2
	s_mov_b64 s[30:31], 0
	v_mov_b32_e32 v4, 0
	s_mov_b32 s52, 0xf800000
	v_mov_b32_e32 v31, 0x260
	v_mul_lo_u32 v32, v1, s51
	s_cselect_b64 s[34:35], -1, 0
	s_waitcnt vmcnt(0)
	v_subrev_u32_e32 v33, s33, v6
	v_xad_u32 v34, s33, -1, v7
	v_add_u32_e32 v5, v34, v33
	v_ashrrev_i32_e32 v6, 1, v5
	v_mul_lo_u32 v35, s51, v33
	v_ashrrev_i32_e32 v7, 31, v6
	v_cmp_lt_i32_e64 s[4:5], v33, v1
	v_cmp_ge_i32_e64 s[6:7], v33, v1
	v_cmp_lt_i32_e64 s[8:9], v33, v34
	v_add_u32_e32 v36, v35, v0
	v_lshl_add_u64 v[8:9], v[6:7], 2, s[26:27]
	v_mov_b32_e32 v7, v0
	s_branch .LBB39_4
.LBB39_3:                               ;   in Loop: Header=BB39_4 Depth=1
	v_add_u32_e32 v7, 64, v7
	v_cmp_le_i32_e32 vcc, s50, v7
	s_or_b64 s[30:31], vcc, s[30:31]
	v_add_u32_e32 v36, 64, v36
	s_andn2_b64 exec, exec, s[30:31]
	s_cbranch_execz .LBB39_75
.LBB39_4:                               ; =>This Loop Header: Depth=1
                                        ;     Child Loop BB39_10 Depth 2
                                        ;       Child Loop BB39_14 Depth 3
                                        ;         Child Loop BB39_15 Depth 4
                                        ;       Child Loop BB39_19 Depth 3
                                        ;         Child Loop BB39_21 Depth 4
                                        ;         Child Loop BB39_28 Depth 4
                                        ;           Child Loop BB39_30 Depth 5
                                        ;           Child Loop BB39_36 Depth 5
                                        ;     Child Loop BB39_43 Depth 2
                                        ;       Child Loop BB39_53 Depth 3
                                        ;       Child Loop BB39_61 Depth 3
                                        ;         Child Loop BB39_63 Depth 4
                                        ;       Child Loop BB39_71 Depth 3
	v_mul_lo_u32 v37, v7, s50
	s_and_saveexec_b64 s[10:11], s[6:7]
	s_xor_b64 s[10:11], exec, s[10:11]
; %bb.5:                                ;   in Loop: Header=BB39_4 Depth=1
	v_mul_lo_u32 v37, v7, s50
; %bb.6:                                ;   in Loop: Header=BB39_4 Depth=1
	s_or_saveexec_b64 s[36:37], s[10:11]
	v_mov_b32_e32 v5, v4
	v_mov_b64_e32 v[10:11], v[4:5]
	s_xor_b64 exec, exec, s[36:37]
	s_cbranch_execz .LBB39_40
; %bb.7:                                ;   in Loop: Header=BB39_4 Depth=1
	v_mov_b32_e32 v5, v4
	s_mov_b64 s[38:39], 0
	v_mov_b32_e32 v12, v33
	v_mov_b64_e32 v[10:11], v[4:5]
                                        ; implicit-def: $sgpr40_sgpr41
	s_branch .LBB39_10
.LBB39_8:                               ;   in Loop: Header=BB39_10 Depth=2
	v_add_u32_e32 v12, 1, v12
	v_cmp_ge_i32_e32 vcc, v12, v1
	s_andn2_b64 s[10:11], s[40:41], exec
	s_and_b64 s[12:13], vcc, exec
	s_or_b64 s[40:41], s[10:11], s[12:13]
.LBB39_9:                               ;   in Loop: Header=BB39_10 Depth=2
	s_or_b64 exec, exec, s[42:43]
	s_and_b64 s[10:11], exec, s[40:41]
	s_or_b64 s[38:39], s[10:11], s[38:39]
	s_andn2_b64 exec, exec, s[38:39]
	s_cbranch_execz .LBB39_39
.LBB39_10:                              ;   Parent Loop BB39_4 Depth=1
                                        ; =>  This Loop Header: Depth=2
                                        ;       Child Loop BB39_14 Depth 3
                                        ;         Child Loop BB39_15 Depth 4
                                        ;       Child Loop BB39_19 Depth 3
                                        ;         Child Loop BB39_21 Depth 4
                                        ;         Child Loop BB39_28 Depth 4
                                        ;           Child Loop BB39_30 Depth 5
                                        ;           Child Loop BB39_36 Depth 5
	v_ashrrev_i32_e32 v13, 31, v12
	v_lshl_add_u64 v[14:15], v[12:13], 2, s[26:27]
	global_load_dword v13, v[14:15], off
	s_or_b64 s[40:41], s[40:41], exec
	s_waitcnt vmcnt(0)
	v_subrev_u32_e32 v14, s33, v13
	v_ashrrev_i32_e32 v15, 31, v14
	v_lshl_add_u64 v[16:17], v[14:15], 2, s[16:17]
	global_load_dword v38, v[16:17], off
	s_waitcnt vmcnt(0)
	v_cmp_ne_u32_e32 vcc, -1, v38
	s_and_saveexec_b64 s[42:43], vcc
	s_cbranch_execz .LBB39_9
; %bb.11:                               ;   in Loop: Header=BB39_10 Depth=2
	v_lshlrev_b64 v[16:17], 2, v[14:15]
	v_lshl_add_u64 v[18:19], s[24:25], 0, v[16:17]
	v_lshl_add_u64 v[16:17], s[18:19], 0, v[16:17]
	global_load_dword v5, v[18:19], off
	global_load_dword v15, v[16:17], off sc1
	s_waitcnt vmcnt(0)
	v_cmp_eq_u32_e32 vcc, 0, v15
	s_and_saveexec_b64 s[10:11], vcc
	s_cbranch_execz .LBB39_16
; %bb.12:                               ;   in Loop: Header=BB39_10 Depth=2
	s_mov_b32 s44, 0
	s_mov_b64 s[12:13], 0
	s_branch .LBB39_14
.LBB39_13:                              ;   in Loop: Header=BB39_14 Depth=3
	global_load_dword v15, v[16:17], off sc1
	s_cmpk_lt_u32 s44, 0xf43
	s_cselect_b64 s[46:47], -1, 0
	s_cmp_lg_u64 s[46:47], 0
	s_addc_u32 s44, s44, 0
	s_waitcnt vmcnt(0)
	v_cmp_ne_u32_e32 vcc, 0, v15
	s_or_b64 s[12:13], vcc, s[12:13]
	s_andn2_b64 exec, exec, s[12:13]
	s_cbranch_execz .LBB39_16
.LBB39_14:                              ;   Parent Loop BB39_4 Depth=1
                                        ;     Parent Loop BB39_10 Depth=2
                                        ; =>    This Loop Header: Depth=3
                                        ;         Child Loop BB39_15 Depth 4
	s_cmp_eq_u32 s44, 0
	s_mov_b32 s45, s44
	s_cbranch_scc1 .LBB39_13
.LBB39_15:                              ;   Parent Loop BB39_4 Depth=1
                                        ;     Parent Loop BB39_10 Depth=2
                                        ;       Parent Loop BB39_14 Depth=3
                                        ; =>      This Inner Loop Header: Depth=4
	s_add_i32 s45, s45, -1
	s_cmp_eq_u32 s45, 0
	s_sleep 1
	s_cbranch_scc0 .LBB39_15
	s_branch .LBB39_13
.LBB39_16:                              ;   in Loop: Header=BB39_10 Depth=2
	s_or_b64 exec, exec, s[10:11]
	v_subrev_u32_e32 v15, s33, v5
	v_mul_lo_u32 v5, v12, s51
	v_mul_lo_u32 v17, v14, s50
	;; [unrolled: 1-line block ×3, first 2 shown]
	v_add_u32_e32 v40, v5, v7
	v_add_u32_e32 v41, v5, v37
	v_cmp_le_i32_e64 s[10:11], v15, v38
	v_mul_lo_u32 v42, s51, v15
	s_mov_b32 s53, 0
	buffer_inv sc1
	s_branch .LBB39_19
.LBB39_17:                              ;   in Loop: Header=BB39_19 Depth=3
	s_or_b64 exec, exec, s[44:45]
.LBB39_18:                              ;   in Loop: Header=BB39_19 Depth=3
	s_or_b64 exec, exec, s[12:13]
	v_mul_f32_e32 v5, v16, v16
	v_fmac_f32_e32 v5, v14, v14
	v_div_scale_f32 v24, s[12:13], v5, v5, 1.0
	v_rcp_f32_e32 v25, v24
	s_waitcnt vmcnt(0)
	v_pk_add_f32 v[20:21], v[20:21], v[22:23] neg_lo:[0,1] neg_hi:[0,1]
	s_add_i32 s53, s53, 1
	s_cmp_eq_u32 s53, s50
	v_fma_f32 v22, -v24, v25, 1.0
	v_fmac_f32_e32 v25, v22, v25
	v_div_scale_f32 v22, vcc, 1.0, v5, 1.0
	v_mul_f32_e32 v23, v22, v25
	v_fma_f32 v26, -v24, v23, v22
	v_fmac_f32_e32 v23, v26, v25
	v_fma_f32 v22, -v24, v23, v22
	v_div_fmas_f32 v22, v22, v25, v23
	v_xor_b32_e32 v25, 0x80000000, v20
	v_mov_b32_e32 v24, v21
	v_pk_mul_f32 v[24:25], v[16:17], v[24:25] op_sel_hi:[0,1]
	v_div_fixup_f32 v22, v22, v5, 1.0
	v_pk_fma_f32 v[20:21], v[20:21], v[14:15], v[24:25] op_sel_hi:[1,0,1]
	v_add_u32_e32 v42, 1, v42
	v_pk_mul_f32 v[20:21], v[22:23], v[20:21] op_sel_hi:[0,1]
	v_xor_b32_e32 v22, 0x80000000, v21
	v_pk_fma_f32 v[10:11], v[20:21], v[20:21], v[10:11] op_sel:[1,0,0] op_sel_hi:[0,0,1]
	v_mov_b32_e32 v23, v21
	v_pk_fma_f32 v[10:11], v[20:21], v[22:23], v[10:11]
	global_store_dwordx2 v[18:19], v[20:21], off
	s_cbranch_scc1 .LBB39_8
.LBB39_19:                              ;   Parent Loop BB39_4 Depth=1
                                        ;     Parent Loop BB39_10 Depth=2
                                        ; =>    This Loop Header: Depth=3
                                        ;         Child Loop BB39_21 Depth 4
                                        ;         Child Loop BB39_28 Depth 4
                                        ;           Child Loop BB39_30 Depth 5
                                        ;           Child Loop BB39_36 Depth 5
	s_mul_i32 s54, s53, s50
	s_add_i32 s12, s54, s53
	v_add_u32_e32 v18, s12, v39
	v_ashrrev_i32_e32 v19, 31, v18
	v_lshl_add_u64 v[18:19], v[18:19], 3, s[28:29]
	global_load_dwordx2 v[18:19], v[18:19], off
	s_waitcnt vmcnt(0)
	v_cmp_neq_f32_e32 vcc, 0, v18
	v_cmp_neq_f32_e64 s[12:13], 0, v19
	s_or_b64 vcc, vcc, s[12:13]
	v_cndmask_b32_e32 v14, 1.0, v18, vcc
	s_nor_b64 s[44:45], vcc, s[0:1]
	v_cndmask_b32_e32 v16, 0, v19, vcc
	s_and_saveexec_b64 s[12:13], s[44:45]
	s_cbranch_execz .LBB39_25
; %bb.20:                               ;   in Loop: Header=BB39_19 Depth=3
	s_mov_b64 s[44:45], exec
	s_brev_b32 s46, -2
.LBB39_21:                              ;   Parent Loop BB39_4 Depth=1
                                        ;     Parent Loop BB39_10 Depth=2
                                        ;       Parent Loop BB39_19 Depth=3
                                        ; =>      This Inner Loop Header: Depth=4
	s_ff1_i32_b64 s47, s[44:45]
	v_readlane_b32 s55, v13, s47
	s_lshl_b64 s[48:49], 1, s47
	s_min_i32 s46, s46, s55
	s_andn2_b64 s[44:45], s[44:45], s[48:49]
	s_cmp_lg_u64 s[44:45], 0
	s_cbranch_scc1 .LBB39_21
; %bb.22:                               ;   in Loop: Header=BB39_19 Depth=3
	v_mbcnt_lo_u32_b32 v5, exec_lo, 0
	v_mbcnt_hi_u32_b32 v5, exec_hi, v5
	v_cmp_eq_u32_e32 vcc, 0, v5
	s_and_saveexec_b64 s[44:45], vcc
	s_xor_b64 s[44:45], exec, s[44:45]
	s_cbranch_execz .LBB39_24
; %bb.23:                               ;   in Loop: Header=BB39_19 Depth=3
	v_mov_b32_e32 v5, s46
	global_atomic_smin v4, v5, s[22:23]
.LBB39_24:                              ;   in Loop: Header=BB39_19 Depth=3
	s_or_b64 exec, exec, s[44:45]
	v_mov_b32_e32 v14, 1.0
	v_mov_b32_e32 v16, 0
.LBB39_25:                              ;   in Loop: Header=BB39_19 Depth=3
	s_or_b64 exec, exec, s[12:13]
	v_add_u32_e32 v5, s53, v41
	v_add_u32_e32 v18, s54, v40
	v_cndmask_b32_e64 v18, v18, v5, s[2:3]
	v_ashrrev_i32_e32 v19, 31, v18
	v_lshl_add_u64 v[18:19], v[18:19], 3, s[28:29]
	global_load_dwordx2 v[20:21], v[18:19], off
	v_mov_b32_e32 v5, v4
	v_mov_b64_e32 v[22:23], v[4:5]
	s_and_saveexec_b64 s[12:13], s[10:11]
	s_cbranch_execz .LBB39_18
; %bb.26:                               ;   in Loop: Header=BB39_19 Depth=3
	global_load_dword v43, v[8:9], off
	v_mov_b32_e32 v5, v4
	v_add_u32_e32 v44, s53, v17
	s_mov_b64 s[44:45], 0
	v_mov_b32_e32 v45, v42
	v_mov_b32_e32 v24, v15
	v_mov_b64_e32 v[22:23], v[4:5]
	s_branch .LBB39_28
.LBB39_27:                              ;   in Loop: Header=BB39_28 Depth=4
	s_or_b64 exec, exec, s[46:47]
	v_add_u32_e32 v5, 1, v24
	v_cmp_ge_i32_e32 vcc, v24, v38
	v_add_u32_e32 v45, s51, v45
	s_or_b64 s[44:45], vcc, s[44:45]
	v_mov_b32_e32 v24, v5
	s_andn2_b64 exec, exec, s[44:45]
	s_cbranch_execz .LBB39_17
.LBB39_28:                              ;   Parent Loop BB39_4 Depth=1
                                        ;     Parent Loop BB39_10 Depth=2
                                        ;       Parent Loop BB39_19 Depth=3
                                        ; =>      This Loop Header: Depth=4
                                        ;           Child Loop BB39_30 Depth 5
                                        ;           Child Loop BB39_36 Depth 5
	v_ashrrev_i32_e32 v25, 31, v24
	v_lshl_add_u64 v[26:27], v[24:25], 2, s[26:27]
	global_load_dword v5, v[26:27], off
	s_waitcnt vmcnt(1)
	v_mov_b32_e32 v25, v43
	v_mov_b32_e32 v26, v6
	s_and_saveexec_b64 s[46:47], s[8:9]
	s_cbranch_execz .LBB39_32
; %bb.29:                               ;   in Loop: Header=BB39_28 Depth=4
	s_mov_b64 s[48:49], 0
	v_mov_b32_e32 v25, v43
	v_mov_b32_e32 v26, v6
	;; [unrolled: 1-line block ×4, first 2 shown]
.LBB39_30:                              ;   Parent Loop BB39_4 Depth=1
                                        ;     Parent Loop BB39_10 Depth=2
                                        ;       Parent Loop BB39_19 Depth=3
                                        ;         Parent Loop BB39_28 Depth=4
                                        ; =>        This Inner Loop Header: Depth=5
	v_add_u32_e32 v27, 1, v26
	s_waitcnt vmcnt(0)
	v_cmp_lt_i32_e32 vcc, v25, v5
	s_nop 1
	v_cndmask_b32_e32 v29, v26, v29, vcc
	v_cndmask_b32_e32 v28, v28, v27, vcc
	v_add_u32_e32 v25, v29, v28
	v_ashrrev_i32_e32 v26, 1, v25
	v_ashrrev_i32_e32 v27, 31, v26
	v_lshl_add_u64 v[46:47], v[26:27], 2, s[26:27]
	global_load_dword v25, v[46:47], off
	v_cmp_ge_i32_e32 vcc, v28, v29
	s_or_b64 s[48:49], vcc, s[48:49]
	s_andn2_b64 exec, exec, s[48:49]
	s_cbranch_execnz .LBB39_30
; %bb.31:                               ;   in Loop: Header=BB39_28 Depth=4
	s_or_b64 exec, exec, s[48:49]
.LBB39_32:                              ;   in Loop: Header=BB39_28 Depth=4
	s_or_b64 exec, exec, s[46:47]
	s_waitcnt vmcnt(0)
	v_cmp_eq_u32_e32 vcc, v25, v5
	s_and_saveexec_b64 s[46:47], vcc
	s_cbranch_execz .LBB39_27
; %bb.33:                               ;   in Loop: Header=BB39_28 Depth=4
	v_subrev_u32_e32 v5, s33, v5
	v_mul_lo_u32 v25, v24, s51
	v_mul_lo_u32 v26, v26, s51
	;; [unrolled: 1-line block ×3, first 2 shown]
	v_add_u32_e32 v25, s54, v25
	v_add_u32_e32 v46, v26, v37
	;; [unrolled: 1-line block ×3, first 2 shown]
	s_mov_b32 s55, 0
	v_mov_b32_e32 v48, v45
	s_branch .LBB39_36
.LBB39_34:                              ;   in Loop: Header=BB39_36 Depth=5
	v_ashrrev_i32_e32 v29, 31, v28
	v_ashrrev_i32_e32 v27, 31, v26
	v_lshl_add_u64 v[28:29], v[28:29], 3, s[28:29]
	v_lshl_add_u64 v[26:27], v[26:27], 3, s[28:29]
	global_load_dwordx2 v[26:27], v[26:27], off
	s_nop 0
	global_load_dwordx2 v[28:29], v[28:29], off
	s_waitcnt vmcnt(0)
	v_pk_fma_f32 v[22:23], v[28:29], v[26:27], v[22:23] op_sel_hi:[1,0,1]
	s_nop 0
	v_pk_fma_f32 v[22:23], v[28:29], v[26:27], v[22:23] op_sel:[1,1,0] op_sel_hi:[0,1,1] neg_hi:[0,1,0]
.LBB39_35:                              ;   in Loop: Header=BB39_36 Depth=5
	s_or_b64 exec, exec, s[48:49]
	s_add_i32 s55, s55, 1
	v_add_u32_e32 v47, s50, v47
	s_cmp_lg_u32 s50, s55
	v_add_u32_e32 v48, s50, v48
	s_cbranch_scc0 .LBB39_27
.LBB39_36:                              ;   Parent Loop BB39_4 Depth=1
                                        ;     Parent Loop BB39_10 Depth=2
                                        ;       Parent Loop BB39_19 Depth=3
                                        ;         Parent Loop BB39_28 Depth=4
                                        ; =>        This Inner Loop Header: Depth=5
	v_add_u32_e32 v26, s55, v5
	v_cmp_lt_i32_e32 vcc, v26, v44
	s_and_saveexec_b64 s[48:49], vcc
	s_cbranch_execz .LBB39_35
; %bb.37:                               ;   in Loop: Header=BB39_36 Depth=5
	s_andn2_b64 vcc, exec, s[2:3]
	v_mov_b32_e32 v28, v48
	v_mov_b32_e32 v26, v47
	s_cbranch_vccnz .LBB39_34
; %bb.38:                               ;   in Loop: Header=BB39_36 Depth=5
	v_add_u32_e32 v28, s55, v25
	v_add_u32_e32 v26, s55, v46
	s_branch .LBB39_34
.LBB39_39:                              ;   in Loop: Header=BB39_4 Depth=1
	s_or_b64 exec, exec, s[38:39]
.LBB39_40:                              ;   in Loop: Header=BB39_4 Depth=1
	s_or_b64 exec, exec, s[36:37]
	v_add_u32_e32 v15, v37, v32
	s_mov_b32 s40, 0
	v_mov_b32_e32 v26, v35
	s_branch .LBB39_43
.LBB39_41:                              ;   in Loop: Header=BB39_43 Depth=2
	v_mul_f32_e32 v5, v12, v12
	v_fmac_f32_e32 v5, v14, v14
	v_div_scale_f32 v13, s[12:13], v5, v5, 1.0
	v_rcp_f32_e32 v22, v13
	s_waitcnt vmcnt(0)
	v_pk_add_f32 v[18:19], v[18:19], v[20:21] neg_lo:[0,1] neg_hi:[0,1]
	v_fma_f32 v20, -v13, v22, 1.0
	v_fmac_f32_e32 v22, v20, v22
	v_div_scale_f32 v20, vcc, 1.0, v5, 1.0
	v_mul_f32_e32 v21, v20, v22
	v_fma_f32 v23, -v13, v21, v20
	v_fmac_f32_e32 v21, v23, v22
	v_fma_f32 v13, -v13, v21, v20
	v_div_fmas_f32 v13, v13, v22, v21
	v_xor_b32_e32 v23, 0x80000000, v18
	v_mov_b32_e32 v22, v19
	v_div_fixup_f32 v20, v13, v5, 1.0
	v_pk_mul_f32 v[12:13], v[12:13], v[22:23] op_sel_hi:[0,1]
	v_pk_fma_f32 v[12:13], v[18:19], v[14:15], v[12:13] op_sel_hi:[1,0,1]
	s_nop 0
	v_pk_mul_f32 v[12:13], v[20:21], v[12:13] op_sel_hi:[0,1]
	v_xor_b32_e32 v18, 0x80000000, v13
	v_pk_fma_f32 v[10:11], v[12:13], v[12:13], v[10:11] op_sel:[1,0,0] op_sel_hi:[0,0,1]
	v_mov_b32_e32 v19, v13
	v_pk_fma_f32 v[10:11], v[12:13], v[18:19], v[10:11]
	global_store_dwordx2 v[16:17], v[12:13], off
.LBB39_42:                              ;   in Loop: Header=BB39_43 Depth=2
	s_or_b64 exec, exec, s[10:11]
	s_add_i32 s40, s40, 1
	s_cmp_eq_u32 s40, s50
	v_add_u32_e32 v26, 1, v26
	buffer_wbl2 sc1
	s_waitcnt vmcnt(0)
	buffer_inv sc1
	s_cbranch_scc1 .LBB39_3
.LBB39_43:                              ;   Parent Loop BB39_4 Depth=1
                                        ; =>  This Loop Header: Depth=2
                                        ;       Child Loop BB39_53 Depth 3
                                        ;       Child Loop BB39_61 Depth 3
                                        ;         Child Loop BB39_63 Depth 4
                                        ;       Child Loop BB39_71 Depth 3
	s_mul_i32 s41, s40, s50
	v_add_u32_e32 v27, s41, v32
	v_add_u32_e32 v12, s40, v27
	v_ashrrev_i32_e32 v13, 31, v12
	v_cmp_eq_u32_e32 vcc, s40, v7
	v_lshl_add_u64 v[12:13], v[12:13], 3, s[28:29]
	s_and_saveexec_b64 s[12:13], vcc
	s_cbranch_execz .LBB39_51
; %bb.44:                               ;   in Loop: Header=BB39_43 Depth=2
	global_load_dwordx2 v[16:17], v[12:13], off
	s_waitcnt vmcnt(0)
	v_sub_f32_e32 v5, v16, v11
	v_sub_f32_e32 v17, v17, v10
	v_cmp_gt_f32_e32 vcc, 0, v5
                                        ; implicit-def: $vgpr16
	s_nop 1
	v_cndmask_b32_e64 v5, v5, -v5, vcc
	v_cmp_gt_f32_e32 vcc, 0, v17
	s_nop 1
	v_cndmask_b32_e64 v14, v17, -v17, vcc
	v_cmp_ngt_f32_e32 vcc, v5, v14
	s_and_saveexec_b64 s[10:11], vcc
	s_xor_b64 s[36:37], exec, s[10:11]
	s_cbranch_execz .LBB39_48
; %bb.45:                               ;   in Loop: Header=BB39_43 Depth=2
	v_mov_b32_e32 v16, 0
	v_cmp_neq_f32_e32 vcc, 0, v17
	s_and_saveexec_b64 s[38:39], vcc
	s_cbranch_execz .LBB39_47
; %bb.46:                               ;   in Loop: Header=BB39_43 Depth=2
	v_div_scale_f32 v16, s[10:11], v14, v14, v5
	v_rcp_f32_e32 v17, v16
	v_div_scale_f32 v18, vcc, v5, v14, v5
	v_fma_f32 v19, -v16, v17, 1.0
	v_fmac_f32_e32 v17, v19, v17
	v_mul_f32_e32 v19, v18, v17
	v_fma_f32 v20, -v16, v19, v18
	v_fmac_f32_e32 v19, v20, v17
	v_fma_f32 v16, -v16, v19, v18
	v_div_fmas_f32 v16, v16, v17, v19
	v_div_fixup_f32 v5, v16, v14, v5
	v_fma_f32 v5, v5, v5, 1.0
	v_mul_f32_e32 v16, 0x4f800000, v5
	v_cmp_gt_f32_e32 vcc, s52, v5
	s_nop 1
	v_cndmask_b32_e32 v5, v5, v16, vcc
	v_sqrt_f32_e32 v16, v5
	s_nop 0
	v_add_u32_e32 v17, -1, v16
	v_fma_f32 v18, -v17, v16, v5
	v_cmp_ge_f32_e64 s[10:11], 0, v18
	v_add_u32_e32 v18, 1, v16
	s_nop 0
	v_cndmask_b32_e64 v17, v16, v17, s[10:11]
	v_fma_f32 v16, -v18, v16, v5
	v_cmp_lt_f32_e64 s[10:11], 0, v16
	s_nop 1
	v_cndmask_b32_e64 v16, v17, v18, s[10:11]
	v_mul_f32_e32 v17, 0x37800000, v16
	v_cndmask_b32_e32 v16, v16, v17, vcc
	v_cmp_class_f32_e32 vcc, v5, v31
	s_nop 1
	v_cndmask_b32_e32 v5, v16, v5, vcc
	v_mul_f32_e32 v16, v14, v5
.LBB39_47:                              ;   in Loop: Header=BB39_43 Depth=2
	s_or_b64 exec, exec, s[38:39]
                                        ; implicit-def: $vgpr5
                                        ; implicit-def: $vgpr14
.LBB39_48:                              ;   in Loop: Header=BB39_43 Depth=2
	s_andn2_saveexec_b64 s[36:37], s[36:37]
	s_cbranch_execz .LBB39_50
; %bb.49:                               ;   in Loop: Header=BB39_43 Depth=2
	v_div_scale_f32 v16, s[10:11], v5, v5, v14
	v_rcp_f32_e32 v17, v16
	v_div_scale_f32 v18, vcc, v14, v5, v14
	v_fma_f32 v19, -v16, v17, 1.0
	v_fmac_f32_e32 v17, v19, v17
	v_mul_f32_e32 v19, v18, v17
	v_fma_f32 v20, -v16, v19, v18
	v_fmac_f32_e32 v19, v20, v17
	v_fma_f32 v16, -v16, v19, v18
	v_div_fmas_f32 v16, v16, v17, v19
	v_div_fixup_f32 v14, v16, v5, v14
	v_fma_f32 v14, v14, v14, 1.0
	v_mul_f32_e32 v16, 0x4f800000, v14
	v_cmp_gt_f32_e32 vcc, s52, v14
	s_nop 1
	v_cndmask_b32_e32 v14, v14, v16, vcc
	v_sqrt_f32_e32 v16, v14
	s_nop 0
	v_add_u32_e32 v17, -1, v16
	v_fma_f32 v18, -v17, v16, v14
	v_cmp_ge_f32_e64 s[10:11], 0, v18
	v_add_u32_e32 v18, 1, v16
	s_nop 0
	v_cndmask_b32_e64 v17, v16, v17, s[10:11]
	v_fma_f32 v16, -v18, v16, v14
	v_cmp_lt_f32_e64 s[10:11], 0, v16
	s_nop 1
	v_cndmask_b32_e64 v16, v17, v18, s[10:11]
	v_mul_f32_e32 v17, 0x37800000, v16
	v_cndmask_b32_e32 v16, v16, v17, vcc
	v_cmp_class_f32_e32 vcc, v14, v31
	s_nop 1
	v_cndmask_b32_e32 v14, v16, v14, vcc
	v_mul_f32_e32 v16, v5, v14
.LBB39_50:                              ;   in Loop: Header=BB39_43 Depth=2
	s_or_b64 exec, exec, s[36:37]
	v_mul_f32_e32 v5, 0x4f800000, v16
	v_cmp_gt_f32_e32 vcc, s52, v16
	s_nop 1
	v_cndmask_b32_e32 v5, v16, v5, vcc
	v_sqrt_f32_e32 v14, v5
	s_nop 0
	v_add_u32_e32 v16, -1, v14
	v_fma_f32 v18, -v16, v14, v5
	v_add_u32_e32 v17, 1, v14
	v_cmp_ge_f32_e64 s[10:11], 0, v18
	s_nop 1
	v_cndmask_b32_e64 v16, v14, v16, s[10:11]
	v_fma_f32 v14, -v17, v14, v5
	v_cmp_lt_f32_e64 s[10:11], 0, v14
	s_nop 1
	v_cndmask_b32_e64 v14, v16, v17, s[10:11]
	v_mul_f32_e32 v16, 0x37800000, v14
	v_cndmask_b32_e32 v14, v14, v16, vcc
	v_cmp_class_f32_e32 vcc, v5, v31
	v_mov_b32_e32 v17, v4
	s_nop 0
	v_cndmask_b32_e32 v16, v14, v5, vcc
	global_store_dwordx2 v[12:13], v[16:17], off
.LBB39_51:                              ;   in Loop: Header=BB39_43 Depth=2
	s_or_b64 exec, exec, s[12:13]
	buffer_wbl2 sc1
	s_waitcnt vmcnt(0)
	buffer_inv sc1
	global_load_dwordx2 v[16:17], v[12:13], off
	s_waitcnt vmcnt(0)
	v_cmp_neq_f32_e32 vcc, 0, v16
	v_cmp_neq_f32_e64 s[10:11], 0, v17
	s_or_b64 vcc, vcc, s[10:11]
	v_cndmask_b32_e32 v12, 0, v17, vcc
	s_nor_b64 s[12:13], vcc, s[0:1]
	v_cndmask_b32_e32 v14, 1.0, v16, vcc
	s_and_saveexec_b64 s[10:11], s[12:13]
	s_cbranch_execz .LBB39_57
; %bb.52:                               ;   in Loop: Header=BB39_43 Depth=2
	s_mov_b64 s[12:13], exec
	s_brev_b32 s36, -2
.LBB39_53:                              ;   Parent Loop BB39_4 Depth=1
                                        ;     Parent Loop BB39_43 Depth=2
                                        ; =>    This Inner Loop Header: Depth=3
	s_ff1_i32_b64 s37, s[12:13]
	v_readlane_b32 s42, v30, s37
	s_lshl_b64 s[38:39], 1, s37
	s_min_i32 s36, s36, s42
	s_andn2_b64 s[12:13], s[12:13], s[38:39]
	s_cmp_lg_u64 s[12:13], 0
	s_cbranch_scc1 .LBB39_53
; %bb.54:                               ;   in Loop: Header=BB39_43 Depth=2
	v_mbcnt_lo_u32_b32 v5, exec_lo, 0
	v_mbcnt_hi_u32_b32 v5, exec_hi, v5
	v_cmp_eq_u32_e32 vcc, 0, v5
	s_and_saveexec_b64 s[12:13], vcc
	s_xor_b64 s[12:13], exec, s[12:13]
	s_cbranch_execz .LBB39_56
; %bb.55:                               ;   in Loop: Header=BB39_43 Depth=2
	v_mov_b32_e32 v5, s36
	global_atomic_smin v4, v5, s[22:23]
.LBB39_56:                              ;   in Loop: Header=BB39_43 Depth=2
	s_or_b64 exec, exec, s[12:13]
	v_mov_b32_e32 v12, 0
	v_mov_b32_e32 v14, 1.0
.LBB39_57:                              ;   in Loop: Header=BB39_43 Depth=2
	s_or_b64 exec, exec, s[10:11]
	v_cmp_lt_i32_e32 vcc, s40, v7
	s_and_saveexec_b64 s[10:11], vcc
	s_cbranch_execz .LBB39_42
; %bb.58:                               ;   in Loop: Header=BB39_43 Depth=2
	v_add_u32_e32 v5, s40, v15
	v_add_u32_e32 v13, v27, v7
	v_cndmask_b32_e64 v16, v13, v5, s[2:3]
	v_ashrrev_i32_e32 v17, 31, v16
	v_lshl_add_u64 v[16:17], v[16:17], 3, s[28:29]
	global_load_dwordx2 v[18:19], v[16:17], off
	v_mov_b32_e32 v5, v4
	v_mov_b64_e32 v[20:21], v[4:5]
	s_and_saveexec_b64 s[12:13], s[4:5]
	s_cbranch_execz .LBB39_68
; %bb.59:                               ;   in Loop: Header=BB39_43 Depth=2
	v_mov_b32_e32 v20, 0
	s_mov_b64 s[36:37], 0
	v_mov_b32_e32 v5, v26
	v_mov_b32_e32 v13, v36
	;; [unrolled: 1-line block ×4, first 2 shown]
	s_branch .LBB39_61
.LBB39_60:                              ;   in Loop: Header=BB39_61 Depth=3
	v_add_u32_e32 v28, 1, v28
	v_cmp_ge_i32_e32 vcc, v28, v1
	v_add_u32_e32 v13, s51, v13
	s_or_b64 s[36:37], vcc, s[36:37]
	v_add_u32_e32 v5, s51, v5
	s_andn2_b64 exec, exec, s[36:37]
	s_cbranch_execz .LBB39_67
.LBB39_61:                              ;   Parent Loop BB39_4 Depth=1
                                        ;     Parent Loop BB39_43 Depth=2
                                        ; =>    This Loop Header: Depth=3
                                        ;         Child Loop BB39_63 Depth 4
	v_mul_lo_u32 v22, v28, s51
	v_add_u32_e32 v29, s41, v22
	v_add_u32_e32 v38, v22, v37
	s_mov_b32 s42, 0
	s_mov_b32 s43, s50
	;; [unrolled: 1-line block ×3, first 2 shown]
	s_branch .LBB39_63
.LBB39_62:                              ;   in Loop: Header=BB39_63 Depth=4
	v_ashrrev_i32_e32 v23, 31, v22
	v_ashrrev_i32_e32 v25, 31, v24
	v_lshl_add_u64 v[22:23], v[22:23], 3, s[28:29]
	v_lshl_add_u64 v[24:25], v[24:25], 3, s[28:29]
	global_load_dwordx2 v[40:41], v[22:23], off
	global_load_dwordx2 v[42:43], v[24:25], off
	s_add_i32 s44, s44, 1
	s_add_i32 s42, s42, s50
	s_add_i32 s43, s43, -1
	s_cmp_eq_u32 s43, 0
	s_waitcnt vmcnt(0)
	v_pk_fma_f32 v[20:21], v[42:43], v[40:41], v[20:21] op_sel_hi:[1,0,1]
	s_nop 0
	v_pk_fma_f32 v[20:21], v[42:43], v[40:41], v[20:21] op_sel:[1,1,0] op_sel_hi:[0,1,1] neg_hi:[0,1,0]
	s_cbranch_scc1 .LBB39_60
.LBB39_63:                              ;   Parent Loop BB39_4 Depth=1
                                        ;     Parent Loop BB39_43 Depth=2
                                        ;       Parent Loop BB39_61 Depth=3
                                        ; =>      This Inner Loop Header: Depth=4
	s_mov_b64 s[38:39], -1
	s_and_b64 vcc, exec, s[34:35]
                                        ; implicit-def: $vgpr22
                                        ; implicit-def: $vgpr24
	s_cbranch_vccz .LBB39_65
; %bb.64:                               ;   in Loop: Header=BB39_63 Depth=4
	v_add_u32_e32 v24, s42, v5
	v_add_u32_e32 v22, s42, v13
	s_mov_b64 s[38:39], 0
.LBB39_65:                              ;   in Loop: Header=BB39_63 Depth=4
	s_andn2_b64 vcc, exec, s[38:39]
	s_cbranch_vccnz .LBB39_62
; %bb.66:                               ;   in Loop: Header=BB39_63 Depth=4
	v_add_u32_e32 v24, s44, v29
	v_add_u32_e32 v22, s44, v38
	s_branch .LBB39_62
.LBB39_67:                              ;   in Loop: Header=BB39_43 Depth=2
	s_or_b64 exec, exec, s[36:37]
.LBB39_68:                              ;   in Loop: Header=BB39_43 Depth=2
	s_or_b64 exec, exec, s[12:13]
	s_cmp_eq_u32 s40, 0
	s_cbranch_scc1 .LBB39_41
; %bb.69:                               ;   in Loop: Header=BB39_43 Depth=2
	s_mov_b32 s36, 0
	v_mov_b32_e32 v5, v32
	s_branch .LBB39_71
.LBB39_70:                              ;   in Loop: Header=BB39_71 Depth=3
	v_ashrrev_i32_e32 v23, 31, v22
	v_ashrrev_i32_e32 v25, 31, v24
	v_lshl_add_u64 v[22:23], v[22:23], 3, s[28:29]
	v_lshl_add_u64 v[24:25], v[24:25], 3, s[28:29]
	global_load_dwordx2 v[28:29], v[22:23], off
	global_load_dwordx2 v[38:39], v[24:25], off
	s_add_i32 s36, s36, 1
	s_cmp_eq_u32 s40, s36
	v_add_u32_e32 v5, s50, v5
	s_waitcnt vmcnt(0)
	v_pk_fma_f32 v[20:21], v[38:39], v[28:29], v[20:21] op_sel_hi:[1,0,1]
	s_nop 0
	v_pk_fma_f32 v[20:21], v[38:39], v[28:29], v[20:21] op_sel:[1,1,0] op_sel_hi:[0,1,1] neg_hi:[0,1,0]
	s_cbranch_scc1 .LBB39_41
.LBB39_71:                              ;   Parent Loop BB39_4 Depth=1
                                        ;     Parent Loop BB39_43 Depth=2
                                        ; =>    This Inner Loop Header: Depth=3
	s_mov_b64 s[12:13], -1
	s_and_b64 vcc, exec, s[34:35]
                                        ; implicit-def: $vgpr22
                                        ; implicit-def: $vgpr24
	s_cbranch_vccz .LBB39_73
; %bb.72:                               ;   in Loop: Header=BB39_71 Depth=3
	v_add_u32_e32 v24, s40, v5
	v_add_u32_e32 v22, v7, v5
	s_mov_b64 s[12:13], 0
.LBB39_73:                              ;   in Loop: Header=BB39_71 Depth=3
	s_andn2_b64 vcc, exec, s[12:13]
	s_cbranch_vccnz .LBB39_70
; %bb.74:                               ;   in Loop: Header=BB39_71 Depth=3
	v_add_u32_e32 v24, s36, v27
	v_add_u32_e32 v22, s36, v15
	s_branch .LBB39_70
.LBB39_75:
	s_or_b64 exec, exec, s[20:21]
	v_cmp_eq_u32_e32 vcc, 63, v0
	s_and_saveexec_b64 s[0:1], vcc
	s_cbranch_execz .LBB39_77
; %bb.76:
	v_lshl_add_u64 v[0:1], v[2:3], 2, s[18:19]
	v_mov_b32_e32 v2, 1
	buffer_wbl2 sc1
	global_store_dword v[0:1], v2, off sc1
.LBB39_77:
	s_or_b64 exec, exec, s[0:1]
                                        ; implicit-def: $vgpr0
                                        ; implicit-def: $vgpr2_vgpr3
.LBB39_78:
	s_andn2_saveexec_b64 s[0:1], s[14:15]
	s_cbranch_execz .LBB39_85
; %bb.79:
	v_cmp_eq_u32_e32 vcc, 63, v0
	s_and_saveexec_b64 s[0:1], vcc
	s_cbranch_execz .LBB39_85
; %bb.80:
	s_mov_b64 s[0:1], exec
	v_add_u32_e32 v0, s33, v2
	s_brev_b32 s2, -2
.LBB39_81:                              ; =>This Inner Loop Header: Depth=1
	s_ff1_i32_b64 s3, s[0:1]
	v_readlane_b32 s6, v0, s3
	s_lshl_b64 s[4:5], 1, s3
	s_min_i32 s2, s2, s6
	s_andn2_b64 s[0:1], s[0:1], s[4:5]
	s_cmp_lg_u64 s[0:1], 0
	s_cbranch_scc1 .LBB39_81
; %bb.82:
	v_mbcnt_lo_u32_b32 v0, exec_lo, 0
	v_mbcnt_hi_u32_b32 v0, exec_hi, v0
	v_cmp_eq_u32_e32 vcc, 0, v0
	s_and_saveexec_b64 s[0:1], vcc
	s_xor_b64 s[0:1], exec, s[0:1]
	s_cbranch_execz .LBB39_84
; %bb.83:
	v_mov_b32_e32 v0, 0
	v_mov_b32_e32 v1, s2
	global_atomic_smin v0, v1, s[22:23]
.LBB39_84:
	s_or_b64 exec, exec, s[0:1]
	v_lshl_add_u64 v[0:1], v[2:3], 2, s[18:19]
	v_mov_b32_e32 v2, 1
	buffer_wbl2 sc1
	s_waitcnt vmcnt(0)
	global_store_dword v[0:1], v2, off sc1
.LBB39_85:
	s_endpgm
	.section	.rodata,"a",@progbits
	.p2align	6, 0x0
	.amdhsa_kernel _ZN9rocsparseL23bsric0_binsearch_kernelILj64ELj64ELb1E21rocsparse_complex_numIfEEEv20rocsparse_direction_iiPKiS5_PT2_S5_PiS5_S8_21rocsparse_index_base_
		.amdhsa_group_segment_fixed_size 0
		.amdhsa_private_segment_fixed_size 0
		.amdhsa_kernarg_size 76
		.amdhsa_user_sgpr_count 2
		.amdhsa_user_sgpr_dispatch_ptr 0
		.amdhsa_user_sgpr_queue_ptr 0
		.amdhsa_user_sgpr_kernarg_segment_ptr 1
		.amdhsa_user_sgpr_dispatch_id 0
		.amdhsa_user_sgpr_kernarg_preload_length 0
		.amdhsa_user_sgpr_kernarg_preload_offset 0
		.amdhsa_user_sgpr_private_segment_size 0
		.amdhsa_uses_dynamic_stack 0
		.amdhsa_enable_private_segment 0
		.amdhsa_system_sgpr_workgroup_id_x 1
		.amdhsa_system_sgpr_workgroup_id_y 0
		.amdhsa_system_sgpr_workgroup_id_z 0
		.amdhsa_system_sgpr_workgroup_info 0
		.amdhsa_system_vgpr_workitem_id 0
		.amdhsa_next_free_vgpr 49
		.amdhsa_next_free_sgpr 56
		.amdhsa_accum_offset 52
		.amdhsa_reserve_vcc 1
		.amdhsa_float_round_mode_32 0
		.amdhsa_float_round_mode_16_64 0
		.amdhsa_float_denorm_mode_32 3
		.amdhsa_float_denorm_mode_16_64 3
		.amdhsa_dx10_clamp 1
		.amdhsa_ieee_mode 1
		.amdhsa_fp16_overflow 0
		.amdhsa_tg_split 0
		.amdhsa_exception_fp_ieee_invalid_op 0
		.amdhsa_exception_fp_denorm_src 0
		.amdhsa_exception_fp_ieee_div_zero 0
		.amdhsa_exception_fp_ieee_overflow 0
		.amdhsa_exception_fp_ieee_underflow 0
		.amdhsa_exception_fp_ieee_inexact 0
		.amdhsa_exception_int_div_zero 0
	.end_amdhsa_kernel
	.section	.text._ZN9rocsparseL23bsric0_binsearch_kernelILj64ELj64ELb1E21rocsparse_complex_numIfEEEv20rocsparse_direction_iiPKiS5_PT2_S5_PiS5_S8_21rocsparse_index_base_,"axG",@progbits,_ZN9rocsparseL23bsric0_binsearch_kernelILj64ELj64ELb1E21rocsparse_complex_numIfEEEv20rocsparse_direction_iiPKiS5_PT2_S5_PiS5_S8_21rocsparse_index_base_,comdat
.Lfunc_end39:
	.size	_ZN9rocsparseL23bsric0_binsearch_kernelILj64ELj64ELb1E21rocsparse_complex_numIfEEEv20rocsparse_direction_iiPKiS5_PT2_S5_PiS5_S8_21rocsparse_index_base_, .Lfunc_end39-_ZN9rocsparseL23bsric0_binsearch_kernelILj64ELj64ELb1E21rocsparse_complex_numIfEEEv20rocsparse_direction_iiPKiS5_PT2_S5_PiS5_S8_21rocsparse_index_base_
                                        ; -- End function
	.set _ZN9rocsparseL23bsric0_binsearch_kernelILj64ELj64ELb1E21rocsparse_complex_numIfEEEv20rocsparse_direction_iiPKiS5_PT2_S5_PiS5_S8_21rocsparse_index_base_.num_vgpr, 49
	.set _ZN9rocsparseL23bsric0_binsearch_kernelILj64ELj64ELb1E21rocsparse_complex_numIfEEEv20rocsparse_direction_iiPKiS5_PT2_S5_PiS5_S8_21rocsparse_index_base_.num_agpr, 0
	.set _ZN9rocsparseL23bsric0_binsearch_kernelILj64ELj64ELb1E21rocsparse_complex_numIfEEEv20rocsparse_direction_iiPKiS5_PT2_S5_PiS5_S8_21rocsparse_index_base_.numbered_sgpr, 56
	.set _ZN9rocsparseL23bsric0_binsearch_kernelILj64ELj64ELb1E21rocsparse_complex_numIfEEEv20rocsparse_direction_iiPKiS5_PT2_S5_PiS5_S8_21rocsparse_index_base_.num_named_barrier, 0
	.set _ZN9rocsparseL23bsric0_binsearch_kernelILj64ELj64ELb1E21rocsparse_complex_numIfEEEv20rocsparse_direction_iiPKiS5_PT2_S5_PiS5_S8_21rocsparse_index_base_.private_seg_size, 0
	.set _ZN9rocsparseL23bsric0_binsearch_kernelILj64ELj64ELb1E21rocsparse_complex_numIfEEEv20rocsparse_direction_iiPKiS5_PT2_S5_PiS5_S8_21rocsparse_index_base_.uses_vcc, 1
	.set _ZN9rocsparseL23bsric0_binsearch_kernelILj64ELj64ELb1E21rocsparse_complex_numIfEEEv20rocsparse_direction_iiPKiS5_PT2_S5_PiS5_S8_21rocsparse_index_base_.uses_flat_scratch, 0
	.set _ZN9rocsparseL23bsric0_binsearch_kernelILj64ELj64ELb1E21rocsparse_complex_numIfEEEv20rocsparse_direction_iiPKiS5_PT2_S5_PiS5_S8_21rocsparse_index_base_.has_dyn_sized_stack, 0
	.set _ZN9rocsparseL23bsric0_binsearch_kernelILj64ELj64ELb1E21rocsparse_complex_numIfEEEv20rocsparse_direction_iiPKiS5_PT2_S5_PiS5_S8_21rocsparse_index_base_.has_recursion, 0
	.set _ZN9rocsparseL23bsric0_binsearch_kernelILj64ELj64ELb1E21rocsparse_complex_numIfEEEv20rocsparse_direction_iiPKiS5_PT2_S5_PiS5_S8_21rocsparse_index_base_.has_indirect_call, 0
	.section	.AMDGPU.csdata,"",@progbits
; Kernel info:
; codeLenInByte = 3252
; TotalNumSgprs: 62
; NumVgprs: 49
; NumAgprs: 0
; TotalNumVgprs: 49
; ScratchSize: 0
; MemoryBound: 0
; FloatMode: 240
; IeeeMode: 1
; LDSByteSize: 0 bytes/workgroup (compile time only)
; SGPRBlocks: 7
; VGPRBlocks: 6
; NumSGPRsForWavesPerEU: 62
; NumVGPRsForWavesPerEU: 49
; AccumOffset: 52
; Occupancy: 8
; WaveLimiterHint : 1
; COMPUTE_PGM_RSRC2:SCRATCH_EN: 0
; COMPUTE_PGM_RSRC2:USER_SGPR: 2
; COMPUTE_PGM_RSRC2:TRAP_HANDLER: 0
; COMPUTE_PGM_RSRC2:TGID_X_EN: 1
; COMPUTE_PGM_RSRC2:TGID_Y_EN: 0
; COMPUTE_PGM_RSRC2:TGID_Z_EN: 0
; COMPUTE_PGM_RSRC2:TIDIG_COMP_CNT: 0
; COMPUTE_PGM_RSRC3_GFX90A:ACCUM_OFFSET: 12
; COMPUTE_PGM_RSRC3_GFX90A:TG_SPLIT: 0
	.section	.text._ZN9rocsparseL26bsric0_2_8_unrolled_kernelILi1ELi32ELi1E21rocsparse_complex_numIfEEEv20rocsparse_direction_iiPKiS5_PT2_S5_PiS5_S8_21rocsparse_index_base_,"axG",@progbits,_ZN9rocsparseL26bsric0_2_8_unrolled_kernelILi1ELi32ELi1E21rocsparse_complex_numIfEEEv20rocsparse_direction_iiPKiS5_PT2_S5_PiS5_S8_21rocsparse_index_base_,comdat
	.globl	_ZN9rocsparseL26bsric0_2_8_unrolled_kernelILi1ELi32ELi1E21rocsparse_complex_numIfEEEv20rocsparse_direction_iiPKiS5_PT2_S5_PiS5_S8_21rocsparse_index_base_ ; -- Begin function _ZN9rocsparseL26bsric0_2_8_unrolled_kernelILi1ELi32ELi1E21rocsparse_complex_numIfEEEv20rocsparse_direction_iiPKiS5_PT2_S5_PiS5_S8_21rocsparse_index_base_
	.p2align	8
	.type	_ZN9rocsparseL26bsric0_2_8_unrolled_kernelILi1ELi32ELi1E21rocsparse_complex_numIfEEEv20rocsparse_direction_iiPKiS5_PT2_S5_PiS5_S8_21rocsparse_index_base_,@function
_ZN9rocsparseL26bsric0_2_8_unrolled_kernelILi1ELi32ELi1E21rocsparse_complex_numIfEEEv20rocsparse_direction_iiPKiS5_PT2_S5_PiS5_S8_21rocsparse_index_base_: ; @_ZN9rocsparseL26bsric0_2_8_unrolled_kernelILi1ELi32ELi1E21rocsparse_complex_numIfEEEv20rocsparse_direction_iiPKiS5_PT2_S5_PiS5_S8_21rocsparse_index_base_
; %bb.0:
	s_load_dwordx8 s[4:11], s[0:1], 0x28
	s_mov_b32 s3, 0
	s_lshl_b64 s[2:3], s[2:3], 2
	s_waitcnt lgkmcnt(0)
	s_add_u32 s2, s8, s2
	s_addc_u32 s3, s9, s3
	s_load_dword s8, s[2:3], 0x0
	s_waitcnt lgkmcnt(0)
	s_ashr_i32 s9, s8, 31
	s_lshl_b64 s[2:3], s[8:9], 2
	s_add_u32 s12, s4, s2
	s_addc_u32 s13, s5, s3
	s_load_dword s16, s[12:13], 0x0
	s_load_dword s9, s[0:1], 0x48
	s_waitcnt lgkmcnt(0)
	s_cmp_lg_u32 s16, -1
	s_cbranch_scc0 .LBB40_15
; %bb.1:
	s_load_dwordx4 s[12:15], s[0:1], 0x10
	s_waitcnt lgkmcnt(0)
	s_add_u32 s18, s12, s2
	s_addc_u32 s19, s13, s3
	s_load_dword s22, s[18:19], 0x0
	s_waitcnt lgkmcnt(0)
	s_sub_i32 s17, s22, s9
	s_cmp_gt_i32 s17, s16
	s_cbranch_scc1 .LBB40_13
; %bb.2:
	s_add_i32 s18, s16, s9
	s_sub_i32 s23, s18, s22
	s_add_i32 s23, s23, 1
	s_mov_b64 s[20:21], -1
	s_cmp_lt_u32 s23, 2
	s_mov_b32 s18, s17
	s_cbranch_scc1 .LBB40_10
; %bb.3:
	s_add_i32 s18, s23, -2
	s_lshr_b32 s21, s18, 1
	s_add_i32 s21, s21, 1
	s_cmp_lt_u32 s18, 14
	s_mov_b32 s20, 0
	s_cbranch_scc1 .LBB40_6
; %bb.4:
	s_and_b32 s24, s21, -8
	s_movk_i32 s25, 0x100
.LBB40_5:                               ; =>This Inner Loop Header: Depth=1
	s_add_i32 s18, s17, s20
	s_ashr_i32 s19, s18, 31
	s_lshl_b64 s[26:27], s[18:19], 2
	s_add_u32 s26, s14, s26
	s_addc_u32 s27, s15, s27
	s_load_dwordx2 s[30:31], s[26:27], 0x0
	s_add_i32 s28, s18, 2
	s_ashr_i32 s29, s28, 31
	s_lshl_b64 s[26:27], s[28:29], 2
	v_mov_b32_e32 v0, s25
	s_waitcnt lgkmcnt(0)
	s_sub_i32 s19, s31, s9
	s_sub_i32 s28, s30, s9
	s_add_u32 s26, s14, s26
	s_addc_u32 s27, s15, s27
	s_load_dwordx2 s[30:31], s[26:27], 0x0
	v_mov_b32_e32 v1, s28
	s_add_i32 s28, s18, 4
	s_ashr_i32 s29, s28, 31
	v_mov_b32_e32 v2, s19
	s_lshl_b64 s[26:27], s[28:29], 2
	s_waitcnt lgkmcnt(0)
	s_sub_i32 s19, s31, s9
	s_sub_i32 s28, s30, s9
	s_add_u32 s26, s14, s26
	s_addc_u32 s27, s15, s27
	s_load_dwordx2 s[30:31], s[26:27], 0x0
	ds_write2_b32 v0, v1, v2 offset1:1
	v_mov_b32_e32 v1, s28
	s_add_i32 s28, s18, 6
	s_ashr_i32 s29, s28, 31
	v_mov_b32_e32 v2, s19
	s_lshl_b64 s[26:27], s[28:29], 2
	s_waitcnt lgkmcnt(0)
	s_sub_i32 s19, s31, s9
	s_sub_i32 s28, s30, s9
	s_add_u32 s26, s14, s26
	s_addc_u32 s27, s15, s27
	s_load_dwordx2 s[30:31], s[26:27], 0x0
	ds_write2_b32 v0, v1, v2 offset0:2 offset1:3
	v_mov_b32_e32 v1, s28
	s_add_i32 s28, s18, 8
	s_ashr_i32 s29, s28, 31
	v_mov_b32_e32 v2, s19
	s_lshl_b64 s[26:27], s[28:29], 2
	s_waitcnt lgkmcnt(0)
	s_sub_i32 s19, s31, s9
	s_sub_i32 s28, s30, s9
	s_add_u32 s26, s14, s26
	s_addc_u32 s27, s15, s27
	s_load_dwordx2 s[30:31], s[26:27], 0x0
	ds_write2_b32 v0, v1, v2 offset0:4 offset1:5
	;; [unrolled: 12-line block ×3, first 2 shown]
	v_mov_b32_e32 v1, s28
	s_add_i32 s28, s18, 12
	s_ashr_i32 s29, s28, 31
	v_mov_b32_e32 v2, s19
	s_lshl_b64 s[26:27], s[28:29], 2
	s_waitcnt lgkmcnt(0)
	s_sub_i32 s19, s31, s9
	s_sub_i32 s28, s30, s9
	s_add_u32 s26, s14, s26
	s_addc_u32 s27, s15, s27
	ds_write2_b32 v0, v1, v2 offset0:8 offset1:9
	v_mov_b32_e32 v1, s28
	s_load_dwordx2 s[28:29], s[26:27], 0x0
	s_add_i32 s18, s18, 14
	v_mov_b32_e32 v2, s19
	s_ashr_i32 s19, s18, 31
	s_lshl_b64 s[18:19], s[18:19], 2
	s_waitcnt lgkmcnt(0)
	s_sub_i32 s26, s29, s9
	s_sub_i32 s27, s28, s9
	s_add_u32 s18, s14, s18
	s_addc_u32 s19, s15, s19
	ds_write2_b32 v0, v1, v2 offset0:10 offset1:11
	v_mov_b32_e32 v1, s27
	v_mov_b32_e32 v2, s26
	s_load_dwordx2 s[26:27], s[18:19], 0x0
	s_add_i32 s20, s20, 16
	s_add_i32 s25, s25, 64
	s_add_i32 s24, s24, -8
	ds_write2_b32 v0, v1, v2 offset0:12 offset1:13
	s_waitcnt lgkmcnt(0)
	s_sub_i32 s18, s27, s9
	s_sub_i32 s19, s26, s9
	v_mov_b32_e32 v1, s19
	v_mov_b32_e32 v2, s18
	s_cmp_lg_u32 s24, 0
	ds_write2_b32 v0, v1, v2 offset0:14 offset1:15
	s_cbranch_scc1 .LBB40_5
.LBB40_6:
	s_and_b32 s21, s21, 7
	s_cmp_eq_u32 s21, 0
	s_cbranch_scc1 .LBB40_9
; %bb.7:
	s_lshl_b32 s18, s20, 2
	s_add_i32 s24, s18, 0x100
	s_add_i32 s18, s20, s22
	s_sub_i32 s18, s18, s9
.LBB40_8:                               ; =>This Inner Loop Header: Depth=1
	s_ashr_i32 s19, s18, 31
	s_lshl_b64 s[26:27], s[18:19], 2
	s_add_u32 s26, s14, s26
	s_addc_u32 s27, s15, s27
	s_load_dwordx2 s[28:29], s[26:27], 0x0
	v_mov_b32_e32 v0, s24
	s_add_i32 s24, s24, 8
	s_add_i32 s18, s18, 2
	s_add_i32 s21, s21, -1
	s_waitcnt lgkmcnt(0)
	s_sub_i32 s19, s29, s9
	s_sub_i32 s20, s28, s9
	v_mov_b32_e32 v1, s20
	v_mov_b32_e32 v2, s19
	s_cmp_lg_u32 s21, 0
	ds_write2_b32 v0, v1, v2 offset1:1
	s_cbranch_scc1 .LBB40_8
.LBB40_9:
	s_and_b32 s19, s23, -2
	s_add_i32 s18, s17, s19
	s_cmp_lg_u32 s23, s19
	s_cselect_b64 s[20:21], -1, 0
.LBB40_10:
	s_and_b64 vcc, exec, s[20:21]
	s_cbranch_vccz .LBB40_13
; %bb.11:
	s_add_i32 s19, s18, s9
	s_sub_i32 s19, s19, s22
	s_lshl_b32 s19, s19, 2
	s_add_i32 s21, s19, 0x100
	s_ashr_i32 s19, s18, 31
	s_add_i32 s20, s18, -1
	s_lshl_b64 s[18:19], s[18:19], 2
	s_add_u32 s18, s14, s18
	s_addc_u32 s19, s15, s19
.LBB40_12:                              ; =>This Inner Loop Header: Depth=1
	s_load_dword s22, s[18:19], 0x0
	v_mov_b32_e32 v0, s21
	s_add_i32 s20, s20, 1
	s_add_i32 s21, s21, 4
	s_waitcnt lgkmcnt(0)
	s_sub_i32 s22, s22, s9
	s_add_u32 s18, s18, 4
	s_addc_u32 s19, s19, 0
	v_mov_b32_e32 v1, s22
	s_cmp_ge_i32 s20, s16
	ds_write_b32 v0, v1
	s_cbranch_scc0 .LBB40_12
.LBB40_13:
	s_load_dwordx2 s[20:21], s[0:1], 0x20
	v_mov_b32_e32 v0, 0
	s_mov_b32 s18, 0
	v_mov_b32_e32 v1, v0
	s_cmp_lt_i32 s17, s16
	ds_write_b64 v0, v[0:1] offset:432
	s_waitcnt lgkmcnt(0)
	s_cbranch_scc1 .LBB40_16
; %bb.14:
	s_cbranch_execz .LBB40_17
	s_branch .LBB40_49
.LBB40_15:
	s_mov_b64 s[0:1], 0
	s_cbranch_execnz .LBB40_63
	s_branch .LBB40_64
.LBB40_16:
                                        ; implicit-def: $sgpr18
.LBB40_17:
	s_mov_b32 s18, 0
	v_mov_b32_e32 v3, 0
	v_mov_b32_e32 v4, 0x1a0
	;; [unrolled: 1-line block ×5, first 2 shown]
	s_mov_b32 s22, s17
	s_branch .LBB40_19
.LBB40_18:                              ;   in Loop: Header=BB40_19 Depth=1
                                        ; implicit-def: $sgpr22
	s_cbranch_execnz .LBB40_49
.LBB40_19:                              ; =>This Loop Header: Depth=1
                                        ;     Child Loop BB40_22 Depth 2
                                        ;     Child Loop BB40_33 Depth 2
	;; [unrolled: 1-line block ×4, first 2 shown]
	s_ashr_i32 s23, s22, 31
	s_lshl_b64 s[0:1], s[22:23], 2
	s_add_u32 s0, s14, s0
	s_addc_u32 s1, s15, s1
	s_load_dword s33, s[0:1], 0x0
	s_waitcnt lgkmcnt(0)
	s_sub_i32 s28, s33, s9
	s_ashr_i32 s29, s28, 31
	s_lshl_b64 s[26:27], s[28:29], 2
	s_add_u32 s0, s4, s26
	s_addc_u32 s1, s5, s27
	s_load_dword s0, s[0:1], 0x0
	s_waitcnt lgkmcnt(0)
	s_cmp_eq_u32 s0, -1
	s_cbranch_scc1 .LBB40_18
; %bb.20:                               ;   in Loop: Header=BB40_19 Depth=1
	s_add_u32 s24, s12, s26
	s_addc_u32 s25, s13, s27
	s_load_dword s1, s[24:25], 0x0
	s_lshl_b64 s[24:25], s[22:23], 3
	s_mov_b32 s19, 0
	ds_read_b32 v2, v3 offset:256
	s_waitcnt lgkmcnt(0)
	s_sub_i32 s30, s1, s9
	s_add_u32 s24, s20, s24
	s_addc_u32 s25, s21, s25
	global_load_dwordx2 v[0:1], v3, s[24:25]
	s_cmp_le_i32 s30, s0
	s_cselect_b64 s[34:35], -1, 0
	v_cmp_ge_i32_e32 vcc, s28, v2
	s_and_b64 s[34:35], s[34:35], vcc
	s_andn2_b64 vcc, exec, s[34:35]
	s_waitcnt vmcnt(0)
	ds_write_b64 v4, v[0:1]
	s_cbranch_vccnz .LBB40_32
; %bb.21:                               ;   in Loop: Header=BB40_19 Depth=1
	s_mov_b32 s1, 0
	s_mov_b32 s23, 0
.LBB40_22:                              ;   Parent Loop BB40_19 Depth=1
                                        ; =>  This Inner Loop Header: Depth=2
	s_ashr_i32 s31, s30, 31
	s_lshl_b64 s[34:35], s[30:31], 2
	s_add_u32 s34, s14, s34
	s_addc_u32 s35, s15, s35
	s_lshl_b32 s29, s23, 2
	s_load_dword s19, s[34:35], 0x0
	v_mov_b32_e32 v0, s29
	ds_read_b32 v0, v0 offset:256
	s_mov_b64 s[34:35], -1
                                        ; implicit-def: $sgpr36
                                        ; implicit-def: $sgpr31
	s_waitcnt lgkmcnt(0)
	s_sub_i32 s37, s19, s9
                                        ; implicit-def: $sgpr19
	v_cmp_ge_i32_e32 vcc, s37, v0
	v_readfirstlane_b32 s29, v0
	s_cbranch_vccz .LBB40_28
; %bb.23:                               ;   in Loop: Header=BB40_22 Depth=2
	s_cmp_le_i32 s37, s29
                                        ; implicit-def: $sgpr19
                                        ; implicit-def: $sgpr36
                                        ; implicit-def: $sgpr31
	s_cbranch_scc0 .LBB40_25
; %bb.24:                               ;   in Loop: Header=BB40_22 Depth=2
	s_add_i32 s19, s23, s17
	s_lshl_b32 s31, s1, 2
	v_mov_b32_e32 v0, s31
	v_mov_b32_e32 v1, s19
	v_mov_b32_e32 v2, s30
	ds_write2_b32 v0, v2, v1 offset1:32
	s_add_i32 s31, s23, 1
	s_add_i32 s36, s30, 1
	;; [unrolled: 1-line block ×3, first 2 shown]
	s_mov_b64 s[34:35], 0
.LBB40_25:                              ;   in Loop: Header=BB40_22 Depth=2
	s_andn2_b64 vcc, exec, s[34:35]
	s_cbranch_vccnz .LBB40_27
; %bb.26:                               ;   in Loop: Header=BB40_22 Depth=2
	s_add_i32 s31, s23, 1
	s_mov_b32 s19, s1
	s_mov_b32 s36, s30
.LBB40_27:                              ;   in Loop: Header=BB40_22 Depth=2
	s_mov_b64 s[34:35], 0
.LBB40_28:                              ;   in Loop: Header=BB40_22 Depth=2
	s_andn2_b64 vcc, exec, s[34:35]
	s_cbranch_vccnz .LBB40_30
; %bb.29:                               ;   in Loop: Header=BB40_22 Depth=2
	s_add_i32 s36, s30, 1
	s_mov_b32 s31, s23
	s_mov_b32 s19, s1
.LBB40_30:                              ;   in Loop: Header=BB40_22 Depth=2
	s_cmp_le_i32 s36, s0
	s_cselect_b64 s[34:35], -1, 0
	s_cmp_le_i32 s29, s28
	s_cselect_b64 s[38:39], -1, 0
	s_and_b64 s[34:35], s[34:35], s[38:39]
	s_and_b64 vcc, exec, s[34:35]
	s_cbranch_vccz .LBB40_32
; %bb.31:                               ;   in Loop: Header=BB40_22 Depth=2
	s_mov_b32 s1, s19
	s_mov_b32 s30, s36
	;; [unrolled: 1-line block ×3, first 2 shown]
	s_branch .LBB40_22
.LBB40_32:                              ;   in Loop: Header=BB40_19 Depth=1
	s_add_u32 s26, s6, s26
	s_addc_u32 s27, s7, s27
	s_waitcnt lgkmcnt(0)
.LBB40_33:                              ;   Parent Loop BB40_19 Depth=1
                                        ; =>  This Inner Loop Header: Depth=2
	global_load_dword v0, v3, s[26:27] sc1
	s_waitcnt vmcnt(0)
	v_cmp_eq_u32_e32 vcc, 0, v0
	s_cbranch_vccnz .LBB40_33
; %bb.34:                               ;   in Loop: Header=BB40_19 Depth=1
	s_ashr_i32 s1, s0, 31
	s_lshl_b64 s[0:1], s[0:1], 3
	s_add_u32 s0, s20, s0
	s_addc_u32 s1, s21, s1
	buffer_inv sc1
	global_load_dwordx2 v[0:1], v3, s[0:1]
	s_cmp_lt_i32 s19, 2
	s_waitcnt vmcnt(0)
	ds_write_b64 v6, v[0:1]
	s_waitcnt lgkmcnt(0)
	s_cbranch_scc1 .LBB40_39
; %bb.35:                               ;   in Loop: Header=BB40_19 Depth=1
	s_add_i32 s1, s19, -2
	s_add_i32 s0, s19, -1
	s_cmp_lt_u32 s1, 7
	s_cbranch_scc1 .LBB40_40
; %bb.36:                               ;   in Loop: Header=BB40_19 Depth=1
	s_and_b32 s1, s0, -8
	s_mov_b32 s19, 0
	v_mov_b32_e32 v1, 0
	v_mov_b32_e32 v0, 0
	s_mov_b32 s23, 0
.LBB40_37:                              ;   Parent Loop BB40_19 Depth=1
                                        ; =>  This Inner Loop Header: Depth=2
	v_mov_b32_e32 v2, s19
	ds_read_b128 v[8:11], v2
	ds_read_b128 v[12:15], v2 offset:128
	ds_read_b128 v[16:19], v2 offset:16
	;; [unrolled: 1-line block ×3, first 2 shown]
	s_add_i32 s23, s23, 8
	s_waitcnt lgkmcnt(3)
	v_ashrrev_i32_e32 v25, 31, v8
	v_mov_b32_e32 v24, v8
	v_ashrrev_i32_e32 v29, 31, v9
	v_mov_b32_e32 v28, v9
	s_waitcnt lgkmcnt(2)
	v_ashrrev_i32_e32 v9, 31, v13
	v_mov_b32_e32 v8, v13
	v_ashrrev_i32_e32 v27, 31, v12
	v_mov_b32_e32 v26, v12
	;; [unrolled: 2-line block ×6, first 2 shown]
	s_waitcnt lgkmcnt(1)
	v_ashrrev_i32_e32 v15, 31, v16
	v_mov_b32_e32 v14, v16
	s_waitcnt lgkmcnt(0)
	v_ashrrev_i32_e32 v35, 31, v20
	v_mov_b32_e32 v34, v20
	v_ashrrev_i32_e32 v37, 31, v17
	v_mov_b32_e32 v36, v17
	v_ashrrev_i32_e32 v17, 31, v21
	v_mov_b32_e32 v16, v21
	v_ashrrev_i32_e32 v21, 31, v18
	v_mov_b32_e32 v20, v18
	v_ashrrev_i32_e32 v39, 31, v22
	v_mov_b32_e32 v38, v22
	v_ashrrev_i32_e32 v41, 31, v19
	v_mov_b32_e32 v40, v19
	v_ashrrev_i32_e32 v19, 31, v23
	v_mov_b32_e32 v18, v23
	v_lshlrev_b64 v[22:23], 3, v[24:25]
	v_lshlrev_b64 v[8:9], 3, v[8:9]
	;; [unrolled: 1-line block ×16, first 2 shown]
	v_lshl_add_u64 v[22:23], s[20:21], 0, v[22:23]
	v_lshl_add_u64 v[8:9], s[20:21], 0, v[8:9]
	;; [unrolled: 1-line block ×16, first 2 shown]
	global_load_dwordx2 v[40:41], v[22:23], off
	global_load_dwordx2 v[42:43], v[24:25], off
	;; [unrolled: 1-line block ×15, first 2 shown]
                                        ; kill: killed $vgpr20_vgpr21
                                        ; kill: killed $vgpr8_vgpr9
                                        ; kill: killed $vgpr32_vgpr33
                                        ; kill: killed $vgpr22_vgpr23
                                        ; kill: killed $vgpr10_vgpr11
                                        ; kill: killed $vgpr36_vgpr37
                                        ; kill: killed $vgpr12_vgpr13
                                        ; kill: killed $vgpr34_vgpr35
                                        ; kill: killed $vgpr24_vgpr25
                                        ; kill: killed $vgpr28_vgpr29
                                        ; kill: killed $vgpr16_vgpr17
                                        ; kill: killed $vgpr26_vgpr27
                                        ; kill: killed $vgpr14_vgpr15
                                        ; kill: killed $vgpr18_vgpr19
                                        ; kill: killed $vgpr30_vgpr31
	global_load_dwordx2 v[8:9], v[38:39], off
	s_add_i32 s19, s19, 32
	s_cmp_eq_u32 s1, s23
	s_waitcnt vmcnt(14)
	v_pk_fma_f32 v[0:1], v[40:41], v[42:43], v[0:1] op_sel_hi:[1,0,1]
	s_nop 0
	v_pk_fma_f32 v[0:1], v[40:41], v[42:43], v[0:1] op_sel:[1,1,0] op_sel_hi:[0,1,1] neg_hi:[0,1,0]
	s_waitcnt vmcnt(12)
	v_pk_fma_f32 v[0:1], v[46:47], v[44:45], v[0:1] op_sel_hi:[1,0,1]
	s_nop 0
	v_pk_fma_f32 v[0:1], v[46:47], v[44:45], v[0:1] op_sel:[1,1,0] op_sel_hi:[0,1,1] neg_hi:[0,1,0]
	;; [unrolled: 4-line block ×8, first 2 shown]
	s_cbranch_scc0 .LBB40_37
; %bb.38:                               ;   in Loop: Header=BB40_19 Depth=1
	s_and_b32 s0, s0, 7
	s_cmp_eq_u32 s0, 0
	s_cbranch_scc0 .LBB40_41
	s_branch .LBB40_43
.LBB40_39:                              ;   in Loop: Header=BB40_19 Depth=1
	v_mov_b32_e32 v1, 0
	v_mov_b32_e32 v0, 0
	s_branch .LBB40_43
.LBB40_40:                              ;   in Loop: Header=BB40_19 Depth=1
	s_mov_b32 s19, s18
	s_mov_b32 s1, 0
	v_mov_b64_e32 v[0:1], s[18:19]
	s_and_b32 s0, s0, 7
	s_cmp_eq_u32 s0, 0
	s_cbranch_scc1 .LBB40_43
.LBB40_41:                              ;   in Loop: Header=BB40_19 Depth=1
	s_lshl_b32 s1, s1, 2
.LBB40_42:                              ;   Parent Loop BB40_19 Depth=1
                                        ; =>  This Inner Loop Header: Depth=2
	v_mov_b32_e32 v2, s1
	ds_read2_b32 v[8:9], v2 offset1:32
	s_add_i32 s1, s1, 4
	s_add_i32 s0, s0, -1
	s_cmp_lg_u32 s0, 0
	s_waitcnt lgkmcnt(0)
	v_ashrrev_i32_e32 v11, 31, v8
	v_mov_b32_e32 v10, v8
	v_ashrrev_i32_e32 v13, 31, v9
	v_mov_b32_e32 v12, v9
	v_lshlrev_b64 v[8:9], 3, v[10:11]
	v_lshlrev_b64 v[10:11], 3, v[12:13]
	v_lshl_add_u64 v[10:11], s[20:21], 0, v[10:11]
	v_lshl_add_u64 v[8:9], s[20:21], 0, v[8:9]
	global_load_dwordx2 v[12:13], v[10:11], off
	global_load_dwordx2 v[14:15], v[8:9], off
	s_waitcnt vmcnt(0)
	v_pk_fma_f32 v[0:1], v[14:15], v[12:13], v[0:1] op_sel_hi:[1,0,1]
	s_nop 0
	v_pk_fma_f32 v[0:1], v[14:15], v[12:13], v[0:1] op_sel:[1,1,0] op_sel_hi:[0,1,1] neg_hi:[0,1,0]
	s_cbranch_scc1 .LBB40_42
.LBB40_43:                              ;   in Loop: Header=BB40_19 Depth=1
	ds_write_b64 v5, v[0:1]
	s_waitcnt lgkmcnt(0)
	ds_read_b64 v[0:1], v3 offset:384
	ds_read_b64 v[8:9], v4
	s_waitcnt lgkmcnt(1)
	v_cmp_neq_f32_e32 vcc, 0, v0
	v_cmp_neq_f32_e64 s[0:1], 0, v1
	s_or_b64 s[0:1], vcc, s[0:1]
	s_andn2_b64 vcc, exec, s[0:1]
	s_cbranch_vccz .LBB40_47
; %bb.44:                               ;   in Loop: Header=BB40_19 Depth=1
	v_mbcnt_lo_u32_b32 v0, exec_lo, 0
	v_mbcnt_hi_u32_b32 v0, exec_hi, v0
	v_cmp_ne_u32_e32 vcc, 0, v0
	s_and_b64 s[0:1], vcc, exec
	s_cbranch_scc1 .LBB40_46
; %bb.45:                               ;   in Loop: Header=BB40_19 Depth=1
	v_mov_b32_e32 v0, s33
	global_atomic_smin v3, v0, s[10:11]
.LBB40_46:                              ;   in Loop: Header=BB40_19 Depth=1
	v_mov_b32_e32 v2, 0
	v_mov_b32_e32 v0, 1.0
	s_branch .LBB40_48
.LBB40_47:                              ;   in Loop: Header=BB40_19 Depth=1
	v_cndmask_b32_e64 v0, 1.0, v0, s[0:1]
	v_cndmask_b32_e64 v2, 0, v1, s[0:1]
.LBB40_48:                              ;   in Loop: Header=BB40_19 Depth=1
	v_mul_f32_e32 v1, v2, v2
	v_fmac_f32_e32 v1, v0, v0
	v_div_scale_f32 v10, s[0:1], v1, v1, 1.0
	v_rcp_f32_e32 v12, v10
	v_div_scale_f32 v11, vcc, 1.0, v1, 1.0
	s_waitcnt lgkmcnt(0)
	v_mov_b32_e32 v15, v8
	v_fma_f32 v13, -v10, v12, 1.0
	v_fmac_f32_e32 v12, v13, v12
	v_mul_f32_e32 v13, v11, v12
	v_fma_f32 v14, -v10, v13, v11
	v_fmac_f32_e32 v13, v14, v12
	v_fma_f32 v14, -v10, v13, v11
	ds_read_b64 v[10:11], v5
	v_div_fmas_f32 v12, v14, v12, v13
	v_mov_b32_e32 v14, v9
	v_div_fixup_f32 v12, v12, v1, 1.0
	s_add_i32 s22, s22, 1
	s_waitcnt lgkmcnt(0)
	v_pk_add_f32 v[8:9], v[14:15], v[10:11] op_sel:[0,1] op_sel_hi:[1,0] neg_lo:[0,1] neg_hi:[0,1]
	s_cmp_ge_i32 s22, s16
	v_xor_b32_e32 v10, 0x80000000, v9
	v_mov_b32_e32 v11, v8
	v_pk_mul_f32 v[10:11], v[2:3], v[10:11] op_sel_hi:[0,1]
	v_pk_fma_f32 v[0:1], v[8:9], v[0:1], v[10:11] op_sel_hi:[1,0,1]
	s_cselect_b64 s[0:1], -1, 0
	v_pk_mul_f32 v[0:1], v[12:13], v[0:1] op_sel_hi:[0,1]
	v_mov_b32_e32 v8, v1
	v_mov_b32_e32 v9, v0
	ds_write_b64 v4, v[8:9]
	s_waitcnt lgkmcnt(0)
	ds_read_b64 v[8:9], v4
	ds_read_b64 v[10:11], v7
	s_waitcnt lgkmcnt(0)
	v_pk_fma_f32 v[10:11], v[0:1], v[8:9], v[10:11] op_sel:[1,0,0] op_sel_hi:[0,0,1]
	v_pk_fma_f32 v[0:1], v[0:1], v[8:9], v[10:11] op_sel:[0,1,0] neg_hi:[0,1,0]
	ds_write_b64 v7, v[0:1]
	s_waitcnt lgkmcnt(0)
	ds_read_b64 v[0:1], v4
	s_waitcnt lgkmcnt(0)
	global_store_dwordx2 v3, v[0:1], s[24:25]
	buffer_wbl2 sc1
	s_waitcnt vmcnt(0)
	buffer_inv sc1
	s_and_b64 vcc, exec, s[0:1]
	s_cbranch_vccz .LBB40_19
.LBB40_49:
	s_ashr_i32 s17, s16, 31
	s_lshl_b64 s[0:1], s[16:17], 3
	s_add_u32 s4, s20, s0
	s_addc_u32 s5, s21, s1
	v_mov_b32_e32 v0, 0
	global_load_dwordx2 v[2:3], v0, s[4:5]
	s_waitcnt vmcnt(0)
	ds_write_b64 v0, v[2:3] offset:416
	s_waitcnt lgkmcnt(0)
; %bb.50:
	ds_read2_b64 v[2:5], v0 offset0:52 offset1:54
	s_waitcnt lgkmcnt(0)
	v_sub_f32_e32 v1, v2, v4
	v_sub_f32_e32 v3, v3, v5
	v_cmp_gt_f32_e32 vcc, 0, v1
	s_nop 1
	v_cndmask_b32_e64 v1, v1, -v1, vcc
	v_cmp_gt_f32_e32 vcc, 0, v3
	s_nop 1
	v_cndmask_b32_e64 v2, v3, -v3, vcc
	v_cmp_ngt_f32_e32 vcc, v1, v2
	s_cbranch_vccz .LBB40_53
; %bb.51:
	v_cmp_eq_f32_e32 vcc, 0, v3
	s_cbranch_vccnz .LBB40_70
; %bb.52:
	v_div_scale_f32 v3, s[0:1], v2, v2, v1
	v_rcp_f32_e32 v4, v3
	v_div_scale_f32 v5, vcc, v1, v2, v1
	s_mov_b32 s0, 0xf800000
	v_fma_f32 v6, -v3, v4, 1.0
	v_fmac_f32_e32 v4, v6, v4
	v_mul_f32_e32 v6, v5, v4
	v_fma_f32 v7, -v3, v6, v5
	v_fmac_f32_e32 v6, v7, v4
	v_fma_f32 v3, -v3, v6, v5
	v_div_fmas_f32 v3, v3, v4, v6
	v_div_fixup_f32 v3, v3, v2, v1
	v_fma_f32 v3, v3, v3, 1.0
	v_mul_f32_e32 v4, 0x4f800000, v3
	v_cmp_gt_f32_e32 vcc, s0, v3
	s_nop 1
	v_cndmask_b32_e32 v3, v3, v4, vcc
	v_sqrt_f32_e32 v4, v3
	s_nop 0
	v_add_u32_e32 v5, -1, v4
	v_fma_f32 v6, -v5, v4, v3
	v_cmp_ge_f32_e64 s[0:1], 0, v6
	v_add_u32_e32 v6, 1, v4
	s_nop 0
	v_cndmask_b32_e64 v5, v4, v5, s[0:1]
	v_fma_f32 v4, -v6, v4, v3
	v_cmp_lt_f32_e64 s[0:1], 0, v4
	s_nop 1
	v_cndmask_b32_e64 v4, v5, v6, s[0:1]
	v_mul_f32_e32 v5, 0x37800000, v4
	v_cndmask_b32_e32 v4, v4, v5, vcc
	v_mov_b32_e32 v5, 0x260
	v_cmp_class_f32_e32 vcc, v3, v5
	s_nop 1
	v_cndmask_b32_e32 v3, v4, v3, vcc
	v_mul_f32_e32 v3, v2, v3
	s_cbranch_execz .LBB40_54
	s_branch .LBB40_55
.LBB40_53:
                                        ; implicit-def: $vgpr3
.LBB40_54:
	v_div_scale_f32 v3, s[0:1], v1, v1, v2
	v_rcp_f32_e32 v4, v3
	v_div_scale_f32 v5, vcc, v2, v1, v2
	s_mov_b32 s0, 0xf800000
	v_fma_f32 v6, -v3, v4, 1.0
	v_fmac_f32_e32 v4, v6, v4
	v_mul_f32_e32 v6, v5, v4
	v_fma_f32 v7, -v3, v6, v5
	v_fmac_f32_e32 v6, v7, v4
	v_fma_f32 v3, -v3, v6, v5
	v_div_fmas_f32 v3, v3, v4, v6
	v_div_fixup_f32 v2, v3, v1, v2
	v_fma_f32 v2, v2, v2, 1.0
	v_mul_f32_e32 v3, 0x4f800000, v2
	v_cmp_gt_f32_e32 vcc, s0, v2
	s_nop 1
	v_cndmask_b32_e32 v2, v2, v3, vcc
	v_sqrt_f32_e32 v3, v2
	s_nop 0
	v_add_u32_e32 v4, -1, v3
	v_fma_f32 v5, -v4, v3, v2
	v_cmp_ge_f32_e64 s[0:1], 0, v5
	v_add_u32_e32 v5, 1, v3
	s_nop 0
	v_cndmask_b32_e64 v4, v3, v4, s[0:1]
	v_fma_f32 v3, -v5, v3, v2
	v_cmp_lt_f32_e64 s[0:1], 0, v3
	s_nop 1
	v_cndmask_b32_e64 v3, v4, v5, s[0:1]
	v_mul_f32_e32 v4, 0x37800000, v3
	v_cndmask_b32_e32 v3, v3, v4, vcc
	v_mov_b32_e32 v4, 0x260
	v_cmp_class_f32_e32 vcc, v2, v4
	s_nop 1
	v_cndmask_b32_e32 v2, v3, v2, vcc
	v_mul_f32_e32 v3, v1, v2
.LBB40_55:
	s_mov_b32 s0, 0xf800000
	v_mul_f32_e32 v1, 0x4f800000, v3
	v_cmp_gt_f32_e32 vcc, s0, v3
	s_nop 1
	v_cndmask_b32_e32 v1, v3, v1, vcc
	v_sqrt_f32_e32 v2, v1
	s_nop 0
	v_add_u32_e32 v3, -1, v2
	v_fma_f32 v4, -v3, v2, v1
	v_cmp_ge_f32_e64 s[0:1], 0, v4
	v_add_u32_e32 v4, 1, v2
	s_nop 0
	v_cndmask_b32_e64 v3, v2, v3, s[0:1]
	v_fma_f32 v2, -v4, v2, v1
	v_cmp_lt_f32_e64 s[0:1], 0, v2
	s_nop 1
	v_cndmask_b32_e64 v2, v3, v4, s[0:1]
	v_mul_f32_e32 v3, 0x37800000, v2
	v_cndmask_b32_e32 v2, v2, v3, vcc
	v_mov_b32_e32 v3, 0x260
	v_cmp_class_f32_e32 vcc, v1, v3
	v_mov_b32_e32 v3, 0
	s_nop 0
	v_cndmask_b32_e32 v2, v2, v1, vcc
	ds_write_b64 v3, v[2:3] offset:416
; %bb.56:
	s_waitcnt lgkmcnt(0)
	ds_read_b64 v[0:1], v0 offset:416
	s_cmp_lg_u32 s18, 0
	s_cselect_b64 s[12:13], -1, 0
	s_waitcnt lgkmcnt(0)
	v_cmp_neq_f32_e32 vcc, 0, v0
	v_cmp_neq_f32_e64 s[0:1], 0, v1
	s_or_b64 s[0:1], vcc, s[0:1]
	s_or_b64 s[12:13], s[0:1], s[12:13]
	s_and_b64 vcc, exec, s[12:13]
	s_cbranch_vccnz .LBB40_60
; %bb.57:
	v_mbcnt_lo_u32_b32 v0, exec_lo, 0
	v_mbcnt_hi_u32_b32 v0, exec_hi, v0
	v_cmp_ne_u32_e32 vcc, 0, v0
	s_and_b64 s[0:1], vcc, exec
	s_cbranch_scc1 .LBB40_59
; %bb.58:
	s_add_i32 s0, s8, s9
	v_mov_b32_e32 v0, 0
	v_mov_b32_e32 v1, s0
	global_atomic_smin v0, v1, s[10:11]
.LBB40_59:
	v_mov_b32_e32 v2, 0
	v_mov_b32_e32 v0, 1.0
	s_cbranch_execz .LBB40_61
	s_branch .LBB40_62
.LBB40_60:
	v_cndmask_b32_e64 v0, 1.0, v0, s[0:1]
	v_cndmask_b32_e64 v2, 0, v1, s[0:1]
	s_cbranch_execnz .LBB40_62
.LBB40_61:
	v_mul_f32_e32 v1, v2, v2
	v_fmac_f32_e32 v1, v0, v0
	v_div_scale_f32 v3, s[0:1], v1, v1, 1.0
	v_rcp_f32_e32 v8, v3
	v_div_scale_f32 v10, vcc, 1.0, v1, 1.0
	v_mov_b32_e32 v9, 0x1a0
	v_fma_f32 v4, -v3, v8, 1.0
	v_fmac_f32_e32 v8, v4, v8
	v_mul_f32_e32 v11, v10, v8
	v_fma_f32 v4, -v3, v11, v10
	v_fmac_f32_e32 v11, v4, v8
	v_mov_b32_e32 v12, 0x1b0
	ds_read_b64 v[4:5], v9
	ds_read_b64 v[6:7], v12
	v_fma_f32 v3, -v3, v11, v10
	v_div_fmas_f32 v3, v3, v8, v11
	v_div_fixup_f32 v8, v3, v1, 1.0
	s_waitcnt lgkmcnt(0)
	v_pk_add_f32 v[4:5], v[4:5], v[6:7] op_sel:[1,1] op_sel_hi:[0,0] neg_lo:[0,1] neg_hi:[0,1]
	v_xor_b32_e32 v6, 0x80000000, v5
	v_mov_b32_e32 v7, v4
	v_pk_mul_f32 v[2:3], v[2:3], v[6:7] op_sel_hi:[0,1]
	v_pk_fma_f32 v[0:1], v[4:5], v[0:1], v[2:3] op_sel_hi:[1,0,1]
	s_nop 0
	v_pk_mul_f32 v[0:1], v[8:9], v[0:1] op_sel_hi:[0,1]
	v_mov_b32_e32 v2, v1
	v_mov_b32_e32 v3, v0
	ds_write_b64 v9, v[2:3]
	v_mov_b32_e32 v2, 0
	s_waitcnt lgkmcnt(0)
	ds_read_b64 v[2:3], v2 offset:416
	ds_read_b64 v[4:5], v12
	s_waitcnt lgkmcnt(0)
	v_pk_fma_f32 v[4:5], v[0:1], v[2:3], v[4:5] op_sel:[1,0,0] op_sel_hi:[0,0,1]
	v_pk_fma_f32 v[0:1], v[0:1], v[2:3], v[4:5] op_sel:[0,1,0] neg_hi:[0,1,0]
	ds_write_b64 v12, v[0:1]
.LBB40_62:
	v_mov_b32_e32 v0, 0x1a0
	s_waitcnt lgkmcnt(0)
	ds_read_b64 v[0:1], v0
	v_mov_b32_e32 v2, 0
	s_cmp_eq_u32 s18, 0
	s_cselect_b64 s[0:1], -1, 0
	s_waitcnt lgkmcnt(0)
	global_store_dwordx2 v2, v[0:1], s[4:5]
	s_branch .LBB40_64
.LBB40_63:
	s_cbranch_execnz .LBB40_67
.LBB40_64:
	s_and_b64 vcc, exec, s[0:1]
	s_cbranch_vccz .LBB40_66
.LBB40_65:
	s_add_u32 s0, s6, s2
	s_addc_u32 s1, s7, s3
	v_mov_b32_e32 v0, 0
	v_mov_b32_e32 v1, 1
	buffer_wbl2 sc1
	s_waitcnt vmcnt(0)
	global_store_dword v0, v1, s[0:1] sc1
.LBB40_66:
	s_endpgm
.LBB40_67:
	v_mbcnt_lo_u32_b32 v0, exec_lo, 0
	v_mbcnt_hi_u32_b32 v0, exec_hi, v0
	v_cmp_ne_u32_e32 vcc, 0, v0
	s_and_b64 s[0:1], vcc, exec
	s_cbranch_scc0 .LBB40_69
; %bb.68:
	s_cbranch_execnz .LBB40_65
	s_branch .LBB40_66
.LBB40_69:
	s_add_i32 s0, s8, s9
	v_mov_b32_e32 v0, 0
	v_mov_b32_e32 v1, s0
	global_atomic_smin v0, v1, s[10:11]
	s_cbranch_execnz .LBB40_65
	s_branch .LBB40_66
.LBB40_70:
	v_mov_b32_e32 v3, 0
	s_cbranch_execz .LBB40_54
	s_branch .LBB40_55
	.section	.rodata,"a",@progbits
	.p2align	6, 0x0
	.amdhsa_kernel _ZN9rocsparseL26bsric0_2_8_unrolled_kernelILi1ELi32ELi1E21rocsparse_complex_numIfEEEv20rocsparse_direction_iiPKiS5_PT2_S5_PiS5_S8_21rocsparse_index_base_
		.amdhsa_group_segment_fixed_size 448
		.amdhsa_private_segment_fixed_size 0
		.amdhsa_kernarg_size 76
		.amdhsa_user_sgpr_count 2
		.amdhsa_user_sgpr_dispatch_ptr 0
		.amdhsa_user_sgpr_queue_ptr 0
		.amdhsa_user_sgpr_kernarg_segment_ptr 1
		.amdhsa_user_sgpr_dispatch_id 0
		.amdhsa_user_sgpr_kernarg_preload_length 0
		.amdhsa_user_sgpr_kernarg_preload_offset 0
		.amdhsa_user_sgpr_private_segment_size 0
		.amdhsa_uses_dynamic_stack 0
		.amdhsa_enable_private_segment 0
		.amdhsa_system_sgpr_workgroup_id_x 1
		.amdhsa_system_sgpr_workgroup_id_y 0
		.amdhsa_system_sgpr_workgroup_id_z 0
		.amdhsa_system_sgpr_workgroup_info 0
		.amdhsa_system_vgpr_workitem_id 0
		.amdhsa_next_free_vgpr 70
		.amdhsa_next_free_sgpr 40
		.amdhsa_accum_offset 72
		.amdhsa_reserve_vcc 1
		.amdhsa_float_round_mode_32 0
		.amdhsa_float_round_mode_16_64 0
		.amdhsa_float_denorm_mode_32 3
		.amdhsa_float_denorm_mode_16_64 3
		.amdhsa_dx10_clamp 1
		.amdhsa_ieee_mode 1
		.amdhsa_fp16_overflow 0
		.amdhsa_tg_split 0
		.amdhsa_exception_fp_ieee_invalid_op 0
		.amdhsa_exception_fp_denorm_src 0
		.amdhsa_exception_fp_ieee_div_zero 0
		.amdhsa_exception_fp_ieee_overflow 0
		.amdhsa_exception_fp_ieee_underflow 0
		.amdhsa_exception_fp_ieee_inexact 0
		.amdhsa_exception_int_div_zero 0
	.end_amdhsa_kernel
	.section	.text._ZN9rocsparseL26bsric0_2_8_unrolled_kernelILi1ELi32ELi1E21rocsparse_complex_numIfEEEv20rocsparse_direction_iiPKiS5_PT2_S5_PiS5_S8_21rocsparse_index_base_,"axG",@progbits,_ZN9rocsparseL26bsric0_2_8_unrolled_kernelILi1ELi32ELi1E21rocsparse_complex_numIfEEEv20rocsparse_direction_iiPKiS5_PT2_S5_PiS5_S8_21rocsparse_index_base_,comdat
.Lfunc_end40:
	.size	_ZN9rocsparseL26bsric0_2_8_unrolled_kernelILi1ELi32ELi1E21rocsparse_complex_numIfEEEv20rocsparse_direction_iiPKiS5_PT2_S5_PiS5_S8_21rocsparse_index_base_, .Lfunc_end40-_ZN9rocsparseL26bsric0_2_8_unrolled_kernelILi1ELi32ELi1E21rocsparse_complex_numIfEEEv20rocsparse_direction_iiPKiS5_PT2_S5_PiS5_S8_21rocsparse_index_base_
                                        ; -- End function
	.set _ZN9rocsparseL26bsric0_2_8_unrolled_kernelILi1ELi32ELi1E21rocsparse_complex_numIfEEEv20rocsparse_direction_iiPKiS5_PT2_S5_PiS5_S8_21rocsparse_index_base_.num_vgpr, 70
	.set _ZN9rocsparseL26bsric0_2_8_unrolled_kernelILi1ELi32ELi1E21rocsparse_complex_numIfEEEv20rocsparse_direction_iiPKiS5_PT2_S5_PiS5_S8_21rocsparse_index_base_.num_agpr, 0
	.set _ZN9rocsparseL26bsric0_2_8_unrolled_kernelILi1ELi32ELi1E21rocsparse_complex_numIfEEEv20rocsparse_direction_iiPKiS5_PT2_S5_PiS5_S8_21rocsparse_index_base_.numbered_sgpr, 40
	.set _ZN9rocsparseL26bsric0_2_8_unrolled_kernelILi1ELi32ELi1E21rocsparse_complex_numIfEEEv20rocsparse_direction_iiPKiS5_PT2_S5_PiS5_S8_21rocsparse_index_base_.num_named_barrier, 0
	.set _ZN9rocsparseL26bsric0_2_8_unrolled_kernelILi1ELi32ELi1E21rocsparse_complex_numIfEEEv20rocsparse_direction_iiPKiS5_PT2_S5_PiS5_S8_21rocsparse_index_base_.private_seg_size, 0
	.set _ZN9rocsparseL26bsric0_2_8_unrolled_kernelILi1ELi32ELi1E21rocsparse_complex_numIfEEEv20rocsparse_direction_iiPKiS5_PT2_S5_PiS5_S8_21rocsparse_index_base_.uses_vcc, 1
	.set _ZN9rocsparseL26bsric0_2_8_unrolled_kernelILi1ELi32ELi1E21rocsparse_complex_numIfEEEv20rocsparse_direction_iiPKiS5_PT2_S5_PiS5_S8_21rocsparse_index_base_.uses_flat_scratch, 0
	.set _ZN9rocsparseL26bsric0_2_8_unrolled_kernelILi1ELi32ELi1E21rocsparse_complex_numIfEEEv20rocsparse_direction_iiPKiS5_PT2_S5_PiS5_S8_21rocsparse_index_base_.has_dyn_sized_stack, 0
	.set _ZN9rocsparseL26bsric0_2_8_unrolled_kernelILi1ELi32ELi1E21rocsparse_complex_numIfEEEv20rocsparse_direction_iiPKiS5_PT2_S5_PiS5_S8_21rocsparse_index_base_.has_recursion, 0
	.set _ZN9rocsparseL26bsric0_2_8_unrolled_kernelILi1ELi32ELi1E21rocsparse_complex_numIfEEEv20rocsparse_direction_iiPKiS5_PT2_S5_PiS5_S8_21rocsparse_index_base_.has_indirect_call, 0
	.section	.AMDGPU.csdata,"",@progbits
; Kernel info:
; codeLenInByte = 4084
; TotalNumSgprs: 46
; NumVgprs: 70
; NumAgprs: 0
; TotalNumVgprs: 70
; ScratchSize: 0
; MemoryBound: 0
; FloatMode: 240
; IeeeMode: 1
; LDSByteSize: 448 bytes/workgroup (compile time only)
; SGPRBlocks: 5
; VGPRBlocks: 8
; NumSGPRsForWavesPerEU: 46
; NumVGPRsForWavesPerEU: 70
; AccumOffset: 72
; Occupancy: 7
; WaveLimiterHint : 1
; COMPUTE_PGM_RSRC2:SCRATCH_EN: 0
; COMPUTE_PGM_RSRC2:USER_SGPR: 2
; COMPUTE_PGM_RSRC2:TRAP_HANDLER: 0
; COMPUTE_PGM_RSRC2:TGID_X_EN: 1
; COMPUTE_PGM_RSRC2:TGID_Y_EN: 0
; COMPUTE_PGM_RSRC2:TGID_Z_EN: 0
; COMPUTE_PGM_RSRC2:TIDIG_COMP_CNT: 0
; COMPUTE_PGM_RSRC3_GFX90A:ACCUM_OFFSET: 17
; COMPUTE_PGM_RSRC3_GFX90A:TG_SPLIT: 0
	.section	.text._ZN9rocsparseL26bsric0_2_8_unrolled_kernelILi4ELi32ELi2E21rocsparse_complex_numIfEEEv20rocsparse_direction_iiPKiS5_PT2_S5_PiS5_S8_21rocsparse_index_base_,"axG",@progbits,_ZN9rocsparseL26bsric0_2_8_unrolled_kernelILi4ELi32ELi2E21rocsparse_complex_numIfEEEv20rocsparse_direction_iiPKiS5_PT2_S5_PiS5_S8_21rocsparse_index_base_,comdat
	.globl	_ZN9rocsparseL26bsric0_2_8_unrolled_kernelILi4ELi32ELi2E21rocsparse_complex_numIfEEEv20rocsparse_direction_iiPKiS5_PT2_S5_PiS5_S8_21rocsparse_index_base_ ; -- Begin function _ZN9rocsparseL26bsric0_2_8_unrolled_kernelILi4ELi32ELi2E21rocsparse_complex_numIfEEEv20rocsparse_direction_iiPKiS5_PT2_S5_PiS5_S8_21rocsparse_index_base_
	.p2align	8
	.type	_ZN9rocsparseL26bsric0_2_8_unrolled_kernelILi4ELi32ELi2E21rocsparse_complex_numIfEEEv20rocsparse_direction_iiPKiS5_PT2_S5_PiS5_S8_21rocsparse_index_base_,@function
_ZN9rocsparseL26bsric0_2_8_unrolled_kernelILi4ELi32ELi2E21rocsparse_complex_numIfEEEv20rocsparse_direction_iiPKiS5_PT2_S5_PiS5_S8_21rocsparse_index_base_: ; @_ZN9rocsparseL26bsric0_2_8_unrolled_kernelILi4ELi32ELi2E21rocsparse_complex_numIfEEEv20rocsparse_direction_iiPKiS5_PT2_S5_PiS5_S8_21rocsparse_index_base_
; %bb.0:
	s_load_dwordx8 s[4:11], s[0:1], 0x28
	s_mov_b32 s3, 0
	s_lshl_b64 s[2:3], s[2:3], 2
	v_and_b32_e32 v8, 0x3ff, v0
	v_bfe_u32 v9, v0, 10, 10
	s_waitcnt lgkmcnt(0)
	s_add_u32 s2, s8, s2
	s_addc_u32 s3, s9, s3
	s_load_dword s16, s[2:3], 0x0
	s_waitcnt lgkmcnt(0)
	s_ashr_i32 s17, s16, 31
	s_lshl_b64 s[8:9], s[16:17], 2
	s_add_u32 s2, s4, s8
	s_addc_u32 s3, s5, s9
	s_load_dword s30, s[2:3], 0x0
	s_load_dword s17, s[0:1], 0x48
	s_waitcnt lgkmcnt(0)
	s_cmp_lg_u32 s30, -1
	s_cbranch_scc0 .LBB41_16
; %bb.1:
	s_load_dwordx4 s[12:15], s[0:1], 0x10
	v_lshlrev_b32_e32 v14, 1, v9
	v_add_u32_e32 v13, v14, v8
	s_waitcnt lgkmcnt(0)
	s_add_u32 s2, s12, s8
	s_addc_u32 s3, s13, s9
	s_load_dword s24, s[2:3], 0x0
	s_waitcnt lgkmcnt(0)
	s_sub_i32 s31, s24, s17
	v_add_u32_e32 v0, s31, v13
	v_cmp_ge_i32_e32 vcc, s30, v0
	s_and_saveexec_b64 s[2:3], vcc
	s_cbranch_execz .LBB41_14
; %bb.2:
	v_add_u32_e32 v1, s24, v13
	v_subrev_u32_e32 v1, s17, v1
	v_add_u32_e32 v1, 4, v1
	s_add_i32 s18, s30, 1
	v_max_i32_e32 v1, s18, v1
	v_not_b32_e32 v2, v8
	v_add3_u32 v1, s17, v1, v2
	v_add_u32_e32 v2, s24, v14
	v_sub_u32_e32 v1, v1, v2
	v_cmp_lt_u32_e32 vcc, 3, v1
	s_mov_b64 s[20:21], -1
	s_and_saveexec_b64 s[18:19], vcc
	s_cbranch_execz .LBB41_11
; %bb.3:
	v_lshrrev_b32_e32 v4, 2, v1
	v_add_u32_e32 v2, -1, v4
	v_add_u32_e32 v1, 4, v0
	v_lshrrev_b32_e32 v3, 1, v2
	v_add_u32_e32 v5, 1, v3
	v_cmp_lt_u32_e32 vcc, 13, v2
	v_mov_b64_e32 v[2:3], v[0:1]
	s_and_saveexec_b64 s[20:21], vcc
	s_cbranch_execz .LBB41_7
; %bb.4:
	v_and_b32_e32 v6, -8, v5
	s_mov_b64 s[22:23], 0
	v_mov_b64_e32 v[2:3], v[0:1]
.LBB41_5:                               ; =>This Inner Loop Header: Depth=1
	v_ashrrev_i32_e32 v17, 31, v2
	v_mov_b32_e32 v16, v2
	v_ashrrev_i32_e32 v11, 31, v3
	v_mov_b32_e32 v10, v3
	v_add_u32_e32 v18, 8, v2
	v_add_u32_e32 v20, 8, v3
	v_lshl_add_u64 v[16:17], v[16:17], 2, s[14:15]
	v_add_u32_e32 v22, 16, v2
	v_add_u32_e32 v24, 16, v3
	;; [unrolled: 1-line block ×12, first 2 shown]
	v_lshl_add_u64 v[10:11], v[10:11], 2, s[14:15]
	v_ashrrev_i32_e32 v21, 31, v20
	v_ashrrev_i32_e32 v19, 31, v18
	global_load_dword v1, v[16:17], off
	global_load_dword v7, v[10:11], off
	v_ashrrev_i32_e32 v25, 31, v24
	v_ashrrev_i32_e32 v23, 31, v22
	;; [unrolled: 1-line block ×12, first 2 shown]
	v_lshl_add_u64 v[10:11], v[18:19], 2, s[14:15]
	v_lshl_add_u64 v[16:17], v[20:21], 2, s[14:15]
	;; [unrolled: 1-line block ×13, first 2 shown]
	global_load_dword v12, v[16:17], off
	v_lshl_add_u64 v[16:17], v[44:45], 2, s[14:15]
	global_load_dword v15, v[10:11], off
	global_load_dword v19, v[48:49], off
	;; [unrolled: 1-line block ×13, first 2 shown]
	v_subrev_u32_e32 v11, s31, v2
	v_add_u32_e32 v6, -8, v6
	v_subrev_u32_e32 v10, s31, v3
	v_lshlrev_b32_e32 v11, 2, v11
	v_subrev_u32_e32 v17, s31, v18
	v_cmp_eq_u32_e32 vcc, 0, v6
	v_add_u32_e32 v3, 64, v3
	v_add_u32_e32 v2, 64, v2
	v_lshlrev_b32_e32 v10, 2, v10
	v_subrev_u32_e32 v16, s31, v20
	v_subrev_u32_e32 v18, s31, v24
	;; [unrolled: 1-line block ×13, first 2 shown]
	v_lshlrev_b32_e32 v17, 2, v17
	s_or_b64 s[22:23], vcc, s[22:23]
	v_lshlrev_b32_e32 v16, 2, v16
	v_lshlrev_b32_e32 v20, 2, v20
	;; [unrolled: 1-line block ×13, first 2 shown]
	s_waitcnt vmcnt(15)
	v_subrev_u32_e32 v1, s17, v1
	s_waitcnt vmcnt(14)
	v_subrev_u32_e32 v7, s17, v7
	ds_write_b32 v11, v1 offset:256
	ds_write_b32 v10, v7 offset:256
	s_waitcnt vmcnt(12)
	v_subrev_u32_e32 v7, s17, v15
	s_waitcnt vmcnt(11)
	v_subrev_u32_e32 v10, s17, v19
	s_waitcnt vmcnt(10)
	v_subrev_u32_e32 v11, s17, v21
	s_waitcnt vmcnt(8)
	v_subrev_u32_e32 v15, s17, v25
	s_waitcnt vmcnt(7)
	v_subrev_u32_e32 v19, s17, v27
	s_waitcnt vmcnt(6)
	v_subrev_u32_e32 v21, s17, v29
	s_waitcnt vmcnt(4)
	v_subrev_u32_e32 v25, s17, v33
	s_waitcnt vmcnt(3)
	v_subrev_u32_e32 v27, s17, v35
	v_subrev_u32_e32 v1, s17, v12
	v_subrev_u32_e32 v12, s17, v23
	;; [unrolled: 1-line block ×3, first 2 shown]
	s_waitcnt vmcnt(2)
	v_subrev_u32_e32 v29, s17, v37
	s_waitcnt vmcnt(1)
	v_subrev_u32_e32 v31, s17, v39
	;; [unrolled: 2-line block ×3, first 2 shown]
	ds_write_b32 v17, v7 offset:256
	ds_write_b32 v16, v1 offset:256
	;; [unrolled: 1-line block ×14, first 2 shown]
	s_andn2_b64 exec, exec, s[22:23]
	s_cbranch_execnz .LBB41_5
; %bb.6:
	s_or_b64 exec, exec, s[22:23]
.LBB41_7:
	s_or_b64 exec, exec, s[20:21]
	v_and_b32_e32 v1, 7, v5
	v_cmp_ne_u32_e32 vcc, 0, v1
	s_and_saveexec_b64 s[20:21], vcc
	s_cbranch_execz .LBB41_10
; %bb.8:
	s_mov_b64 s[22:23], 0
.LBB41_9:                               ; =>This Inner Loop Header: Depth=1
	v_ashrrev_i32_e32 v7, 31, v3
	v_mov_b32_e32 v6, v3
	v_ashrrev_i32_e32 v11, 31, v2
	v_mov_b32_e32 v10, v2
	v_lshl_add_u64 v[6:7], v[6:7], 2, s[14:15]
	v_lshl_add_u64 v[10:11], v[10:11], 2, s[14:15]
	global_load_dword v5, v[6:7], off
	global_load_dword v12, v[10:11], off
	v_add_u32_e32 v1, -1, v1
	v_subrev_u32_e32 v7, s31, v2
	v_cmp_eq_u32_e32 vcc, 0, v1
	v_subrev_u32_e32 v6, s31, v3
	v_add_u32_e32 v3, 8, v3
	v_add_u32_e32 v2, 8, v2
	v_lshlrev_b32_e32 v7, 2, v7
	s_or_b64 s[22:23], vcc, s[22:23]
	v_lshlrev_b32_e32 v6, 2, v6
	s_waitcnt vmcnt(1)
	v_subrev_u32_e32 v5, s17, v5
	s_waitcnt vmcnt(0)
	v_subrev_u32_e32 v10, s17, v12
	ds_write_b32 v7, v10 offset:256
	ds_write_b32 v6, v5 offset:256
	s_andn2_b64 exec, exec, s[22:23]
	s_cbranch_execnz .LBB41_9
.LBB41_10:
	s_or_b64 exec, exec, s[20:21]
	v_add_u32_e32 v1, 1, v4
	v_and_b32_e32 v2, 0x7ffffffe, v1
	v_cmp_ne_u32_e32 vcc, v1, v2
	v_lshl_add_u32 v0, v2, 2, v0
	s_orn2_b64 s[20:21], vcc, exec
.LBB41_11:
	s_or_b64 exec, exec, s[18:19]
	s_and_b64 exec, exec, s[20:21]
	s_cbranch_execz .LBB41_14
; %bb.12:
	v_add_u32_e32 v1, s17, v0
	v_subrev_u32_e32 v1, s24, v1
	v_mov_b32_e32 v2, 0x100
	v_lshl_add_u32 v4, v1, 2, v2
	v_ashrrev_i32_e32 v1, 31, v0
	v_lshl_add_u64 v[2:3], v[0:1], 2, s[14:15]
	s_mov_b64 s[18:19], 0
.LBB41_13:                              ; =>This Inner Loop Header: Depth=1
	global_load_dword v1, v[2:3], off
	v_add_u32_e32 v0, 4, v0
	v_cmp_lt_i32_e32 vcc, s30, v0
	v_lshl_add_u64 v[2:3], v[2:3], 0, 16
	s_or_b64 s[18:19], vcc, s[18:19]
	s_waitcnt vmcnt(0)
	v_subrev_u32_e32 v1, s17, v1
	ds_write_b32 v4, v1
	v_add_u32_e32 v4, 16, v4
	s_andn2_b64 exec, exec, s[18:19]
	s_cbranch_execnz .LBB41_13
.LBB41_14:
	s_or_b64 exec, exec, s[2:3]
	s_load_dwordx2 s[18:19], s[0:1], 0x20
	v_mov_b32_e32 v0, 0x210
	v_mad_u32_u24 v11, v9, 24, v0
	v_mov_b32_e32 v0, 0
	v_lshl_add_u32 v10, v8, 3, v11
	v_mov_b32_e32 v1, v0
	s_cmp_lt_i32 s31, s30
	ds_write_b64 v10, v[0:1]
	s_waitcnt lgkmcnt(0)
	s_cbranch_scc1 .LBB41_18
; %bb.15:
	v_lshl_add_u32 v15, v8, 1, v9
	v_or_b32_e32 v12, v8, v9
	s_load_dword s33, s[0:1], 0x0
	s_cbranch_execz .LBB41_19
	s_branch .LBB41_64
.LBB41_16:
	s_cbranch_execnz .LBB41_95
.LBB41_17:
	s_endpgm
.LBB41_18:
                                        ; implicit-def: $vgpr15
                                        ; implicit-def: $vgpr12
	s_load_dword s33, s[0:1], 0x0
.LBB41_19:
	s_waitcnt lgkmcnt(0)
	s_cmp_lg_u32 s33, 0
	v_mul_u32_u24_e32 v1, 24, v9
	v_lshlrev_b32_e32 v2, 3, v8
	s_movk_i32 s0, 0x180
	s_cselect_b64 s[20:21], -1, 0
	s_cmp_eq_u32 s33, 0
	v_lshlrev_b32_e32 v16, 1, v8
	v_mov_b32_e32 v0, 0x1e0
	v_add3_u32 v19, v1, v2, s0
	v_mov_b32_e32 v1, 0x1b0
	v_add_u32_e32 v15, v16, v9
	v_mad_u32_u24 v17, v9, 24, v0
	v_mad_u32_u24 v22, v9, 24, v1
	v_or_b32_e32 v12, v8, v9
	s_cselect_b64 vcc, -1, 0
	v_add_u32_e32 v18, v17, v2
	v_add_u32_e32 v20, 2, v8
	;; [unrolled: 1-line block ×4, first 2 shown]
	v_mad_u32_u24 v24, v8, 24, v0
	v_cmp_ne_u32_e64 s[0:1], 0, v12
	v_cndmask_b32_e32 v25, v15, v13, vcc
	v_mov_b32_e32 v26, 0
	s_mov_b32 s22, s31
	s_branch .LBB41_22
.LBB41_20:                              ;   in Loop: Header=BB41_22 Depth=1
	s_or_b64 exec, exec, s[24:25]
	v_mov_b32_e32 v4, 0
	v_mov_b32_e32 v2, 1.0
.LBB41_21:                              ;   in Loop: Header=BB41_22 Depth=1
	s_or_b64 exec, exec, s[2:3]
	v_mul_f32_e32 v3, v4, v4
	v_fmac_f32_e32 v3, v2, v2
	v_div_scale_f32 v5, s[2:3], v3, v3, 1.0
	v_rcp_f32_e32 v27, v5
	v_div_scale_f32 v34, vcc, 1.0, v3, 1.0
	s_add_i32 s22, s22, 1
	v_fma_f32 v28, -v5, v27, 1.0
	v_fmac_f32_e32 v27, v28, v27
	v_mul_f32_e32 v35, v34, v27
	v_fma_f32 v28, -v5, v35, v34
	v_fmac_f32_e32 v35, v28, v27
	ds_read_b64 v[28:29], v17
	ds_read_b64 v[30:31], v26 offset:408
	ds_read_b64 v[32:33], v22 offset:8
	v_fma_f32 v5, -v5, v35, v34
	v_div_fmas_f32 v5, v5, v27, v35
	v_div_fixup_f32 v34, v5, v3, 1.0
	s_cmp_ge_i32 s22, s30
	s_waitcnt lgkmcnt(0)
	v_pk_fma_f32 v[32:33], v[30:31], v[28:29], v[32:33] op_sel_hi:[1,0,1]
	s_cselect_b64 s[2:3], -1, 0
	v_pk_fma_f32 v[28:29], v[30:31], v[28:29], v[32:33] op_sel:[0,1,1] op_sel_hi:[1,1,0] neg_lo:[0,1,0]
	v_mov_b32_e32 v30, v7
	v_mov_b32_e32 v31, v6
	v_pk_add_f32 v[6:7], v[30:31], v[28:29] neg_lo:[0,1] neg_hi:[0,1]
	s_nop 0
	v_xor_b32_e32 v28, 0x80000000, v7
	v_mov_b32_e32 v29, v6
	v_pk_mul_f32 v[4:5], v[4:5], v[28:29] op_sel_hi:[0,1]
	v_pk_fma_f32 v[2:3], v[6:7], v[2:3], v[4:5] op_sel_hi:[1,0,1]
	s_nop 0
	v_pk_mul_f32 v[2:3], v[34:35], v[2:3] op_sel_hi:[0,1]
	v_pk_mov_b32 v[4:5], v[2:3], v[2:3] op_sel:[1,0]
	ds_write_b64 v17, v[4:5] offset:8
	s_waitcnt lgkmcnt(0)
	ds_read_b64 v[4:5], v24 offset:8
	ds_read_b64 v[6:7], v10
	s_waitcnt lgkmcnt(0)
	v_pk_fma_f32 v[6:7], v[2:3], v[4:5], v[6:7] op_sel:[1,0,0] op_sel_hi:[0,0,1]
	v_pk_fma_f32 v[2:3], v[2:3], v[4:5], v[6:7] op_sel:[0,1,0] neg_hi:[0,1,0]
	ds_write_b64 v10, v[2:3]
	s_waitcnt lgkmcnt(0)
	ds_read_b64 v[2:3], v18
	s_waitcnt lgkmcnt(0)
	global_store_dwordx2 v[0:1], v[2:3], off
	buffer_wbl2 sc1
	s_waitcnt vmcnt(0)
	buffer_inv sc1
	s_and_b64 vcc, exec, s[2:3]
	s_cbranch_vccnz .LBB41_64
.LBB41_22:                              ; =>This Loop Header: Depth=1
                                        ;     Child Loop BB41_25 Depth 2
                                        ;     Child Loop BB41_36 Depth 2
	;; [unrolled: 1-line block ×3, first 2 shown]
	s_ashr_i32 s23, s22, 31
	s_lshl_b64 s[2:3], s[22:23], 2
	s_add_u32 s2, s14, s2
	s_addc_u32 s3, s15, s3
	s_load_dword s23, s[2:3], 0x0
	s_waitcnt lgkmcnt(0)
	s_sub_i32 s24, s23, s17
	s_ashr_i32 s25, s24, 31
	s_lshl_b64 s[2:3], s[24:25], 2
	s_add_u32 s26, s4, s2
	s_addc_u32 s27, s5, s3
	s_load_dword s25, s[26:27], 0x0
	s_waitcnt lgkmcnt(0)
	s_cmp_eq_u32 s25, -1
	s_cbranch_scc1 .LBB41_49
; %bb.23:                               ;   in Loop: Header=BB41_22 Depth=1
	v_lshl_add_u32 v0, s22, 2, v25
	v_ashrrev_i32_e32 v1, 31, v0
	v_lshl_add_u64 v[0:1], v[0:1], 3, s[18:19]
	global_load_dwordx2 v[2:3], v[0:1], off
	s_add_u32 s26, s12, s2
	s_addc_u32 s27, s13, s3
	s_load_dword s26, s[26:27], 0x0
	ds_read_b32 v4, v26 offset:256
	s_mov_b32 s27, 0
	s_waitcnt lgkmcnt(0)
	s_sub_i32 s26, s26, s17
	s_cmp_le_i32 s26, s25
	v_cmp_ge_i32_e32 vcc, s24, v4
	s_cselect_b64 s[28:29], -1, 0
	s_and_b64 s[28:29], s[28:29], vcc
	s_andn2_b64 vcc, exec, s[28:29]
	s_waitcnt vmcnt(0)
	ds_write_b64 v18, v[2:3]
	s_cbranch_vccnz .LBB41_35
; %bb.24:                               ;   in Loop: Header=BB41_22 Depth=1
	s_mov_b32 s34, 0
	s_mov_b32 s35, 0
.LBB41_25:                              ;   Parent Loop BB41_22 Depth=1
                                        ; =>  This Inner Loop Header: Depth=2
	s_ashr_i32 s27, s26, 31
	s_lshl_b64 s[28:29], s[26:27], 2
	s_add_u32 s28, s14, s28
	s_addc_u32 s29, s15, s29
	s_load_dword s27, s[28:29], 0x0
	s_lshl_b32 s28, s35, 2
	v_mov_b32_e32 v2, s28
	ds_read_b32 v2, v2 offset:256
	s_mov_b64 s[28:29], -1
	s_waitcnt lgkmcnt(0)
	s_sub_i32 s39, s27, s17
                                        ; implicit-def: $sgpr27
                                        ; implicit-def: $sgpr38
                                        ; implicit-def: $sgpr37
	v_cmp_ge_i32_e32 vcc, s39, v2
	v_readfirstlane_b32 s36, v2
	s_cbranch_vccz .LBB41_31
; %bb.26:                               ;   in Loop: Header=BB41_25 Depth=2
	s_cmp_le_i32 s39, s36
                                        ; implicit-def: $sgpr27
                                        ; implicit-def: $sgpr38
                                        ; implicit-def: $sgpr37
	s_cbranch_scc0 .LBB41_28
; %bb.27:                               ;   in Loop: Header=BB41_25 Depth=2
	s_add_i32 s27, s35, s31
	s_lshl_b32 s27, s27, 2
	s_lshl_b32 s28, s34, 2
	v_mov_b32_e32 v3, s27
	s_lshl_b32 s27, s26, 2
	v_mov_b32_e32 v2, s28
	v_mov_b32_e32 v4, s27
	ds_write2_b32 v2, v4, v3 offset1:32
	s_add_i32 s37, s35, 1
	s_add_i32 s38, s26, 1
	;; [unrolled: 1-line block ×3, first 2 shown]
	s_mov_b64 s[28:29], 0
.LBB41_28:                              ;   in Loop: Header=BB41_25 Depth=2
	s_andn2_b64 vcc, exec, s[28:29]
	s_cbranch_vccnz .LBB41_30
; %bb.29:                               ;   in Loop: Header=BB41_25 Depth=2
	s_add_i32 s37, s35, 1
	s_mov_b32 s27, s34
	s_mov_b32 s38, s26
.LBB41_30:                              ;   in Loop: Header=BB41_25 Depth=2
	s_mov_b64 s[28:29], 0
.LBB41_31:                              ;   in Loop: Header=BB41_25 Depth=2
	s_andn2_b64 vcc, exec, s[28:29]
	s_cbranch_vccnz .LBB41_33
; %bb.32:                               ;   in Loop: Header=BB41_25 Depth=2
	s_add_i32 s38, s26, 1
	s_mov_b32 s37, s35
	s_mov_b32 s27, s34
.LBB41_33:                              ;   in Loop: Header=BB41_25 Depth=2
	s_cmp_le_i32 s38, s25
	s_cselect_b64 s[28:29], -1, 0
	s_cmp_le_i32 s36, s24
	s_cselect_b64 s[34:35], -1, 0
	s_and_b64 s[28:29], s[28:29], s[34:35]
	s_and_b64 vcc, exec, s[28:29]
	s_cbranch_vccz .LBB41_35
; %bb.34:                               ;   in Loop: Header=BB41_25 Depth=2
	s_mov_b32 s34, s27
	s_mov_b32 s26, s38
	;; [unrolled: 1-line block ×3, first 2 shown]
	s_branch .LBB41_25
.LBB41_35:                              ;   in Loop: Header=BB41_22 Depth=1
	s_add_u32 s2, s6, s2
	s_addc_u32 s3, s7, s3
	s_waitcnt lgkmcnt(0)
.LBB41_36:                              ;   Parent Loop BB41_22 Depth=1
                                        ; =>  This Inner Loop Header: Depth=2
	global_load_dword v2, v26, s[2:3] sc1
	s_waitcnt vmcnt(0)
	v_cmp_eq_u32_e32 vcc, 0, v2
	s_cbranch_vccnz .LBB41_36
; %bb.37:                               ;   in Loop: Header=BB41_22 Depth=1
	v_lshl_add_u32 v2, s25, 2, v25
	v_ashrrev_i32_e32 v3, 31, v2
	v_lshl_add_u64 v[2:3], v[2:3], 3, s[18:19]
	buffer_inv sc1
	global_load_dwordx2 v[4:5], v[2:3], off
	v_mov_b32_e32 v3, 0
	s_cmp_lt_i32 s27, 2
	v_mov_b32_e32 v2, 0
	s_waitcnt vmcnt(0)
	ds_write_b64 v19, v[4:5]
	s_waitcnt lgkmcnt(0)
	s_cbranch_scc1 .LBB41_57
; %bb.38:                               ;   in Loop: Header=BB41_22 Depth=1
	s_add_i32 s25, s27, -1
	s_cmp_eq_u32 s27, 2
	s_cbranch_scc1 .LBB41_50
; %bb.39:                               ;   in Loop: Header=BB41_22 Depth=1
	v_mov_b32_e32 v2, 0
	s_and_b32 s24, s25, -2
	s_mov_b32 s26, 0
	s_mov_b32 s27, 0
	v_mov_b32_e32 v3, v2
	s_branch .LBB41_41
.LBB41_40:                              ;   in Loop: Header=BB41_41 Depth=2
	s_add_i32 s27, s27, 2
	s_add_i32 s26, s26, 8
	s_cmp_eq_u32 s24, s27
	s_cbranch_scc1 .LBB41_51
.LBB41_41:                              ;   Parent Loop BB41_22 Depth=1
                                        ; =>  This Inner Loop Header: Depth=2
	v_mov_b32_e32 v4, s26
	s_waitcnt lgkmcnt(0)
	ds_read2_b32 v[6:7], v4 offset1:32
	s_mov_b64 s[2:3], -1
	s_and_b64 vcc, exec, s[20:21]
                                        ; implicit-def: $vgpr4_vgpr5
	s_cbranch_vccz .LBB41_43
; %bb.42:                               ;   in Loop: Header=BB41_41 Depth=2
	s_waitcnt lgkmcnt(0)
	v_add_u32_e32 v28, v7, v9
	v_add_u32_e32 v4, v6, v8
	v_ashrrev_i32_e32 v29, 31, v28
	v_add_u32_e32 v30, v20, v6
	v_ashrrev_i32_e32 v5, 31, v4
	v_lshl_add_u64 v[28:29], v[28:29], 3, s[18:19]
	v_ashrrev_i32_e32 v31, 31, v30
	v_add_u32_e32 v32, v21, v7
	v_lshl_add_u64 v[4:5], v[4:5], 3, s[18:19]
	v_lshl_add_u64 v[30:31], v[30:31], 3, s[18:19]
	v_ashrrev_i32_e32 v33, 31, v32
	global_load_dwordx2 v[34:35], v[28:29], off
	global_load_dwordx2 v[36:37], v[30:31], off
	;; [unrolled: 1-line block ×3, first 2 shown]
	v_lshl_add_u64 v[4:5], v[32:33], 3, s[18:19]
	global_load_dwordx2 v[4:5], v[4:5], off
	s_mov_b64 s[2:3], 0
	s_waitcnt vmcnt(1)
	v_pk_fma_f32 v[28:29], v[38:39], v[34:35], v[2:3] op_sel_hi:[1,0,1]
	s_nop 0
	v_pk_fma_f32 v[28:29], v[38:39], v[34:35], v[28:29] op_sel:[1,1,0] op_sel_hi:[0,1,1] neg_hi:[0,1,0]
	s_waitcnt vmcnt(0)
	v_pk_fma_f32 v[28:29], v[36:37], v[4:5], v[28:29] op_sel_hi:[1,0,1]
	s_nop 0
	v_pk_fma_f32 v[4:5], v[36:37], v[4:5], v[28:29] op_sel:[1,1,0] op_sel_hi:[0,1,1] neg_hi:[0,1,0]
.LBB41_43:                              ;   in Loop: Header=BB41_41 Depth=2
	s_andn2_b64 vcc, exec, s[2:3]
	s_cbranch_vccnz .LBB41_45
; %bb.44:                               ;   in Loop: Header=BB41_41 Depth=2
	s_waitcnt lgkmcnt(0)
	v_add_u32_e32 v4, v6, v16
	v_ashrrev_i32_e32 v5, 31, v4
	v_lshl_add_u64 v[32:33], v[4:5], 3, s[18:19]
	v_add_u32_e32 v4, v7, v14
	v_ashrrev_i32_e32 v5, 31, v4
	v_lshl_add_u64 v[34:35], v[4:5], 3, s[18:19]
	global_load_dwordx4 v[4:7], v[34:35], off
	global_load_dwordx4 v[28:31], v[32:33], off
	s_waitcnt vmcnt(0)
	v_pk_fma_f32 v[2:3], v[28:29], v[4:5], v[2:3] op_sel_hi:[1,0,1]
	s_nop 0
	v_pk_fma_f32 v[2:3], v[28:29], v[4:5], v[2:3] op_sel:[1,1,0] op_sel_hi:[0,1,1] neg_hi:[0,1,0]
	v_pk_fma_f32 v[2:3], v[30:31], v[6:7], v[2:3] op_sel_hi:[1,0,1]
	v_mov_b32_e32 v4, v7
	v_pk_fma_f32 v[4:5], v[30:31], v[4:5], v[2:3] op_sel:[1,0,0] op_sel_hi:[0,0,1] neg_hi:[0,1,0]
.LBB41_45:                              ;   in Loop: Header=BB41_41 Depth=2
	v_mov_b32_e32 v2, s26
	s_waitcnt lgkmcnt(0)
	ds_read2_b32 v[6:7], v2 offset0:1 offset1:33
	s_andn2_b64 vcc, exec, s[20:21]
	s_mov_b64 s[2:3], -1
                                        ; implicit-def: $vgpr3
	s_cbranch_vccnz .LBB41_47
; %bb.46:                               ;   in Loop: Header=BB41_41 Depth=2
	s_waitcnt lgkmcnt(0)
	v_add_u32_e32 v28, v7, v9
	v_add_u32_e32 v2, v6, v8
	v_ashrrev_i32_e32 v29, 31, v28
	v_add_u32_e32 v30, v20, v6
	v_ashrrev_i32_e32 v3, 31, v2
	v_lshl_add_u64 v[28:29], v[28:29], 3, s[18:19]
	v_ashrrev_i32_e32 v31, 31, v30
	v_add_u32_e32 v32, v21, v7
	v_lshl_add_u64 v[2:3], v[2:3], 3, s[18:19]
	v_lshl_add_u64 v[30:31], v[30:31], 3, s[18:19]
	v_ashrrev_i32_e32 v33, 31, v32
	global_load_dwordx2 v[34:35], v[28:29], off
	global_load_dwordx2 v[36:37], v[30:31], off
	;; [unrolled: 1-line block ×3, first 2 shown]
	v_lshl_add_u64 v[2:3], v[32:33], 3, s[18:19]
	global_load_dwordx2 v[2:3], v[2:3], off
	s_mov_b64 s[2:3], 0
	s_waitcnt vmcnt(1)
	v_pk_fma_f32 v[28:29], v[38:39], v[34:35], v[4:5] op_sel_hi:[1,0,1]
	s_nop 0
	v_pk_fma_f32 v[28:29], v[38:39], v[34:35], v[28:29] op_sel:[1,1,0] op_sel_hi:[0,1,1] neg_hi:[0,1,0]
	s_waitcnt vmcnt(0)
	v_pk_fma_f32 v[28:29], v[36:37], v[2:3], v[28:29] op_sel_hi:[1,0,1]
	s_nop 0
	v_pk_fma_f32 v[2:3], v[36:37], v[2:3], v[28:29] op_sel:[1,1,0] op_sel_hi:[0,1,1] neg_hi:[0,1,0]
.LBB41_47:                              ;   in Loop: Header=BB41_41 Depth=2
	s_andn2_b64 vcc, exec, s[2:3]
	s_cbranch_vccnz .LBB41_40
; %bb.48:                               ;   in Loop: Header=BB41_41 Depth=2
	s_waitcnt lgkmcnt(0)
	v_add_u32_e32 v2, v6, v16
	v_add_u32_e32 v6, v7, v14
	v_ashrrev_i32_e32 v7, 31, v6
	v_ashrrev_i32_e32 v3, 31, v2
	v_lshl_add_u64 v[6:7], v[6:7], 3, s[18:19]
	v_lshl_add_u64 v[2:3], v[2:3], 3, s[18:19]
	global_load_dwordx4 v[28:31], v[6:7], off
	global_load_dwordx4 v[32:35], v[2:3], off
	s_waitcnt vmcnt(0)
	v_pk_fma_f32 v[2:3], v[32:33], v[28:29], v[4:5] op_sel_hi:[1,0,1]
	s_nop 0
	v_pk_fma_f32 v[2:3], v[32:33], v[28:29], v[2:3] op_sel:[1,1,0] op_sel_hi:[0,1,1] neg_hi:[0,1,0]
	v_pk_fma_f32 v[2:3], v[34:35], v[30:31], v[2:3] op_sel_hi:[1,0,1]
	v_mov_b32_e32 v4, v31
	v_pk_fma_f32 v[2:3], v[34:35], v[4:5], v[2:3] op_sel:[1,0,0] op_sel_hi:[0,0,1] neg_hi:[0,1,0]
	s_branch .LBB41_40
.LBB41_49:                              ;   in Loop: Header=BB41_22 Depth=1
                                        ; implicit-def: $sgpr22
	s_cbranch_execz .LBB41_22
	s_branch .LBB41_64
.LBB41_50:                              ;   in Loop: Header=BB41_22 Depth=1
	v_mov_b32_e32 v3, 0
	s_mov_b32 s24, 0
	v_mov_b32_e32 v2, v3
.LBB41_51:                              ;   in Loop: Header=BB41_22 Depth=1
	s_bitcmp0_b32 s25, 0
	s_cbranch_scc1 .LBB41_57
; %bb.52:                               ;   in Loop: Header=BB41_22 Depth=1
	s_lshl_b32 s2, s24, 2
	v_mov_b32_e32 v4, s2
	ds_read2_b32 v[4:5], v4 offset1:32
	s_andn2_b64 vcc, exec, s[20:21]
	s_mov_b64 s[2:3], -1
                                        ; implicit-def: $vgpr7
	s_cbranch_vccnz .LBB41_54
; %bb.53:                               ;   in Loop: Header=BB41_22 Depth=1
	s_waitcnt lgkmcnt(0)
	v_add_u32_e32 v28, v5, v9
	v_add_u32_e32 v6, v4, v8
	v_ashrrev_i32_e32 v29, 31, v28
	v_add_u32_e32 v30, v20, v4
	v_ashrrev_i32_e32 v7, 31, v6
	v_lshl_add_u64 v[28:29], v[28:29], 3, s[18:19]
	v_ashrrev_i32_e32 v31, 31, v30
	v_add_u32_e32 v32, v21, v5
	v_lshl_add_u64 v[6:7], v[6:7], 3, s[18:19]
	v_lshl_add_u64 v[30:31], v[30:31], 3, s[18:19]
	v_ashrrev_i32_e32 v33, 31, v32
	global_load_dwordx2 v[34:35], v[28:29], off
	global_load_dwordx2 v[36:37], v[30:31], off
	;; [unrolled: 1-line block ×3, first 2 shown]
	v_lshl_add_u64 v[6:7], v[32:33], 3, s[18:19]
	global_load_dwordx2 v[6:7], v[6:7], off
	s_mov_b64 s[2:3], 0
	s_waitcnt vmcnt(1)
	v_pk_fma_f32 v[28:29], v[38:39], v[34:35], v[2:3] op_sel_hi:[1,0,1]
	s_nop 0
	v_pk_fma_f32 v[28:29], v[38:39], v[34:35], v[28:29] op_sel:[1,1,0] op_sel_hi:[0,1,1] neg_hi:[0,1,0]
	s_waitcnt vmcnt(0)
	v_pk_fma_f32 v[28:29], v[36:37], v[6:7], v[28:29] op_sel_hi:[1,0,1]
	s_nop 0
	v_pk_fma_f32 v[6:7], v[36:37], v[6:7], v[28:29] op_sel:[1,1,0] op_sel_hi:[0,1,1] neg_hi:[0,1,0]
.LBB41_54:                              ;   in Loop: Header=BB41_22 Depth=1
	s_andn2_b64 vcc, exec, s[2:3]
	s_cbranch_vccnz .LBB41_56
; %bb.55:                               ;   in Loop: Header=BB41_22 Depth=1
	s_waitcnt lgkmcnt(0)
	v_add_u32_e32 v6, v4, v16
	v_add_u32_e32 v4, v5, v14
	v_ashrrev_i32_e32 v5, 31, v4
	v_ashrrev_i32_e32 v7, 31, v6
	v_lshl_add_u64 v[34:35], v[4:5], 3, s[18:19]
	v_lshl_add_u64 v[32:33], v[6:7], 3, s[18:19]
	global_load_dwordx4 v[4:7], v[34:35], off
	global_load_dwordx4 v[28:31], v[32:33], off
	s_waitcnt vmcnt(0)
	v_pk_fma_f32 v[2:3], v[28:29], v[4:5], v[2:3] op_sel_hi:[1,0,1]
	s_nop 0
	v_pk_fma_f32 v[2:3], v[28:29], v[4:5], v[2:3] op_sel:[1,1,0] op_sel_hi:[0,1,1] neg_hi:[0,1,0]
	v_pk_fma_f32 v[2:3], v[30:31], v[6:7], v[2:3] op_sel_hi:[1,0,1]
	v_mov_b32_e32 v4, v7
	v_pk_fma_f32 v[6:7], v[30:31], v[4:5], v[2:3] op_sel:[1,0,0] op_sel_hi:[0,0,1] neg_hi:[0,1,0]
.LBB41_56:                              ;   in Loop: Header=BB41_22 Depth=1
	s_waitcnt lgkmcnt(1)
	v_mov_b32_e32 v3, v7
	v_mov_b32_e32 v2, v6
.LBB41_57:                              ;   in Loop: Header=BB41_22 Depth=1
	ds_write_b64 v23, v[2:3]
	s_waitcnt lgkmcnt(0)
	ds_read_b64 v[2:3], v26 offset:384
	ds_read_b64 v[6:7], v17
	s_waitcnt lgkmcnt(1)
	v_cmp_neq_f32_e32 vcc, 0, v2
	v_cmp_neq_f32_e64 s[2:3], 0, v3
	s_or_b64 vcc, vcc, s[2:3]
	v_cndmask_b32_e32 v2, 1.0, v2, vcc
	s_nor_b64 s[24:25], vcc, s[0:1]
	v_cndmask_b32_e32 v4, 0, v3, vcc
	s_and_saveexec_b64 s[2:3], s[24:25]
	s_cbranch_execz .LBB41_61
; %bb.58:                               ;   in Loop: Header=BB41_22 Depth=1
	v_mbcnt_lo_u32_b32 v2, exec_lo, 0
	v_mbcnt_hi_u32_b32 v2, exec_hi, v2
	v_cmp_eq_u32_e32 vcc, 0, v2
	s_and_saveexec_b64 s[24:25], vcc
	s_cbranch_execz .LBB41_60
; %bb.59:                               ;   in Loop: Header=BB41_22 Depth=1
	v_mov_b32_e32 v2, s23
	global_atomic_smin v26, v2, s[10:11]
.LBB41_60:                              ;   in Loop: Header=BB41_22 Depth=1
	s_or_b64 exec, exec, s[24:25]
	v_mov_b32_e32 v4, 0
	v_mov_b32_e32 v2, 1.0
.LBB41_61:                              ;   in Loop: Header=BB41_22 Depth=1
	s_or_b64 exec, exec, s[2:3]
	v_mul_f32_e32 v3, v4, v4
	v_fmac_f32_e32 v3, v2, v2
	v_div_scale_f32 v5, s[2:3], v3, v3, 1.0
	v_rcp_f32_e32 v27, v5
	v_div_scale_f32 v28, vcc, 1.0, v3, 1.0
	s_waitcnt lgkmcnt(0)
	v_mov_b32_e32 v32, v7
	v_fma_f32 v29, -v5, v27, 1.0
	v_fmac_f32_e32 v27, v29, v27
	v_mul_f32_e32 v30, v28, v27
	v_fma_f32 v29, -v5, v30, v28
	v_fmac_f32_e32 v30, v29, v27
	v_fma_f32 v5, -v5, v30, v28
	ds_read_b64 v[28:29], v22
	v_mov_b32_e32 v33, v6
	v_div_fmas_f32 v5, v5, v27, v30
	v_div_fixup_f32 v30, v5, v3, 1.0
	s_waitcnt lgkmcnt(0)
	v_pk_add_f32 v[6:7], v[32:33], v[28:29] op_sel:[0,1] op_sel_hi:[1,0] neg_lo:[0,1] neg_hi:[0,1]
	s_nop 0
	v_xor_b32_e32 v28, 0x80000000, v7
	v_mov_b32_e32 v29, v6
	v_pk_mul_f32 v[4:5], v[4:5], v[28:29] op_sel_hi:[0,1]
	v_pk_fma_f32 v[2:3], v[6:7], v[2:3], v[4:5] op_sel_hi:[1,0,1]
	s_nop 0
	v_pk_mul_f32 v[2:3], v[30:31], v[2:3] op_sel_hi:[0,1]
	v_pk_mov_b32 v[4:5], v[2:3], v[2:3] op_sel:[1,0]
	ds_write_b64 v17, v[4:5]
	s_waitcnt lgkmcnt(0)
	ds_read_b64 v[4:5], v24
	ds_read_b64 v[6:7], v10
	s_waitcnt lgkmcnt(0)
	v_pk_fma_f32 v[6:7], v[2:3], v[4:5], v[6:7] op_sel:[1,0,0] op_sel_hi:[0,0,1]
	v_pk_fma_f32 v[2:3], v[2:3], v[4:5], v[6:7] op_sel:[0,1,0] neg_hi:[0,1,0]
	ds_write_b64 v10, v[2:3]
	s_waitcnt lgkmcnt(0)
	ds_read_b64 v[2:3], v26 offset:416
	ds_read_b64 v[6:7], v17 offset:8
	s_waitcnt lgkmcnt(1)
	v_cmp_neq_f32_e32 vcc, 0, v2
	v_cmp_neq_f32_e64 s[2:3], 0, v3
	s_or_b64 vcc, vcc, s[2:3]
	v_cndmask_b32_e32 v2, 1.0, v2, vcc
	s_nor_b64 s[24:25], vcc, s[0:1]
	v_cndmask_b32_e32 v4, 0, v3, vcc
	s_and_saveexec_b64 s[2:3], s[24:25]
	s_cbranch_execz .LBB41_21
; %bb.62:                               ;   in Loop: Header=BB41_22 Depth=1
	v_mbcnt_lo_u32_b32 v2, exec_lo, 0
	v_mbcnt_hi_u32_b32 v2, exec_hi, v2
	v_cmp_eq_u32_e32 vcc, 0, v2
	s_and_saveexec_b64 s[24:25], vcc
	s_cbranch_execz .LBB41_20
; %bb.63:                               ;   in Loop: Header=BB41_22 Depth=1
	v_mov_b32_e32 v2, s23
	global_atomic_smin v26, v2, s[10:11]
	s_branch .LBB41_20
.LBB41_64:
	s_waitcnt lgkmcnt(0)
	s_cmp_eq_u32 s33, 0
	s_cselect_b64 vcc, -1, 0
	v_cndmask_b32_e32 v0, v15, v13, vcc
	v_lshl_add_u32 v0, s30, 2, v0
	v_ashrrev_i32_e32 v1, 31, v0
	v_lshl_add_u64 v[0:1], v[0:1], 3, s[18:19]
	global_load_dwordx2 v[6:7], v[0:1], off
	v_mov_b32_e32 v2, 0x1e0
	v_mad_u32_u24 v5, v9, 24, v2
	v_cmp_ne_u32_e64 s[2:3], 0, v9
	v_lshl_add_u32 v3, v8, 3, v5
	v_cmp_eq_u32_e32 vcc, 0, v9
	s_waitcnt vmcnt(0)
	ds_write_b64 v3, v[6:7]
	s_waitcnt lgkmcnt(0)
	s_and_saveexec_b64 s[4:5], vcc
	s_cbranch_execz .LBB41_72
; %bb.65:
	v_mov_b32_e32 v6, 0
	ds_read2_b64 v[14:17], v6 offset0:60 offset1:66
	s_waitcnt lgkmcnt(0)
	v_sub_f32_e32 v2, v14, v16
	v_sub_f32_e32 v7, v15, v17
	v_cmp_gt_f32_e32 vcc, 0, v2
	s_nop 1
	v_cndmask_b32_e64 v2, v2, -v2, vcc
	v_cmp_gt_f32_e32 vcc, 0, v7
	s_nop 1
	v_cndmask_b32_e64 v4, v7, -v7, vcc
	v_cmp_ngt_f32_e32 vcc, v2, v4
	s_cbranch_vccz .LBB41_69
; %bb.66:
	v_cmp_eq_f32_e32 vcc, 0, v7
	s_cbranch_vccnz .LBB41_68
; %bb.67:
	v_div_scale_f32 v6, s[0:1], v4, v4, v2
	v_rcp_f32_e32 v7, v6
	v_div_scale_f32 v13, vcc, v2, v4, v2
	s_mov_b32 s0, 0xf800000
	v_fma_f32 v14, -v6, v7, 1.0
	v_fmac_f32_e32 v7, v14, v7
	v_mul_f32_e32 v14, v13, v7
	v_fma_f32 v15, -v6, v14, v13
	v_fmac_f32_e32 v14, v15, v7
	v_fma_f32 v6, -v6, v14, v13
	v_div_fmas_f32 v6, v6, v7, v14
	v_div_fixup_f32 v6, v6, v4, v2
	v_fma_f32 v6, v6, v6, 1.0
	v_mul_f32_e32 v7, 0x4f800000, v6
	v_cmp_gt_f32_e32 vcc, s0, v6
	s_nop 1
	v_cndmask_b32_e32 v6, v6, v7, vcc
	v_sqrt_f32_e32 v7, v6
	s_nop 0
	v_add_u32_e32 v13, -1, v7
	v_fma_f32 v14, -v13, v7, v6
	v_cmp_ge_f32_e64 s[0:1], 0, v14
	v_add_u32_e32 v14, 1, v7
	s_nop 0
	v_cndmask_b32_e64 v13, v7, v13, s[0:1]
	v_fma_f32 v7, -v14, v7, v6
	v_cmp_lt_f32_e64 s[0:1], 0, v7
	s_nop 1
	v_cndmask_b32_e64 v7, v13, v14, s[0:1]
	v_mul_f32_e32 v13, 0x37800000, v7
	v_cndmask_b32_e32 v7, v7, v13, vcc
	v_mov_b32_e32 v13, 0x260
	v_cmp_class_f32_e32 vcc, v6, v13
	s_nop 1
	v_cndmask_b32_e32 v6, v7, v6, vcc
	v_mul_f32_e32 v6, v4, v6
.LBB41_68:
	s_cbranch_execz .LBB41_70
	s_branch .LBB41_71
.LBB41_69:
                                        ; implicit-def: $vgpr6
.LBB41_70:
	v_div_scale_f32 v6, s[0:1], v2, v2, v4
	v_rcp_f32_e32 v7, v6
	v_div_scale_f32 v13, vcc, v4, v2, v4
	s_mov_b32 s0, 0xf800000
	v_fma_f32 v14, -v6, v7, 1.0
	v_fmac_f32_e32 v7, v14, v7
	v_mul_f32_e32 v14, v13, v7
	v_fma_f32 v15, -v6, v14, v13
	v_fmac_f32_e32 v14, v15, v7
	v_fma_f32 v6, -v6, v14, v13
	v_div_fmas_f32 v6, v6, v7, v14
	v_div_fixup_f32 v4, v6, v2, v4
	v_fma_f32 v4, v4, v4, 1.0
	v_mul_f32_e32 v6, 0x4f800000, v4
	v_cmp_gt_f32_e32 vcc, s0, v4
	s_nop 1
	v_cndmask_b32_e32 v4, v4, v6, vcc
	v_sqrt_f32_e32 v6, v4
	s_nop 0
	v_add_u32_e32 v7, -1, v6
	v_fma_f32 v13, -v7, v6, v4
	v_cmp_ge_f32_e64 s[0:1], 0, v13
	v_add_u32_e32 v13, 1, v6
	s_nop 0
	v_cndmask_b32_e64 v7, v6, v7, s[0:1]
	v_fma_f32 v6, -v13, v6, v4
	v_cmp_lt_f32_e64 s[0:1], 0, v6
	s_nop 1
	v_cndmask_b32_e64 v6, v7, v13, s[0:1]
	v_mul_f32_e32 v7, 0x37800000, v6
	v_cndmask_b32_e32 v6, v6, v7, vcc
	v_mov_b32_e32 v7, 0x260
	v_cmp_class_f32_e32 vcc, v4, v7
	s_nop 1
	v_cndmask_b32_e32 v4, v6, v4, vcc
	v_mul_f32_e32 v6, v2, v4
.LBB41_71:
	s_mov_b32 s0, 0xf800000
	v_mul_f32_e32 v2, 0x4f800000, v6
	v_cmp_gt_f32_e32 vcc, s0, v6
	s_nop 1
	v_cndmask_b32_e32 v2, v6, v2, vcc
	v_sqrt_f32_e32 v4, v2
	s_nop 0
	v_add_u32_e32 v6, -1, v4
	v_fma_f32 v7, -v6, v4, v2
	v_cmp_ge_f32_e64 s[0:1], 0, v7
	v_add_u32_e32 v7, 1, v4
	s_nop 0
	v_cndmask_b32_e64 v6, v4, v6, s[0:1]
	v_fma_f32 v4, -v7, v4, v2
	v_cmp_lt_f32_e64 s[0:1], 0, v4
	s_nop 1
	v_cndmask_b32_e64 v4, v6, v7, s[0:1]
	v_mul_f32_e32 v6, 0x37800000, v4
	v_cndmask_b32_e32 v4, v4, v6, vcc
	v_mov_b32_e32 v6, 0x260
	v_cmp_class_f32_e32 vcc, v2, v6
	v_mov_b32_e32 v7, 0
	s_nop 0
	v_cndmask_b32_e32 v6, v4, v2, vcc
	ds_write_b64 v7, v[6:7] offset:480
.LBB41_72:
	s_or_b64 exec, exec, s[4:5]
	v_mov_b32_e32 v2, 0
	s_waitcnt lgkmcnt(0)
	ds_read_b64 v[6:7], v2 offset:480
	v_cmp_ne_u32_e64 s[0:1], 0, v12
	s_add_i32 s14, s16, s17
	s_waitcnt lgkmcnt(0)
	v_cmp_neq_f32_e32 vcc, 0, v6
	v_cmp_neq_f32_e64 s[4:5], 0, v7
	s_or_b64 vcc, vcc, s[4:5]
	v_cndmask_b32_e32 v2, 1.0, v6, vcc
	s_nor_b64 s[12:13], vcc, s[0:1]
	v_cndmask_b32_e32 v4, 0, v7, vcc
	s_and_saveexec_b64 s[4:5], s[12:13]
	s_cbranch_execz .LBB41_76
; %bb.73:
	v_mbcnt_lo_u32_b32 v2, exec_lo, 0
	v_mbcnt_hi_u32_b32 v2, exec_hi, v2
	v_cmp_eq_u32_e32 vcc, 0, v2
	s_and_saveexec_b64 s[12:13], vcc
	s_cbranch_execz .LBB41_75
; %bb.74:
	v_mov_b32_e32 v2, 0
	v_mov_b32_e32 v4, s14
	global_atomic_smin v2, v4, s[10:11]
.LBB41_75:
	s_or_b64 exec, exec, s[12:13]
	v_mov_b32_e32 v4, 0
	v_mov_b32_e32 v2, 1.0
.LBB41_76:
	s_or_b64 exec, exec, s[4:5]
	v_mov_b32_e32 v6, 0x1e0
	v_mad_u32_u24 v6, v8, 24, v6
	s_and_saveexec_b64 s[4:5], s[2:3]
	s_cbranch_execz .LBB41_78
; %bb.77:
	v_mul_f32_e32 v7, v4, v4
	v_fmac_f32_e32 v7, v2, v2
	v_div_scale_f32 v13, s[2:3], v7, v7, 1.0
	v_rcp_f32_e32 v18, v13
	v_div_scale_f32 v19, vcc, 1.0, v7, 1.0
	v_fma_f32 v14, -v13, v18, 1.0
	v_fmac_f32_e32 v18, v14, v18
	v_mul_f32_e32 v20, v19, v18
	v_fma_f32 v14, -v13, v20, v19
	v_fmac_f32_e32 v20, v14, v18
	ds_read_b64 v[14:15], v5
	ds_read_b64 v[16:17], v11
	v_fma_f32 v13, -v13, v20, v19
	v_div_fmas_f32 v13, v13, v18, v20
	v_div_fixup_f32 v18, v13, v7, 1.0
	s_waitcnt lgkmcnt(0)
	v_pk_add_f32 v[14:15], v[14:15], v[16:17] op_sel:[1,1] op_sel_hi:[0,0] neg_lo:[0,1] neg_hi:[0,1]
	v_xor_b32_e32 v16, 0x80000000, v15
	v_mov_b32_e32 v17, v14
	v_pk_mul_f32 v[16:17], v[4:5], v[16:17] op_sel_hi:[0,1]
	v_pk_fma_f32 v[14:15], v[14:15], v[2:3], v[16:17] op_sel_hi:[1,0,1]
	s_nop 0
	v_pk_mul_f32 v[14:15], v[18:19], v[14:15] op_sel_hi:[0,1]
	v_pk_mov_b32 v[16:17], v[14:15], v[14:15] op_sel:[1,0]
	ds_write_b64 v5, v[16:17]
	s_waitcnt lgkmcnt(0)
	ds_read_b64 v[16:17], v6
	ds_read_b64 v[18:19], v10
	s_waitcnt lgkmcnt(0)
	v_pk_fma_f32 v[18:19], v[14:15], v[16:17], v[18:19] op_sel:[1,0,0] op_sel_hi:[0,0,1]
	v_pk_fma_f32 v[14:15], v[14:15], v[16:17], v[18:19] op_sel:[0,1,0] neg_hi:[0,1,0]
	ds_write_b64 v10, v[14:15]
.LBB41_78:
	s_or_b64 exec, exec, s[4:5]
	v_cmp_eq_u32_e32 vcc, 1, v9
	s_waitcnt lgkmcnt(0)
	s_and_saveexec_b64 s[4:5], vcc
	s_cbranch_execz .LBB41_86
; %bb.79:
	v_mov_b32_e32 v7, 0
	ds_read2_b64 v[14:17], v7 offset0:64 offset1:70
	s_waitcnt lgkmcnt(0)
	v_sub_f32_e32 v2, v14, v16
	v_sub_f32_e32 v13, v15, v17
	v_cmp_gt_f32_e32 vcc, 0, v2
	s_nop 1
	v_cndmask_b32_e64 v2, v2, -v2, vcc
	v_cmp_gt_f32_e32 vcc, 0, v13
	s_nop 1
	v_cndmask_b32_e64 v4, v13, -v13, vcc
	v_cmp_gt_f32_e32 vcc, v2, v4
	s_cbranch_vccnz .LBB41_83
; %bb.80:
	v_cmp_eq_f32_e32 vcc, 0, v13
	s_cbranch_vccnz .LBB41_82
; %bb.81:
	v_div_scale_f32 v7, s[2:3], v4, v4, v2
	v_rcp_f32_e32 v13, v7
	v_div_scale_f32 v14, vcc, v2, v4, v2
	s_mov_b32 s2, 0xf800000
	v_fma_f32 v15, -v7, v13, 1.0
	v_fmac_f32_e32 v13, v15, v13
	v_mul_f32_e32 v15, v14, v13
	v_fma_f32 v16, -v7, v15, v14
	v_fmac_f32_e32 v15, v16, v13
	v_fma_f32 v7, -v7, v15, v14
	v_div_fmas_f32 v7, v7, v13, v15
	v_div_fixup_f32 v7, v7, v4, v2
	v_fma_f32 v7, v7, v7, 1.0
	v_mul_f32_e32 v13, 0x4f800000, v7
	v_cmp_gt_f32_e32 vcc, s2, v7
	s_nop 1
	v_cndmask_b32_e32 v7, v7, v13, vcc
	v_sqrt_f32_e32 v13, v7
	s_nop 0
	v_add_u32_e32 v14, -1, v13
	v_fma_f32 v15, -v14, v13, v7
	v_cmp_ge_f32_e64 s[2:3], 0, v15
	v_add_u32_e32 v15, 1, v13
	s_nop 0
	v_cndmask_b32_e64 v14, v13, v14, s[2:3]
	v_fma_f32 v13, -v15, v13, v7
	v_cmp_lt_f32_e64 s[2:3], 0, v13
	s_nop 1
	v_cndmask_b32_e64 v13, v14, v15, s[2:3]
	v_mul_f32_e32 v14, 0x37800000, v13
	v_cndmask_b32_e32 v13, v13, v14, vcc
	v_mov_b32_e32 v14, 0x260
	v_cmp_class_f32_e32 vcc, v7, v14
	s_nop 1
	v_cndmask_b32_e32 v7, v13, v7, vcc
	v_mul_f32_e32 v7, v4, v7
.LBB41_82:
	s_cbranch_execz .LBB41_84
	s_branch .LBB41_85
.LBB41_83:
                                        ; implicit-def: $vgpr7
.LBB41_84:
	v_div_scale_f32 v7, s[2:3], v2, v2, v4
	v_rcp_f32_e32 v13, v7
	v_div_scale_f32 v14, vcc, v4, v2, v4
	s_mov_b32 s2, 0xf800000
	v_fma_f32 v15, -v7, v13, 1.0
	v_fmac_f32_e32 v13, v15, v13
	v_mul_f32_e32 v15, v14, v13
	v_fma_f32 v16, -v7, v15, v14
	v_fmac_f32_e32 v15, v16, v13
	v_fma_f32 v7, -v7, v15, v14
	v_div_fmas_f32 v7, v7, v13, v15
	v_div_fixup_f32 v4, v7, v2, v4
	v_fma_f32 v4, v4, v4, 1.0
	v_mul_f32_e32 v7, 0x4f800000, v4
	v_cmp_gt_f32_e32 vcc, s2, v4
	s_nop 1
	v_cndmask_b32_e32 v4, v4, v7, vcc
	v_sqrt_f32_e32 v7, v4
	s_nop 0
	v_add_u32_e32 v13, -1, v7
	v_fma_f32 v14, -v13, v7, v4
	v_cmp_ge_f32_e64 s[2:3], 0, v14
	v_add_u32_e32 v14, 1, v7
	s_nop 0
	v_cndmask_b32_e64 v13, v7, v13, s[2:3]
	v_fma_f32 v7, -v14, v7, v4
	v_cmp_lt_f32_e64 s[2:3], 0, v7
	s_nop 1
	v_cndmask_b32_e64 v7, v13, v14, s[2:3]
	v_mul_f32_e32 v13, 0x37800000, v7
	v_cndmask_b32_e32 v7, v7, v13, vcc
	v_mov_b32_e32 v13, 0x260
	v_cmp_class_f32_e32 vcc, v4, v13
	s_nop 1
	v_cndmask_b32_e32 v4, v7, v4, vcc
	v_mul_f32_e32 v7, v2, v4
.LBB41_85:
	s_mov_b32 s2, 0xf800000
	v_mul_f32_e32 v2, 0x4f800000, v7
	v_cmp_gt_f32_e32 vcc, s2, v7
	v_mov_b32_e32 v15, 0
	s_nop 0
	v_cndmask_b32_e32 v2, v7, v2, vcc
	v_sqrt_f32_e32 v4, v2
	s_nop 0
	v_add_u32_e32 v7, -1, v4
	v_fma_f32 v13, -v7, v4, v2
	v_cmp_ge_f32_e64 s[2:3], 0, v13
	v_add_u32_e32 v13, 1, v4
	s_nop 0
	v_cndmask_b32_e64 v7, v4, v7, s[2:3]
	v_fma_f32 v4, -v13, v4, v2
	v_cmp_lt_f32_e64 s[2:3], 0, v4
	s_nop 1
	v_cndmask_b32_e64 v4, v7, v13, s[2:3]
	v_mul_f32_e32 v7, 0x37800000, v4
	v_cndmask_b32_e32 v4, v4, v7, vcc
	v_mov_b32_e32 v7, 0x260
	v_cmp_class_f32_e32 vcc, v2, v7
	s_nop 1
	v_cndmask_b32_e32 v14, v4, v2, vcc
	ds_write_b64 v15, v[14:15] offset:512
.LBB41_86:
	s_or_b64 exec, exec, s[4:5]
	v_mov_b32_e32 v2, 0
	s_waitcnt lgkmcnt(0)
	ds_read_b64 v[14:15], v2 offset:512
	s_waitcnt lgkmcnt(0)
	v_cmp_neq_f32_e32 vcc, 0, v14
	v_cmp_neq_f32_e64 s[2:3], 0, v15
	s_or_b64 vcc, vcc, s[2:3]
	v_cndmask_b32_e32 v2, 1.0, v14, vcc
	s_nor_b64 s[2:3], vcc, s[0:1]
	v_cndmask_b32_e32 v4, 0, v15, vcc
	s_and_saveexec_b64 s[0:1], s[2:3]
	s_cbranch_execz .LBB41_90
; %bb.87:
	v_mbcnt_lo_u32_b32 v2, exec_lo, 0
	v_mbcnt_hi_u32_b32 v2, exec_hi, v2
	v_cmp_eq_u32_e32 vcc, 0, v2
	s_and_saveexec_b64 s[2:3], vcc
	s_cbranch_execz .LBB41_89
; %bb.88:
	v_mov_b32_e32 v2, 0
	v_mov_b32_e32 v4, s14
	global_atomic_smin v2, v4, s[10:11]
.LBB41_89:
	s_or_b64 exec, exec, s[2:3]
	v_mov_b32_e32 v4, 0
	v_mov_b32_e32 v2, 1.0
.LBB41_90:
	s_or_b64 exec, exec, s[0:1]
	v_cmp_lt_u32_e32 vcc, 1, v9
	s_and_saveexec_b64 s[0:1], vcc
	s_cbranch_execz .LBB41_92
; %bb.91:
	v_mul_f32_e32 v7, v4, v4
	v_fmac_f32_e32 v7, v2, v2
	v_div_scale_f32 v13, s[2:3], v7, v7, 1.0
	v_rcp_f32_e32 v18, v13
	v_div_scale_f32 v19, vcc, 1.0, v7, 1.0
	v_fma_f32 v14, -v13, v18, 1.0
	v_fmac_f32_e32 v18, v14, v18
	v_mul_f32_e32 v20, v19, v18
	v_fma_f32 v14, -v13, v20, v19
	v_fmac_f32_e32 v20, v14, v18
	ds_read_b64 v[14:15], v5 offset:8
	ds_read_b64 v[16:17], v11 offset:8
	v_fma_f32 v11, -v13, v20, v19
	v_div_fmas_f32 v11, v11, v18, v20
	v_div_fixup_f32 v18, v11, v7, 1.0
	s_waitcnt lgkmcnt(0)
	v_pk_add_f32 v[14:15], v[14:15], v[16:17] op_sel:[1,1] op_sel_hi:[0,0] neg_lo:[0,1] neg_hi:[0,1]
	v_xor_b32_e32 v16, 0x80000000, v15
	v_mov_b32_e32 v17, v14
	v_pk_mul_f32 v[16:17], v[4:5], v[16:17] op_sel_hi:[0,1]
	v_pk_fma_f32 v[14:15], v[14:15], v[2:3], v[16:17] op_sel_hi:[1,0,1]
	s_nop 0
	v_pk_mul_f32 v[14:15], v[18:19], v[14:15] op_sel_hi:[0,1]
	v_pk_mov_b32 v[16:17], v[14:15], v[14:15] op_sel:[1,0]
	ds_write_b64 v5, v[16:17] offset:8
	s_waitcnt lgkmcnt(0)
	ds_read_b64 v[4:5], v6 offset:8
	ds_read_b64 v[6:7], v10
	s_waitcnt lgkmcnt(0)
	v_pk_fma_f32 v[6:7], v[14:15], v[4:5], v[6:7] op_sel:[1,0,0] op_sel_hi:[0,0,1]
	v_pk_fma_f32 v[4:5], v[14:15], v[4:5], v[6:7] op_sel:[0,1,0] neg_hi:[0,1,0]
	ds_write_b64 v10, v[4:5]
.LBB41_92:
	s_or_b64 exec, exec, s[0:1]
	s_waitcnt lgkmcnt(0)
	ds_read_b64 v[2:3], v3
	v_cmp_eq_u32_e32 vcc, 0, v12
	s_waitcnt lgkmcnt(0)
	global_store_dwordx2 v[0:1], v[2:3], off
	s_and_saveexec_b64 s[0:1], vcc
	s_cbranch_execz .LBB41_94
; %bb.93:
	s_add_u32 s2, s6, s8
	s_addc_u32 s3, s7, s9
	v_mov_b32_e32 v0, 0
	v_mov_b32_e32 v1, 1
	buffer_wbl2 sc1
	s_waitcnt vmcnt(0)
	global_store_dword v0, v1, s[2:3] sc1
.LBB41_94:
	s_or_b64 exec, exec, s[0:1]
	s_branch .LBB41_17
.LBB41_95:
	v_or_b32_e32 v0, v8, v9
	v_cmp_eq_u32_e32 vcc, 0, v0
	s_and_saveexec_b64 s[0:1], vcc
	s_cbranch_execz .LBB41_17
; %bb.96:
	v_mbcnt_lo_u32_b32 v0, exec_lo, 0
	v_mbcnt_hi_u32_b32 v0, exec_hi, v0
	v_cmp_eq_u32_e32 vcc, 0, v0
	s_and_saveexec_b64 s[0:1], vcc
	s_cbranch_execz .LBB41_98
; %bb.97:
	s_add_i32 s2, s16, s17
	v_mov_b32_e32 v0, 0
	v_mov_b32_e32 v1, s2
	global_atomic_smin v0, v1, s[10:11]
.LBB41_98:
	s_or_b64 exec, exec, s[0:1]
	s_add_u32 s0, s6, s8
	s_addc_u32 s1, s7, s9
	v_mov_b32_e32 v0, 0
	v_mov_b32_e32 v1, 1
	buffer_wbl2 sc1
	s_waitcnt vmcnt(0)
	global_store_dword v0, v1, s[0:1] sc1
	s_endpgm
	.section	.rodata,"a",@progbits
	.p2align	6, 0x0
	.amdhsa_kernel _ZN9rocsparseL26bsric0_2_8_unrolled_kernelILi4ELi32ELi2E21rocsparse_complex_numIfEEEv20rocsparse_direction_iiPKiS5_PT2_S5_PiS5_S8_21rocsparse_index_base_
		.amdhsa_group_segment_fixed_size 576
		.amdhsa_private_segment_fixed_size 0
		.amdhsa_kernarg_size 76
		.amdhsa_user_sgpr_count 2
		.amdhsa_user_sgpr_dispatch_ptr 0
		.amdhsa_user_sgpr_queue_ptr 0
		.amdhsa_user_sgpr_kernarg_segment_ptr 1
		.amdhsa_user_sgpr_dispatch_id 0
		.amdhsa_user_sgpr_kernarg_preload_length 0
		.amdhsa_user_sgpr_kernarg_preload_offset 0
		.amdhsa_user_sgpr_private_segment_size 0
		.amdhsa_uses_dynamic_stack 0
		.amdhsa_enable_private_segment 0
		.amdhsa_system_sgpr_workgroup_id_x 1
		.amdhsa_system_sgpr_workgroup_id_y 0
		.amdhsa_system_sgpr_workgroup_id_z 0
		.amdhsa_system_sgpr_workgroup_info 0
		.amdhsa_system_vgpr_workitem_id 1
		.amdhsa_next_free_vgpr 68
		.amdhsa_next_free_sgpr 40
		.amdhsa_accum_offset 68
		.amdhsa_reserve_vcc 1
		.amdhsa_float_round_mode_32 0
		.amdhsa_float_round_mode_16_64 0
		.amdhsa_float_denorm_mode_32 3
		.amdhsa_float_denorm_mode_16_64 3
		.amdhsa_dx10_clamp 1
		.amdhsa_ieee_mode 1
		.amdhsa_fp16_overflow 0
		.amdhsa_tg_split 0
		.amdhsa_exception_fp_ieee_invalid_op 0
		.amdhsa_exception_fp_denorm_src 0
		.amdhsa_exception_fp_ieee_div_zero 0
		.amdhsa_exception_fp_ieee_overflow 0
		.amdhsa_exception_fp_ieee_underflow 0
		.amdhsa_exception_fp_ieee_inexact 0
		.amdhsa_exception_int_div_zero 0
	.end_amdhsa_kernel
	.section	.text._ZN9rocsparseL26bsric0_2_8_unrolled_kernelILi4ELi32ELi2E21rocsparse_complex_numIfEEEv20rocsparse_direction_iiPKiS5_PT2_S5_PiS5_S8_21rocsparse_index_base_,"axG",@progbits,_ZN9rocsparseL26bsric0_2_8_unrolled_kernelILi4ELi32ELi2E21rocsparse_complex_numIfEEEv20rocsparse_direction_iiPKiS5_PT2_S5_PiS5_S8_21rocsparse_index_base_,comdat
.Lfunc_end41:
	.size	_ZN9rocsparseL26bsric0_2_8_unrolled_kernelILi4ELi32ELi2E21rocsparse_complex_numIfEEEv20rocsparse_direction_iiPKiS5_PT2_S5_PiS5_S8_21rocsparse_index_base_, .Lfunc_end41-_ZN9rocsparseL26bsric0_2_8_unrolled_kernelILi4ELi32ELi2E21rocsparse_complex_numIfEEEv20rocsparse_direction_iiPKiS5_PT2_S5_PiS5_S8_21rocsparse_index_base_
                                        ; -- End function
	.set _ZN9rocsparseL26bsric0_2_8_unrolled_kernelILi4ELi32ELi2E21rocsparse_complex_numIfEEEv20rocsparse_direction_iiPKiS5_PT2_S5_PiS5_S8_21rocsparse_index_base_.num_vgpr, 68
	.set _ZN9rocsparseL26bsric0_2_8_unrolled_kernelILi4ELi32ELi2E21rocsparse_complex_numIfEEEv20rocsparse_direction_iiPKiS5_PT2_S5_PiS5_S8_21rocsparse_index_base_.num_agpr, 0
	.set _ZN9rocsparseL26bsric0_2_8_unrolled_kernelILi4ELi32ELi2E21rocsparse_complex_numIfEEEv20rocsparse_direction_iiPKiS5_PT2_S5_PiS5_S8_21rocsparse_index_base_.numbered_sgpr, 40
	.set _ZN9rocsparseL26bsric0_2_8_unrolled_kernelILi4ELi32ELi2E21rocsparse_complex_numIfEEEv20rocsparse_direction_iiPKiS5_PT2_S5_PiS5_S8_21rocsparse_index_base_.num_named_barrier, 0
	.set _ZN9rocsparseL26bsric0_2_8_unrolled_kernelILi4ELi32ELi2E21rocsparse_complex_numIfEEEv20rocsparse_direction_iiPKiS5_PT2_S5_PiS5_S8_21rocsparse_index_base_.private_seg_size, 0
	.set _ZN9rocsparseL26bsric0_2_8_unrolled_kernelILi4ELi32ELi2E21rocsparse_complex_numIfEEEv20rocsparse_direction_iiPKiS5_PT2_S5_PiS5_S8_21rocsparse_index_base_.uses_vcc, 1
	.set _ZN9rocsparseL26bsric0_2_8_unrolled_kernelILi4ELi32ELi2E21rocsparse_complex_numIfEEEv20rocsparse_direction_iiPKiS5_PT2_S5_PiS5_S8_21rocsparse_index_base_.uses_flat_scratch, 0
	.set _ZN9rocsparseL26bsric0_2_8_unrolled_kernelILi4ELi32ELi2E21rocsparse_complex_numIfEEEv20rocsparse_direction_iiPKiS5_PT2_S5_PiS5_S8_21rocsparse_index_base_.has_dyn_sized_stack, 0
	.set _ZN9rocsparseL26bsric0_2_8_unrolled_kernelILi4ELi32ELi2E21rocsparse_complex_numIfEEEv20rocsparse_direction_iiPKiS5_PT2_S5_PiS5_S8_21rocsparse_index_base_.has_recursion, 0
	.set _ZN9rocsparseL26bsric0_2_8_unrolled_kernelILi4ELi32ELi2E21rocsparse_complex_numIfEEEv20rocsparse_direction_iiPKiS5_PT2_S5_PiS5_S8_21rocsparse_index_base_.has_indirect_call, 0
	.section	.AMDGPU.csdata,"",@progbits
; Kernel info:
; codeLenInByte = 6132
; TotalNumSgprs: 46
; NumVgprs: 68
; NumAgprs: 0
; TotalNumVgprs: 68
; ScratchSize: 0
; MemoryBound: 0
; FloatMode: 240
; IeeeMode: 1
; LDSByteSize: 576 bytes/workgroup (compile time only)
; SGPRBlocks: 5
; VGPRBlocks: 8
; NumSGPRsForWavesPerEU: 46
; NumVGPRsForWavesPerEU: 68
; AccumOffset: 68
; Occupancy: 7
; WaveLimiterHint : 1
; COMPUTE_PGM_RSRC2:SCRATCH_EN: 0
; COMPUTE_PGM_RSRC2:USER_SGPR: 2
; COMPUTE_PGM_RSRC2:TRAP_HANDLER: 0
; COMPUTE_PGM_RSRC2:TGID_X_EN: 1
; COMPUTE_PGM_RSRC2:TGID_Y_EN: 0
; COMPUTE_PGM_RSRC2:TGID_Z_EN: 0
; COMPUTE_PGM_RSRC2:TIDIG_COMP_CNT: 1
; COMPUTE_PGM_RSRC3_GFX90A:ACCUM_OFFSET: 16
; COMPUTE_PGM_RSRC3_GFX90A:TG_SPLIT: 0
	.section	.text._ZN9rocsparseL26bsric0_2_8_unrolled_kernelILi9ELi32ELi3E21rocsparse_complex_numIfEEEv20rocsparse_direction_iiPKiS5_PT2_S5_PiS5_S8_21rocsparse_index_base_,"axG",@progbits,_ZN9rocsparseL26bsric0_2_8_unrolled_kernelILi9ELi32ELi3E21rocsparse_complex_numIfEEEv20rocsparse_direction_iiPKiS5_PT2_S5_PiS5_S8_21rocsparse_index_base_,comdat
	.globl	_ZN9rocsparseL26bsric0_2_8_unrolled_kernelILi9ELi32ELi3E21rocsparse_complex_numIfEEEv20rocsparse_direction_iiPKiS5_PT2_S5_PiS5_S8_21rocsparse_index_base_ ; -- Begin function _ZN9rocsparseL26bsric0_2_8_unrolled_kernelILi9ELi32ELi3E21rocsparse_complex_numIfEEEv20rocsparse_direction_iiPKiS5_PT2_S5_PiS5_S8_21rocsparse_index_base_
	.p2align	8
	.type	_ZN9rocsparseL26bsric0_2_8_unrolled_kernelILi9ELi32ELi3E21rocsparse_complex_numIfEEEv20rocsparse_direction_iiPKiS5_PT2_S5_PiS5_S8_21rocsparse_index_base_,@function
_ZN9rocsparseL26bsric0_2_8_unrolled_kernelILi9ELi32ELi3E21rocsparse_complex_numIfEEEv20rocsparse_direction_iiPKiS5_PT2_S5_PiS5_S8_21rocsparse_index_base_: ; @_ZN9rocsparseL26bsric0_2_8_unrolled_kernelILi9ELi32ELi3E21rocsparse_complex_numIfEEEv20rocsparse_direction_iiPKiS5_PT2_S5_PiS5_S8_21rocsparse_index_base_
; %bb.0:
	s_load_dwordx8 s[4:11], s[0:1], 0x28
	s_mov_b32 s3, 0
	s_lshl_b64 s[2:3], s[2:3], 2
	v_and_b32_e32 v12, 0x3ff, v0
	v_bfe_u32 v13, v0, 10, 10
	s_waitcnt lgkmcnt(0)
	s_add_u32 s2, s8, s2
	s_addc_u32 s3, s9, s3
	s_load_dword s16, s[2:3], 0x0
	s_waitcnt lgkmcnt(0)
	s_ashr_i32 s17, s16, 31
	s_lshl_b64 s[8:9], s[16:17], 2
	s_add_u32 s2, s4, s8
	s_addc_u32 s3, s5, s9
	s_load_dword s30, s[2:3], 0x0
	s_load_dword s17, s[0:1], 0x48
	s_waitcnt lgkmcnt(0)
	s_cmp_lg_u32 s30, -1
	s_cbranch_scc0 .LBB42_71
; %bb.1:
	s_load_dwordx4 s[12:15], s[0:1], 0x10
	s_load_dwordx2 s[18:19], s[0:1], 0x20
	v_mad_u32_u24 v14, v13, 3, v12
	v_mul_u32_u24_e32 v16, 3, v13
	s_waitcnt lgkmcnt(0)
	s_add_u32 s2, s12, s8
	s_addc_u32 s3, s13, s9
	s_load_dword s26, s[2:3], 0x0
	s_waitcnt lgkmcnt(0)
	s_sub_i32 s31, s26, s17
	v_add_u32_e32 v0, s31, v14
	v_cmp_ge_i32_e32 vcc, s30, v0
	s_and_saveexec_b64 s[20:21], vcc
	s_cbranch_execz .LBB42_14
; %bb.2:
	v_add_u32_e32 v1, s26, v12
	v_add_u32_e32 v2, v1, v16
	v_subrev_u32_e32 v2, s17, v2
	v_add_u32_e32 v2, 9, v2
	s_add_i32 s2, s30, 1
	v_max_i32_e32 v2, s2, v2
	v_add_u32_e32 v2, s17, v2
	v_sub_u32_e32 v1, v2, v1
	v_add_u32_e32 v1, -9, v1
	v_cmp_ne_u32_e32 vcc, v1, v16
	s_mov_b64 s[22:23], -1
	s_nop 0
	v_addc_co_u32_e64 v2, s[2:3], 0, v16, vcc
	v_sub_u32_e32 v1, v1, v2
	s_mov_b32 s2, 0x38e38e39
	v_mul_hi_u32 v1, v1, s2
	v_lshrrev_b32_e32 v1, 1, v1
	v_addc_co_u32_e32 v4, vcc, 0, v1, vcc
	v_cmp_ne_u32_e32 vcc, 0, v4
	s_and_saveexec_b64 s[2:3], vcc
	s_cbranch_execz .LBB42_11
; %bb.3:
	v_add_u32_e32 v2, -1, v4
	v_add_u32_e32 v1, 9, v0
	v_lshrrev_b32_e32 v2, 1, v2
	v_add_u32_e32 v5, 1, v2
	v_cmp_lt_u32_e32 vcc, 14, v4
	v_mov_b64_e32 v[2:3], v[0:1]
	s_and_saveexec_b64 s[22:23], vcc
	s_cbranch_execz .LBB42_7
; %bb.4:
	v_and_b32_e32 v6, -8, v5
	s_mov_b64 s[24:25], 0
	v_mov_b64_e32 v[2:3], v[0:1]
.LBB42_5:                               ; =>This Inner Loop Header: Depth=1
	v_ashrrev_i32_e32 v11, 31, v2
	v_mov_b32_e32 v10, v2
	v_ashrrev_i32_e32 v9, 31, v3
	v_mov_b32_e32 v8, v3
	v_add_u32_e32 v18, 18, v2
	v_add_u32_e32 v20, 18, v3
	v_lshl_add_u64 v[10:11], v[10:11], 2, s[14:15]
	v_add_u32_e32 v22, 36, v2
	v_add_u32_e32 v24, 36, v3
	;; [unrolled: 1-line block ×12, first 2 shown]
	v_lshl_add_u64 v[8:9], v[8:9], 2, s[14:15]
	v_ashrrev_i32_e32 v21, 31, v20
	v_ashrrev_i32_e32 v19, 31, v18
	global_load_dword v1, v[10:11], off
	global_load_dword v7, v[8:9], off
	v_ashrrev_i32_e32 v25, 31, v24
	v_ashrrev_i32_e32 v23, 31, v22
	;; [unrolled: 1-line block ×12, first 2 shown]
	v_lshl_add_u64 v[8:9], v[18:19], 2, s[14:15]
	v_lshl_add_u64 v[10:11], v[20:21], 2, s[14:15]
	;; [unrolled: 1-line block ×13, first 2 shown]
	global_load_dword v15, v[10:11], off
	v_lshl_add_u64 v[10:11], v[44:45], 2, s[14:15]
	global_load_dword v17, v[8:9], off
	global_load_dword v19, v[48:49], off
	;; [unrolled: 1-line block ×13, first 2 shown]
	v_subrev_u32_e32 v9, s31, v2
	v_add_u32_e32 v6, -8, v6
	v_subrev_u32_e32 v8, s31, v3
	v_lshlrev_b32_e32 v9, 2, v9
	v_subrev_u32_e32 v11, s31, v18
	v_cmp_eq_u32_e32 vcc, 0, v6
	v_add_u32_e32 v3, 0x90, v3
	v_add_u32_e32 v2, 0x90, v2
	v_lshlrev_b32_e32 v8, 2, v8
	v_subrev_u32_e32 v10, s31, v20
	v_subrev_u32_e32 v18, s31, v24
	;; [unrolled: 1-line block ×13, first 2 shown]
	v_lshlrev_b32_e32 v11, 2, v11
	s_or_b64 s[24:25], vcc, s[24:25]
	v_lshlrev_b32_e32 v10, 2, v10
	v_lshlrev_b32_e32 v20, 2, v20
	;; [unrolled: 1-line block ×13, first 2 shown]
	s_waitcnt vmcnt(15)
	v_subrev_u32_e32 v1, s17, v1
	s_waitcnt vmcnt(14)
	v_subrev_u32_e32 v7, s17, v7
	ds_write_b32 v9, v1 offset:256
	ds_write_b32 v8, v7 offset:256
	s_waitcnt vmcnt(12)
	v_subrev_u32_e32 v7, s17, v17
	s_waitcnt vmcnt(11)
	v_subrev_u32_e32 v8, s17, v19
	;; [unrolled: 2-line block ×8, first 2 shown]
	v_subrev_u32_e32 v1, s17, v15
	v_subrev_u32_e32 v15, s17, v23
	;; [unrolled: 1-line block ×3, first 2 shown]
	s_waitcnt vmcnt(2)
	v_subrev_u32_e32 v29, s17, v37
	s_waitcnt vmcnt(1)
	v_subrev_u32_e32 v31, s17, v39
	;; [unrolled: 2-line block ×3, first 2 shown]
	ds_write_b32 v11, v7 offset:256
	ds_write_b32 v10, v1 offset:256
	;; [unrolled: 1-line block ×14, first 2 shown]
	s_andn2_b64 exec, exec, s[24:25]
	s_cbranch_execnz .LBB42_5
; %bb.6:
	s_or_b64 exec, exec, s[24:25]
.LBB42_7:
	s_or_b64 exec, exec, s[22:23]
	v_and_b32_e32 v1, 7, v5
	v_cmp_ne_u32_e32 vcc, 0, v1
	s_and_saveexec_b64 s[22:23], vcc
	s_cbranch_execz .LBB42_10
; %bb.8:
	v_sub_u32_e32 v1, 0, v1
	s_mov_b64 s[24:25], 0
.LBB42_9:                               ; =>This Inner Loop Header: Depth=1
	v_ashrrev_i32_e32 v7, 31, v3
	v_mov_b32_e32 v6, v3
	v_ashrrev_i32_e32 v9, 31, v2
	v_mov_b32_e32 v8, v2
	v_lshl_add_u64 v[6:7], v[6:7], 2, s[14:15]
	v_lshl_add_u64 v[8:9], v[8:9], 2, s[14:15]
	global_load_dword v5, v[6:7], off
	global_load_dword v10, v[8:9], off
	v_subrev_u32_e32 v7, s31, v2
	v_add_co_u32_e32 v1, vcc, 1, v1
	v_subrev_u32_e32 v6, s31, v3
	v_add_u32_e32 v3, 18, v3
	v_add_u32_e32 v2, 18, v2
	v_lshlrev_b32_e32 v7, 2, v7
	s_or_b64 s[24:25], vcc, s[24:25]
	v_lshlrev_b32_e32 v6, 2, v6
	s_waitcnt vmcnt(1)
	v_subrev_u32_e32 v5, s17, v5
	s_waitcnt vmcnt(0)
	v_subrev_u32_e32 v8, s17, v10
	ds_write_b32 v7, v8 offset:256
	ds_write_b32 v6, v5 offset:256
	s_andn2_b64 exec, exec, s[24:25]
	s_cbranch_execnz .LBB42_9
.LBB42_10:
	s_or_b64 exec, exec, s[22:23]
	v_add_u32_e32 v2, 1, v4
	v_and_b32_e32 v3, 0x7ffffffe, v2
	v_mad_u64_u32 v[0:1], s[22:23], v3, 9, v[0:1]
	v_cmp_ne_u32_e32 vcc, v2, v3
	s_orn2_b64 s[22:23], vcc, exec
.LBB42_11:
	s_or_b64 exec, exec, s[2:3]
	s_and_b64 exec, exec, s[22:23]
	s_cbranch_execz .LBB42_14
; %bb.12:
	v_add_u32_e32 v1, s17, v0
	v_subrev_u32_e32 v1, s26, v1
	v_mov_b32_e32 v2, 0x100
	v_lshl_add_u32 v4, v1, 2, v2
	v_ashrrev_i32_e32 v1, 31, v0
	v_lshl_add_u64 v[2:3], v[0:1], 2, s[14:15]
	s_mov_b64 s[2:3], 0
.LBB42_13:                              ; =>This Inner Loop Header: Depth=1
	global_load_dword v1, v[2:3], off
	v_add_u32_e32 v0, 9, v0
	v_cmp_lt_i32_e32 vcc, s30, v0
	v_lshl_add_u64 v[2:3], v[2:3], 0, 36
	s_or_b64 s[2:3], vcc, s[2:3]
	s_waitcnt vmcnt(0)
	v_subrev_u32_e32 v1, s17, v1
	ds_write_b32 v4, v1
	v_add_u32_e32 v4, 36, v4
	s_andn2_b64 exec, exec, s[2:3]
	s_cbranch_execnz .LBB42_13
.LBB42_14:
	s_or_b64 exec, exec, s[20:21]
	s_load_dword s33, s[0:1], 0x0
	v_mov_b32_e32 v0, 0x2a0
	v_lshl_add_u32 v15, v13, 5, v0
	v_mov_b32_e32 v0, 0
	v_lshl_add_u32 v3, v12, 3, v15
	v_mov_b32_e32 v1, v0
	ds_write_b64 v3, v[0:1]
	s_cmp_ge_i32 s31, s30
	v_mad_u32_u24 v1, v12, 3, v13
	s_waitcnt lgkmcnt(0)
	s_cbranch_scc1 .LBB42_64
; %bb.15:
	s_cmp_lg_u32 s33, 0
	v_lshlrev_b32_e32 v4, 5, v13
	v_lshlrev_b32_e32 v5, 3, v12
	s_movk_i32 s0, 0x180
	s_cselect_b64 s[20:21], -1, 0
	s_cmp_eq_u32 s33, 0
	v_add_u32_e32 v18, 0x240, v4
	v_add3_u32 v20, v4, v5, s0
	v_add_u32_e32 v25, 0x1e0, v4
	v_mov_b32_e32 v4, 0x240
	v_mad_u32_u24 v2, v12, 3, v13
	v_lshl_add_u32 v27, v12, 5, v4
	v_or_b32_e32 v4, v12, v13
	s_cselect_b64 vcc, -1, 0
	v_mul_u32_u24_e32 v17, 3, v12
	v_add_u32_e32 v19, v18, v5
	v_add_u32_e32 v21, 3, v12
	;; [unrolled: 1-line block ×6, first 2 shown]
	v_cmp_ne_u32_e64 s[0:1], 0, v4
	v_cndmask_b32_e32 v2, v2, v14, vcc
	s_mov_b32 s22, s31
	s_branch .LBB42_18
.LBB42_16:                              ;   in Loop: Header=BB42_18 Depth=1
	s_or_b64 exec, exec, s[24:25]
	v_mov_b32_e32 v8, 0
	v_mov_b32_e32 v6, 1.0
.LBB42_17:                              ;   in Loop: Header=BB42_18 Depth=1
	s_or_b64 exec, exec, s[2:3]
	v_mul_f32_e32 v7, v8, v8
	v_fmac_f32_e32 v7, v6, v6
	v_div_scale_f32 v9, s[2:3], v7, v7, 1.0
	v_rcp_f32_e32 v38, v9
	v_div_scale_f32 v39, vcc, 1.0, v7, 1.0
	s_add_i32 s22, s22, 1
	v_fma_f32 v28, -v9, v38, 1.0
	v_fmac_f32_e32 v38, v28, v38
	v_mul_f32_e32 v40, v39, v38
	v_fma_f32 v28, -v9, v40, v39
	v_fmac_f32_e32 v40, v28, v38
	ds_read_b128 v[28:31], v0 offset:448
	ds_read_b128 v[32:35], v18
	ds_read_b64 v[36:37], v25 offset:16
	v_fma_f32 v9, -v9, v40, v39
	v_div_fmas_f32 v9, v9, v38, v40
	v_div_fixup_f32 v38, v9, v7, 1.0
	s_cmp_ge_i32 s22, s30
	s_waitcnt lgkmcnt(0)
	v_pk_fma_f32 v[36:37], v[28:29], v[32:33], v[36:37] op_sel_hi:[1,0,1]
	s_cselect_b64 s[2:3], -1, 0
	v_pk_fma_f32 v[28:29], v[28:29], v[32:33], v[36:37] op_sel:[0,1,1] op_sel_hi:[1,1,0] neg_lo:[0,1,0]
	v_mov_b32_e32 v32, v35
	v_pk_fma_f32 v[28:29], v[30:31], v[34:35], v[28:29] op_sel:[1,0,0] op_sel_hi:[0,0,1]
	v_pk_fma_f32 v[28:29], v[30:31], v[32:33], v[28:29] op_sel_hi:[1,0,1] neg_lo:[0,1,0]
	v_mov_b32_e32 v30, v11
	v_mov_b32_e32 v31, v10
	v_pk_add_f32 v[10:11], v[30:31], v[28:29] neg_lo:[0,1] neg_hi:[0,1]
	s_nop 0
	v_xor_b32_e32 v28, 0x80000000, v11
	v_mov_b32_e32 v29, v10
	v_pk_mul_f32 v[8:9], v[8:9], v[28:29] op_sel_hi:[0,1]
	v_pk_fma_f32 v[6:7], v[10:11], v[6:7], v[8:9] op_sel_hi:[1,0,1]
	s_nop 0
	v_pk_mul_f32 v[6:7], v[38:39], v[6:7] op_sel_hi:[0,1]
	v_pk_mov_b32 v[8:9], v[6:7], v[6:7] op_sel:[1,0]
	ds_write_b64 v18, v[8:9] offset:16
	s_waitcnt lgkmcnt(0)
	ds_read_b64 v[8:9], v27 offset:16
	ds_read_b64 v[10:11], v3
	s_waitcnt lgkmcnt(0)
	v_pk_fma_f32 v[10:11], v[6:7], v[8:9], v[10:11] op_sel:[1,0,0] op_sel_hi:[0,0,1]
	v_pk_fma_f32 v[6:7], v[6:7], v[8:9], v[10:11] op_sel:[0,1,0] neg_hi:[0,1,0]
	ds_write_b64 v3, v[6:7]
	s_waitcnt lgkmcnt(0)
	ds_read_b64 v[6:7], v19
	s_waitcnt lgkmcnt(0)
	global_store_dwordx2 v[4:5], v[6:7], off
	buffer_wbl2 sc1
	s_waitcnt vmcnt(0)
	buffer_inv sc1
	s_and_b64 vcc, exec, s[2:3]
	s_cbranch_vccnz .LBB42_64
.LBB42_18:                              ; =>This Loop Header: Depth=1
                                        ;     Child Loop BB42_21 Depth 2
                                        ;     Child Loop BB42_32 Depth 2
	;; [unrolled: 1-line block ×3, first 2 shown]
	s_ashr_i32 s23, s22, 31
	s_lshl_b64 s[2:3], s[22:23], 2
	s_add_u32 s2, s14, s2
	s_addc_u32 s3, s15, s3
	s_load_dword s23, s[2:3], 0x0
	s_waitcnt lgkmcnt(0)
	s_sub_i32 s24, s23, s17
	s_ashr_i32 s25, s24, 31
	s_lshl_b64 s[2:3], s[24:25], 2
	s_add_u32 s26, s4, s2
	s_addc_u32 s27, s5, s3
	s_load_dword s25, s[26:27], 0x0
	s_waitcnt lgkmcnt(0)
	s_cmp_eq_u32 s25, -1
	s_cbranch_scc1 .LBB42_45
; %bb.19:                               ;   in Loop: Header=BB42_18 Depth=1
	v_mad_u64_u32 v[4:5], s[26:27], s22, 9, v[2:3]
	v_ashrrev_i32_e32 v5, 31, v4
	v_lshl_add_u64 v[4:5], v[4:5], 3, s[18:19]
	global_load_dwordx2 v[6:7], v[4:5], off
	s_add_u32 s26, s12, s2
	s_addc_u32 s27, s13, s3
	s_load_dword s26, s[26:27], 0x0
	ds_read_b32 v8, v0 offset:256
	s_mov_b32 s27, 0
	s_waitcnt lgkmcnt(0)
	s_sub_i32 s26, s26, s17
	s_cmp_le_i32 s26, s25
	v_cmp_ge_i32_e32 vcc, s24, v8
	s_cselect_b64 s[28:29], -1, 0
	s_and_b64 s[28:29], s[28:29], vcc
	s_andn2_b64 vcc, exec, s[28:29]
	s_waitcnt vmcnt(0)
	ds_write_b64 v19, v[6:7]
	s_cbranch_vccnz .LBB42_31
; %bb.20:                               ;   in Loop: Header=BB42_18 Depth=1
	s_mov_b32 s34, 0
	s_mov_b32 s35, 0
.LBB42_21:                              ;   Parent Loop BB42_18 Depth=1
                                        ; =>  This Inner Loop Header: Depth=2
	s_ashr_i32 s27, s26, 31
	s_lshl_b64 s[28:29], s[26:27], 2
	s_add_u32 s28, s14, s28
	s_addc_u32 s29, s15, s29
	s_load_dword s27, s[28:29], 0x0
	s_lshl_b32 s28, s35, 2
	v_mov_b32_e32 v6, s28
	ds_read_b32 v6, v6 offset:256
	s_mov_b64 s[28:29], -1
	s_waitcnt lgkmcnt(0)
	s_sub_i32 s39, s27, s17
                                        ; implicit-def: $sgpr27
                                        ; implicit-def: $sgpr38
                                        ; implicit-def: $sgpr37
	v_cmp_ge_i32_e32 vcc, s39, v6
	v_readfirstlane_b32 s36, v6
	s_cbranch_vccz .LBB42_27
; %bb.22:                               ;   in Loop: Header=BB42_21 Depth=2
	s_cmp_le_i32 s39, s36
                                        ; implicit-def: $sgpr27
                                        ; implicit-def: $sgpr38
                                        ; implicit-def: $sgpr37
	s_cbranch_scc0 .LBB42_24
; %bb.23:                               ;   in Loop: Header=BB42_21 Depth=2
	s_add_i32 s27, s35, s31
	s_mul_i32 s27, s27, 9
	s_lshl_b32 s28, s34, 2
	v_mov_b32_e32 v7, s27
	s_mul_i32 s27, s26, 9
	v_mov_b32_e32 v6, s28
	v_mov_b32_e32 v8, s27
	ds_write2_b32 v6, v8, v7 offset1:32
	s_add_i32 s37, s35, 1
	s_add_i32 s38, s26, 1
	;; [unrolled: 1-line block ×3, first 2 shown]
	s_mov_b64 s[28:29], 0
.LBB42_24:                              ;   in Loop: Header=BB42_21 Depth=2
	s_andn2_b64 vcc, exec, s[28:29]
	s_cbranch_vccnz .LBB42_26
; %bb.25:                               ;   in Loop: Header=BB42_21 Depth=2
	s_add_i32 s37, s35, 1
	s_mov_b32 s27, s34
	s_mov_b32 s38, s26
.LBB42_26:                              ;   in Loop: Header=BB42_21 Depth=2
	s_mov_b64 s[28:29], 0
.LBB42_27:                              ;   in Loop: Header=BB42_21 Depth=2
	s_andn2_b64 vcc, exec, s[28:29]
	s_cbranch_vccnz .LBB42_29
; %bb.28:                               ;   in Loop: Header=BB42_21 Depth=2
	s_add_i32 s38, s26, 1
	s_mov_b32 s37, s35
	s_mov_b32 s27, s34
.LBB42_29:                              ;   in Loop: Header=BB42_21 Depth=2
	s_cmp_le_i32 s38, s25
	s_cselect_b64 s[28:29], -1, 0
	s_cmp_le_i32 s36, s24
	s_cselect_b64 s[34:35], -1, 0
	s_and_b64 s[28:29], s[28:29], s[34:35]
	s_and_b64 vcc, exec, s[28:29]
	s_cbranch_vccz .LBB42_31
; %bb.30:                               ;   in Loop: Header=BB42_21 Depth=2
	s_mov_b32 s34, s27
	s_mov_b32 s26, s38
	;; [unrolled: 1-line block ×3, first 2 shown]
	s_branch .LBB42_21
.LBB42_31:                              ;   in Loop: Header=BB42_18 Depth=1
	s_add_u32 s2, s6, s2
	s_addc_u32 s3, s7, s3
	s_waitcnt lgkmcnt(0)
.LBB42_32:                              ;   Parent Loop BB42_18 Depth=1
                                        ; =>  This Inner Loop Header: Depth=2
	global_load_dword v6, v0, s[2:3] sc1
	s_waitcnt vmcnt(0)
	v_cmp_eq_u32_e32 vcc, 0, v6
	s_cbranch_vccnz .LBB42_32
; %bb.33:                               ;   in Loop: Header=BB42_18 Depth=1
	v_mad_u64_u32 v[6:7], s[2:3], s25, 9, v[2:3]
	v_ashrrev_i32_e32 v7, 31, v6
	v_lshl_add_u64 v[6:7], v[6:7], 3, s[18:19]
	buffer_inv sc1
	global_load_dwordx2 v[8:9], v[6:7], off
	v_mov_b32_e32 v7, 0
	s_cmp_lt_i32 s27, 2
	v_mov_b32_e32 v6, 0
	s_waitcnt vmcnt(0)
	ds_write_b64 v20, v[8:9]
	s_waitcnt lgkmcnt(0)
	s_cbranch_scc1 .LBB42_53
; %bb.34:                               ;   in Loop: Header=BB42_18 Depth=1
	s_add_i32 s25, s27, -1
	s_cmp_eq_u32 s27, 2
	s_cbranch_scc1 .LBB42_46
; %bb.35:                               ;   in Loop: Header=BB42_18 Depth=1
	v_mov_b32_e32 v6, 0
	s_and_b32 s24, s25, -2
	s_mov_b32 s26, 0
	s_mov_b32 s27, 0
	v_mov_b32_e32 v7, v6
	s_branch .LBB42_37
.LBB42_36:                              ;   in Loop: Header=BB42_37 Depth=2
	s_add_i32 s27, s27, 2
	s_add_i32 s26, s26, 8
	s_cmp_eq_u32 s24, s27
	s_cbranch_scc1 .LBB42_47
.LBB42_37:                              ;   Parent Loop BB42_18 Depth=1
                                        ; =>  This Inner Loop Header: Depth=2
	v_mov_b32_e32 v8, s26
	s_waitcnt lgkmcnt(0)
	ds_read2_b32 v[10:11], v8 offset1:32
	s_mov_b64 s[2:3], -1
	s_and_b64 vcc, exec, s[20:21]
                                        ; implicit-def: $vgpr8_vgpr9
	s_cbranch_vccz .LBB42_39
; %bb.38:                               ;   in Loop: Header=BB42_37 Depth=2
	s_waitcnt lgkmcnt(0)
	v_add_u32_e32 v28, v11, v13
	v_add_u32_e32 v8, v10, v12
	v_ashrrev_i32_e32 v29, 31, v28
	v_add_u32_e32 v30, v21, v10
	v_add_u32_e32 v32, v22, v11
	v_ashrrev_i32_e32 v9, 31, v8
	v_lshl_add_u64 v[28:29], v[28:29], 3, s[18:19]
	v_ashrrev_i32_e32 v31, 31, v30
	v_ashrrev_i32_e32 v33, 31, v32
	v_lshl_add_u64 v[8:9], v[8:9], 3, s[18:19]
	v_lshl_add_u64 v[30:31], v[30:31], 3, s[18:19]
	;; [unrolled: 1-line block ×3, first 2 shown]
	global_load_dwordx2 v[38:39], v[28:29], off
	global_load_dwordx2 v[40:41], v[32:33], off
	;; [unrolled: 1-line block ×4, first 2 shown]
	v_add_u32_e32 v36, v24, v11
	v_add_u32_e32 v34, v23, v10
	v_ashrrev_i32_e32 v37, 31, v36
	v_ashrrev_i32_e32 v35, 31, v34
	v_lshl_add_u64 v[8:9], v[36:37], 3, s[18:19]
	v_lshl_add_u64 v[34:35], v[34:35], 3, s[18:19]
	global_load_dwordx2 v[28:29], v[8:9], off
	global_load_dwordx2 v[30:31], v[34:35], off
	s_mov_b64 s[2:3], 0
	s_waitcnt vmcnt(2)
	v_pk_fma_f32 v[8:9], v[44:45], v[38:39], v[6:7] op_sel_hi:[1,0,1]
	s_nop 0
	v_pk_fma_f32 v[8:9], v[44:45], v[38:39], v[8:9] op_sel:[1,1,0] op_sel_hi:[0,1,1] neg_hi:[0,1,0]
	v_pk_fma_f32 v[8:9], v[42:43], v[40:41], v[8:9] op_sel_hi:[1,0,1]
	s_nop 0
	v_pk_fma_f32 v[8:9], v[42:43], v[40:41], v[8:9] op_sel:[1,1,0] op_sel_hi:[0,1,1] neg_hi:[0,1,0]
	s_waitcnt vmcnt(0)
	v_pk_fma_f32 v[8:9], v[30:31], v[28:29], v[8:9] op_sel_hi:[1,0,1]
	s_nop 0
	v_pk_fma_f32 v[8:9], v[30:31], v[28:29], v[8:9] op_sel:[1,1,0] op_sel_hi:[0,1,1] neg_hi:[0,1,0]
.LBB42_39:                              ;   in Loop: Header=BB42_37 Depth=2
	s_andn2_b64 vcc, exec, s[2:3]
	s_cbranch_vccnz .LBB42_41
; %bb.40:                               ;   in Loop: Header=BB42_37 Depth=2
	s_waitcnt lgkmcnt(0)
	v_add_u32_e32 v8, v10, v17
	v_ashrrev_i32_e32 v9, 31, v8
	v_lshl_add_u64 v[32:33], v[8:9], 3, s[18:19]
	v_add_u32_e32 v8, v11, v16
	v_ashrrev_i32_e32 v9, 31, v8
	v_lshl_add_u64 v[34:35], v[8:9], 3, s[18:19]
	global_load_dwordx4 v[8:11], v[32:33], off
	global_load_dwordx4 v[28:31], v[34:35], off
	global_load_dwordx2 v[36:37], v[34:35], off offset:16
	global_load_dwordx2 v[38:39], v[32:33], off offset:16
	s_waitcnt vmcnt(2)
	v_pk_fma_f32 v[6:7], v[8:9], v[28:29], v[6:7] op_sel_hi:[1,0,1]
	s_nop 0
	v_pk_fma_f32 v[6:7], v[8:9], v[28:29], v[6:7] op_sel:[1,1,0] op_sel_hi:[0,1,1] neg_hi:[0,1,0]
	v_pk_fma_f32 v[6:7], v[10:11], v[30:31], v[6:7] op_sel_hi:[1,0,1]
	v_mov_b32_e32 v8, v31
	v_pk_fma_f32 v[6:7], v[10:11], v[8:9], v[6:7] op_sel:[1,0,0] op_sel_hi:[0,0,1] neg_hi:[0,1,0]
	s_waitcnt vmcnt(0)
	v_pk_fma_f32 v[6:7], v[38:39], v[36:37], v[6:7] op_sel_hi:[1,0,1]
	s_nop 0
	v_pk_fma_f32 v[8:9], v[38:39], v[36:37], v[6:7] op_sel:[1,1,0] op_sel_hi:[0,1,1] neg_hi:[0,1,0]
.LBB42_41:                              ;   in Loop: Header=BB42_37 Depth=2
	v_mov_b32_e32 v6, s26
	s_waitcnt lgkmcnt(0)
	ds_read2_b32 v[10:11], v6 offset0:1 offset1:33
	s_andn2_b64 vcc, exec, s[20:21]
	s_mov_b64 s[2:3], -1
                                        ; implicit-def: $vgpr7
	s_cbranch_vccnz .LBB42_43
; %bb.42:                               ;   in Loop: Header=BB42_37 Depth=2
	s_waitcnt lgkmcnt(0)
	v_add_u32_e32 v28, v11, v13
	v_add_u32_e32 v6, v10, v12
	v_ashrrev_i32_e32 v29, 31, v28
	v_add_u32_e32 v30, v21, v10
	v_add_u32_e32 v32, v22, v11
	v_ashrrev_i32_e32 v7, 31, v6
	v_lshl_add_u64 v[28:29], v[28:29], 3, s[18:19]
	v_ashrrev_i32_e32 v31, 31, v30
	v_ashrrev_i32_e32 v33, 31, v32
	v_lshl_add_u64 v[6:7], v[6:7], 3, s[18:19]
	v_lshl_add_u64 v[30:31], v[30:31], 3, s[18:19]
	;; [unrolled: 1-line block ×3, first 2 shown]
	global_load_dwordx2 v[38:39], v[28:29], off
	global_load_dwordx2 v[40:41], v[32:33], off
	;; [unrolled: 1-line block ×4, first 2 shown]
	v_add_u32_e32 v36, v24, v11
	v_add_u32_e32 v34, v23, v10
	v_ashrrev_i32_e32 v37, 31, v36
	v_ashrrev_i32_e32 v35, 31, v34
	v_lshl_add_u64 v[6:7], v[36:37], 3, s[18:19]
	v_lshl_add_u64 v[34:35], v[34:35], 3, s[18:19]
	global_load_dwordx2 v[28:29], v[6:7], off
	global_load_dwordx2 v[30:31], v[34:35], off
	s_mov_b64 s[2:3], 0
	s_waitcnt vmcnt(2)
	v_pk_fma_f32 v[6:7], v[44:45], v[38:39], v[8:9] op_sel_hi:[1,0,1]
	s_nop 0
	v_pk_fma_f32 v[6:7], v[44:45], v[38:39], v[6:7] op_sel:[1,1,0] op_sel_hi:[0,1,1] neg_hi:[0,1,0]
	v_pk_fma_f32 v[6:7], v[42:43], v[40:41], v[6:7] op_sel_hi:[1,0,1]
	s_nop 0
	v_pk_fma_f32 v[6:7], v[42:43], v[40:41], v[6:7] op_sel:[1,1,0] op_sel_hi:[0,1,1] neg_hi:[0,1,0]
	s_waitcnt vmcnt(0)
	v_pk_fma_f32 v[6:7], v[30:31], v[28:29], v[6:7] op_sel_hi:[1,0,1]
	s_nop 0
	v_pk_fma_f32 v[6:7], v[30:31], v[28:29], v[6:7] op_sel:[1,1,0] op_sel_hi:[0,1,1] neg_hi:[0,1,0]
.LBB42_43:                              ;   in Loop: Header=BB42_37 Depth=2
	s_andn2_b64 vcc, exec, s[2:3]
	s_cbranch_vccnz .LBB42_36
; %bb.44:                               ;   in Loop: Header=BB42_37 Depth=2
	s_waitcnt lgkmcnt(0)
	v_add_u32_e32 v6, v10, v17
	v_ashrrev_i32_e32 v7, 31, v6
	v_add_u32_e32 v10, v11, v16
	v_lshl_add_u64 v[6:7], v[6:7], 3, s[18:19]
	v_ashrrev_i32_e32 v11, 31, v10
	v_lshl_add_u64 v[10:11], v[10:11], 3, s[18:19]
	global_load_dwordx4 v[28:31], v[6:7], off
	global_load_dwordx4 v[32:35], v[10:11], off
	global_load_dwordx2 v[36:37], v[10:11], off offset:16
	global_load_dwordx2 v[38:39], v[6:7], off offset:16
	s_waitcnt vmcnt(2)
	v_pk_fma_f32 v[6:7], v[28:29], v[32:33], v[8:9] op_sel_hi:[1,0,1]
	s_nop 0
	v_pk_fma_f32 v[6:7], v[28:29], v[32:33], v[6:7] op_sel:[1,1,0] op_sel_hi:[0,1,1] neg_hi:[0,1,0]
	v_pk_fma_f32 v[6:7], v[30:31], v[34:35], v[6:7] op_sel_hi:[1,0,1]
	v_mov_b32_e32 v8, v35
	v_pk_fma_f32 v[6:7], v[30:31], v[8:9], v[6:7] op_sel:[1,0,0] op_sel_hi:[0,0,1] neg_hi:[0,1,0]
	s_waitcnt vmcnt(0)
	v_pk_fma_f32 v[6:7], v[38:39], v[36:37], v[6:7] op_sel_hi:[1,0,1]
	s_nop 0
	v_pk_fma_f32 v[6:7], v[38:39], v[36:37], v[6:7] op_sel:[1,1,0] op_sel_hi:[0,1,1] neg_hi:[0,1,0]
	s_branch .LBB42_36
.LBB42_45:                              ;   in Loop: Header=BB42_18 Depth=1
                                        ; implicit-def: $sgpr22
	s_cbranch_execz .LBB42_18
	s_branch .LBB42_64
.LBB42_46:                              ;   in Loop: Header=BB42_18 Depth=1
	v_mov_b32_e32 v7, 0
	s_mov_b32 s24, 0
	v_mov_b32_e32 v6, v7
.LBB42_47:                              ;   in Loop: Header=BB42_18 Depth=1
	s_bitcmp0_b32 s25, 0
	s_cbranch_scc1 .LBB42_53
; %bb.48:                               ;   in Loop: Header=BB42_18 Depth=1
	s_lshl_b32 s2, s24, 2
	v_mov_b32_e32 v8, s2
	ds_read2_b32 v[8:9], v8 offset1:32
	s_andn2_b64 vcc, exec, s[20:21]
	s_mov_b64 s[2:3], -1
                                        ; implicit-def: $vgpr11
	s_cbranch_vccnz .LBB42_50
; %bb.49:                               ;   in Loop: Header=BB42_18 Depth=1
	s_waitcnt lgkmcnt(0)
	v_add_u32_e32 v28, v9, v13
	v_add_u32_e32 v10, v8, v12
	v_ashrrev_i32_e32 v29, 31, v28
	v_add_u32_e32 v30, v21, v8
	v_add_u32_e32 v32, v22, v9
	v_ashrrev_i32_e32 v11, 31, v10
	v_lshl_add_u64 v[28:29], v[28:29], 3, s[18:19]
	v_ashrrev_i32_e32 v31, 31, v30
	v_ashrrev_i32_e32 v33, 31, v32
	v_lshl_add_u64 v[10:11], v[10:11], 3, s[18:19]
	v_lshl_add_u64 v[30:31], v[30:31], 3, s[18:19]
	;; [unrolled: 1-line block ×3, first 2 shown]
	global_load_dwordx2 v[38:39], v[28:29], off
	global_load_dwordx2 v[40:41], v[32:33], off
	;; [unrolled: 1-line block ×4, first 2 shown]
	v_add_u32_e32 v36, v24, v9
	v_add_u32_e32 v34, v23, v8
	v_ashrrev_i32_e32 v37, 31, v36
	v_ashrrev_i32_e32 v35, 31, v34
	v_lshl_add_u64 v[10:11], v[36:37], 3, s[18:19]
	v_lshl_add_u64 v[34:35], v[34:35], 3, s[18:19]
	global_load_dwordx2 v[28:29], v[10:11], off
	global_load_dwordx2 v[30:31], v[34:35], off
	s_mov_b64 s[2:3], 0
	s_waitcnt vmcnt(2)
	v_pk_fma_f32 v[10:11], v[44:45], v[38:39], v[6:7] op_sel_hi:[1,0,1]
	s_nop 0
	v_pk_fma_f32 v[10:11], v[44:45], v[38:39], v[10:11] op_sel:[1,1,0] op_sel_hi:[0,1,1] neg_hi:[0,1,0]
	v_pk_fma_f32 v[10:11], v[42:43], v[40:41], v[10:11] op_sel_hi:[1,0,1]
	s_nop 0
	v_pk_fma_f32 v[10:11], v[42:43], v[40:41], v[10:11] op_sel:[1,1,0] op_sel_hi:[0,1,1] neg_hi:[0,1,0]
	s_waitcnt vmcnt(0)
	v_pk_fma_f32 v[10:11], v[30:31], v[28:29], v[10:11] op_sel_hi:[1,0,1]
	s_nop 0
	v_pk_fma_f32 v[10:11], v[30:31], v[28:29], v[10:11] op_sel:[1,1,0] op_sel_hi:[0,1,1] neg_hi:[0,1,0]
.LBB42_50:                              ;   in Loop: Header=BB42_18 Depth=1
	s_andn2_b64 vcc, exec, s[2:3]
	s_cbranch_vccnz .LBB42_52
; %bb.51:                               ;   in Loop: Header=BB42_18 Depth=1
	s_waitcnt lgkmcnt(0)
	v_add_u32_e32 v10, v8, v17
	v_ashrrev_i32_e32 v11, 31, v10
	v_add_u32_e32 v8, v9, v16
	v_lshl_add_u64 v[32:33], v[10:11], 3, s[18:19]
	v_ashrrev_i32_e32 v9, 31, v8
	v_lshl_add_u64 v[34:35], v[8:9], 3, s[18:19]
	global_load_dwordx4 v[8:11], v[32:33], off
	global_load_dwordx4 v[28:31], v[34:35], off
	global_load_dwordx2 v[36:37], v[34:35], off offset:16
	global_load_dwordx2 v[38:39], v[32:33], off offset:16
	s_waitcnt vmcnt(2)
	v_pk_fma_f32 v[6:7], v[8:9], v[28:29], v[6:7] op_sel_hi:[1,0,1]
	s_nop 0
	v_pk_fma_f32 v[6:7], v[8:9], v[28:29], v[6:7] op_sel:[1,1,0] op_sel_hi:[0,1,1] neg_hi:[0,1,0]
	v_pk_fma_f32 v[6:7], v[10:11], v[30:31], v[6:7] op_sel_hi:[1,0,1]
	v_mov_b32_e32 v8, v31
	v_pk_fma_f32 v[6:7], v[10:11], v[8:9], v[6:7] op_sel:[1,0,0] op_sel_hi:[0,0,1] neg_hi:[0,1,0]
	s_waitcnt vmcnt(0)
	v_pk_fma_f32 v[6:7], v[38:39], v[36:37], v[6:7] op_sel_hi:[1,0,1]
	s_nop 0
	v_pk_fma_f32 v[10:11], v[38:39], v[36:37], v[6:7] op_sel:[1,1,0] op_sel_hi:[0,1,1] neg_hi:[0,1,0]
.LBB42_52:                              ;   in Loop: Header=BB42_18 Depth=1
	s_waitcnt lgkmcnt(1)
	v_mov_b32_e32 v7, v11
	v_mov_b32_e32 v6, v10
.LBB42_53:                              ;   in Loop: Header=BB42_18 Depth=1
	ds_write_b64 v26, v[6:7]
	s_waitcnt lgkmcnt(0)
	ds_read_b64 v[6:7], v0 offset:384
	ds_read_b64 v[10:11], v18
	s_waitcnt lgkmcnt(1)
	v_cmp_neq_f32_e32 vcc, 0, v6
	v_cmp_neq_f32_e64 s[2:3], 0, v7
	s_or_b64 vcc, vcc, s[2:3]
	v_cndmask_b32_e32 v6, 1.0, v6, vcc
	s_nor_b64 s[24:25], vcc, s[0:1]
	v_cndmask_b32_e32 v8, 0, v7, vcc
	s_and_saveexec_b64 s[2:3], s[24:25]
	s_cbranch_execz .LBB42_57
; %bb.54:                               ;   in Loop: Header=BB42_18 Depth=1
	v_mbcnt_lo_u32_b32 v6, exec_lo, 0
	v_mbcnt_hi_u32_b32 v6, exec_hi, v6
	v_cmp_eq_u32_e32 vcc, 0, v6
	s_and_saveexec_b64 s[24:25], vcc
	s_cbranch_execz .LBB42_56
; %bb.55:                               ;   in Loop: Header=BB42_18 Depth=1
	v_mov_b32_e32 v6, s23
	global_atomic_smin v0, v6, s[10:11]
.LBB42_56:                              ;   in Loop: Header=BB42_18 Depth=1
	s_or_b64 exec, exec, s[24:25]
	v_mov_b32_e32 v8, 0
	v_mov_b32_e32 v6, 1.0
.LBB42_57:                              ;   in Loop: Header=BB42_18 Depth=1
	s_or_b64 exec, exec, s[2:3]
	v_mul_f32_e32 v7, v8, v8
	v_fmac_f32_e32 v7, v6, v6
	v_div_scale_f32 v9, s[2:3], v7, v7, 1.0
	v_rcp_f32_e32 v30, v9
	v_div_scale_f32 v28, vcc, 1.0, v7, 1.0
	s_waitcnt lgkmcnt(0)
	v_mov_b32_e32 v32, v11
	v_fma_f32 v29, -v9, v30, 1.0
	v_fmac_f32_e32 v30, v29, v30
	v_mul_f32_e32 v31, v28, v30
	v_fma_f32 v29, -v9, v31, v28
	v_fmac_f32_e32 v31, v29, v30
	v_fma_f32 v9, -v9, v31, v28
	ds_read_b64 v[28:29], v25
	v_mov_b32_e32 v33, v10
	v_div_fmas_f32 v9, v9, v30, v31
	v_div_fixup_f32 v30, v9, v7, 1.0
	s_waitcnt lgkmcnt(0)
	v_pk_add_f32 v[10:11], v[32:33], v[28:29] op_sel:[0,1] op_sel_hi:[1,0] neg_lo:[0,1] neg_hi:[0,1]
	s_nop 0
	v_xor_b32_e32 v28, 0x80000000, v11
	v_mov_b32_e32 v29, v10
	v_pk_mul_f32 v[8:9], v[8:9], v[28:29] op_sel_hi:[0,1]
	v_pk_fma_f32 v[6:7], v[10:11], v[6:7], v[8:9] op_sel_hi:[1,0,1]
	s_nop 0
	v_pk_mul_f32 v[6:7], v[30:31], v[6:7] op_sel_hi:[0,1]
	v_pk_mov_b32 v[8:9], v[6:7], v[6:7] op_sel:[1,0]
	ds_write_b64 v18, v[8:9]
	s_waitcnt lgkmcnt(0)
	ds_read_b64 v[8:9], v27
	ds_read_b64 v[10:11], v3
	s_waitcnt lgkmcnt(0)
	v_pk_fma_f32 v[10:11], v[6:7], v[8:9], v[10:11] op_sel:[1,0,0] op_sel_hi:[0,0,1]
	v_pk_fma_f32 v[6:7], v[6:7], v[8:9], v[10:11] op_sel:[0,1,0] neg_hi:[0,1,0]
	ds_write_b64 v3, v[6:7]
	s_waitcnt lgkmcnt(0)
	ds_read_b64 v[6:7], v0 offset:424
	ds_read_b64 v[10:11], v18 offset:8
	s_waitcnt lgkmcnt(1)
	v_cmp_neq_f32_e32 vcc, 0, v6
	v_cmp_neq_f32_e64 s[2:3], 0, v7
	s_or_b64 vcc, vcc, s[2:3]
	v_cndmask_b32_e32 v6, 1.0, v6, vcc
	s_nor_b64 s[24:25], vcc, s[0:1]
	v_cndmask_b32_e32 v8, 0, v7, vcc
	s_and_saveexec_b64 s[2:3], s[24:25]
	s_cbranch_execz .LBB42_61
; %bb.58:                               ;   in Loop: Header=BB42_18 Depth=1
	v_mbcnt_lo_u32_b32 v6, exec_lo, 0
	v_mbcnt_hi_u32_b32 v6, exec_hi, v6
	v_cmp_eq_u32_e32 vcc, 0, v6
	s_and_saveexec_b64 s[24:25], vcc
	s_cbranch_execz .LBB42_60
; %bb.59:                               ;   in Loop: Header=BB42_18 Depth=1
	v_mov_b32_e32 v6, s23
	global_atomic_smin v0, v6, s[10:11]
.LBB42_60:                              ;   in Loop: Header=BB42_18 Depth=1
	s_or_b64 exec, exec, s[24:25]
	v_mov_b32_e32 v8, 0
	v_mov_b32_e32 v6, 1.0
.LBB42_61:                              ;   in Loop: Header=BB42_18 Depth=1
	s_or_b64 exec, exec, s[2:3]
	v_mul_f32_e32 v7, v8, v8
	v_fmac_f32_e32 v7, v6, v6
	v_div_scale_f32 v9, s[2:3], v7, v7, 1.0
	v_rcp_f32_e32 v34, v9
	v_div_scale_f32 v35, vcc, 1.0, v7, 1.0
	v_fma_f32 v28, -v9, v34, 1.0
	v_fmac_f32_e32 v34, v28, v34
	v_mul_f32_e32 v36, v35, v34
	v_fma_f32 v28, -v9, v36, v35
	v_fmac_f32_e32 v36, v28, v34
	ds_read_b64 v[28:29], v18
	ds_read_b64 v[30:31], v0 offset:416
	ds_read_b64 v[32:33], v25 offset:8
	v_fma_f32 v9, -v9, v36, v35
	v_div_fmas_f32 v9, v9, v34, v36
	v_div_fixup_f32 v34, v9, v7, 1.0
	s_waitcnt lgkmcnt(0)
	v_pk_fma_f32 v[32:33], v[30:31], v[28:29], v[32:33] op_sel_hi:[1,0,1]
	s_nop 0
	v_pk_fma_f32 v[28:29], v[30:31], v[28:29], v[32:33] op_sel:[0,1,1] op_sel_hi:[1,1,0] neg_lo:[0,1,0]
	v_mov_b32_e32 v30, v11
	v_mov_b32_e32 v31, v10
	v_pk_add_f32 v[10:11], v[30:31], v[28:29] neg_lo:[0,1] neg_hi:[0,1]
	s_nop 0
	v_xor_b32_e32 v28, 0x80000000, v11
	v_mov_b32_e32 v29, v10
	v_pk_mul_f32 v[8:9], v[8:9], v[28:29] op_sel_hi:[0,1]
	v_pk_fma_f32 v[6:7], v[10:11], v[6:7], v[8:9] op_sel_hi:[1,0,1]
	s_nop 0
	v_pk_mul_f32 v[6:7], v[34:35], v[6:7] op_sel_hi:[0,1]
	v_pk_mov_b32 v[8:9], v[6:7], v[6:7] op_sel:[1,0]
	ds_write_b64 v18, v[8:9] offset:8
	s_waitcnt lgkmcnt(0)
	ds_read_b64 v[8:9], v27 offset:8
	ds_read_b64 v[10:11], v3
	s_waitcnt lgkmcnt(0)
	v_pk_fma_f32 v[10:11], v[6:7], v[8:9], v[10:11] op_sel:[1,0,0] op_sel_hi:[0,0,1]
	v_pk_fma_f32 v[6:7], v[6:7], v[8:9], v[10:11] op_sel:[0,1,0] neg_hi:[0,1,0]
	ds_write_b64 v3, v[6:7]
	s_waitcnt lgkmcnt(0)
	ds_read_b64 v[6:7], v0 offset:464
	ds_read_b64 v[10:11], v18 offset:16
	s_waitcnt lgkmcnt(1)
	v_cmp_neq_f32_e32 vcc, 0, v6
	v_cmp_neq_f32_e64 s[2:3], 0, v7
	s_or_b64 vcc, vcc, s[2:3]
	v_cndmask_b32_e32 v6, 1.0, v6, vcc
	s_nor_b64 s[24:25], vcc, s[0:1]
	v_cndmask_b32_e32 v8, 0, v7, vcc
	s_and_saveexec_b64 s[2:3], s[24:25]
	s_cbranch_execz .LBB42_17
; %bb.62:                               ;   in Loop: Header=BB42_18 Depth=1
	v_mbcnt_lo_u32_b32 v6, exec_lo, 0
	v_mbcnt_hi_u32_b32 v6, exec_hi, v6
	v_cmp_eq_u32_e32 vcc, 0, v6
	s_and_saveexec_b64 s[24:25], vcc
	s_cbranch_execz .LBB42_16
; %bb.63:                               ;   in Loop: Header=BB42_18 Depth=1
	v_mov_b32_e32 v6, s23
	global_atomic_smin v0, v6, s[10:11]
	s_branch .LBB42_16
.LBB42_64:
	s_cmp_lg_u32 s33, 0
	s_cselect_b64 s[12:13], -1, 0
	s_cmp_eq_u32 s33, 0
	v_mov_b32_e32 v0, v14
	s_cbranch_scc1 .LBB42_66
; %bb.65:
	v_mad_u32_u24 v0, v12, 3, v13
.LBB42_66:
	s_mul_i32 s30, s30, 9
	v_add_u32_e32 v4, s30, v0
	v_ashrrev_i32_e32 v5, 31, v4
	v_lshl_add_u64 v[4:5], v[4:5], 3, s[18:19]
	global_load_dwordx2 v[6:7], v[4:5], off
	v_mov_b32_e32 v0, 0x240
	v_lshl_add_u32 v5, v13, 5, v0
	v_cmp_ne_u32_e64 s[2:3], 0, v13
	v_lshl_add_u32 v4, v12, 3, v5
	v_cmp_eq_u32_e32 vcc, 0, v13
	s_waitcnt vmcnt(0)
	ds_write_b64 v4, v[6:7]
	s_waitcnt lgkmcnt(0)
	s_and_saveexec_b64 s[4:5], vcc
	s_cbranch_execz .LBB42_76
; %bb.67:
	v_mov_b32_e32 v6, 0
	ds_read2_b64 v[8:11], v6 offset0:72 offset1:84
	s_waitcnt lgkmcnt(0)
	v_sub_f32_e32 v0, v8, v10
	v_sub_f32_e32 v7, v9, v11
	v_cmp_gt_f32_e32 vcc, 0, v0
	s_nop 1
	v_cndmask_b32_e64 v0, v0, -v0, vcc
	v_cmp_gt_f32_e32 vcc, 0, v7
	s_nop 1
	v_cndmask_b32_e64 v2, v7, -v7, vcc
	v_cmp_ngt_f32_e32 vcc, v0, v2
	s_cbranch_vccz .LBB42_73
; %bb.68:
	v_cmp_eq_f32_e32 vcc, 0, v7
	s_cbranch_vccnz .LBB42_70
; %bb.69:
	v_div_scale_f32 v6, s[0:1], v2, v2, v0
	v_rcp_f32_e32 v7, v6
	v_div_scale_f32 v8, vcc, v0, v2, v0
	s_mov_b32 s0, 0xf800000
	v_fma_f32 v9, -v6, v7, 1.0
	v_fmac_f32_e32 v7, v9, v7
	v_mul_f32_e32 v9, v8, v7
	v_fma_f32 v10, -v6, v9, v8
	v_fmac_f32_e32 v9, v10, v7
	v_fma_f32 v6, -v6, v9, v8
	v_div_fmas_f32 v6, v6, v7, v9
	v_div_fixup_f32 v6, v6, v2, v0
	v_fma_f32 v6, v6, v6, 1.0
	v_mul_f32_e32 v7, 0x4f800000, v6
	v_cmp_gt_f32_e32 vcc, s0, v6
	s_nop 1
	v_cndmask_b32_e32 v6, v6, v7, vcc
	v_sqrt_f32_e32 v7, v6
	s_nop 0
	v_add_u32_e32 v8, -1, v7
	v_fma_f32 v9, -v8, v7, v6
	v_cmp_ge_f32_e64 s[0:1], 0, v9
	v_add_u32_e32 v9, 1, v7
	s_nop 0
	v_cndmask_b32_e64 v8, v7, v8, s[0:1]
	v_fma_f32 v7, -v9, v7, v6
	v_cmp_lt_f32_e64 s[0:1], 0, v7
	s_nop 1
	v_cndmask_b32_e64 v7, v8, v9, s[0:1]
	v_mul_f32_e32 v8, 0x37800000, v7
	v_cndmask_b32_e32 v7, v7, v8, vcc
	v_mov_b32_e32 v8, 0x260
	v_cmp_class_f32_e32 vcc, v6, v8
	s_nop 1
	v_cndmask_b32_e32 v6, v7, v6, vcc
	v_mul_f32_e32 v6, v2, v6
.LBB42_70:
	s_cbranch_execz .LBB42_74
	s_branch .LBB42_75
.LBB42_71:
	s_cbranch_execnz .LBB42_113
.LBB42_72:
	s_endpgm
.LBB42_73:
                                        ; implicit-def: $vgpr6
.LBB42_74:
	v_div_scale_f32 v6, s[0:1], v0, v0, v2
	v_rcp_f32_e32 v7, v6
	v_div_scale_f32 v8, vcc, v2, v0, v2
	s_mov_b32 s0, 0xf800000
	v_fma_f32 v9, -v6, v7, 1.0
	v_fmac_f32_e32 v7, v9, v7
	v_mul_f32_e32 v9, v8, v7
	v_fma_f32 v10, -v6, v9, v8
	v_fmac_f32_e32 v9, v10, v7
	v_fma_f32 v6, -v6, v9, v8
	v_div_fmas_f32 v6, v6, v7, v9
	v_div_fixup_f32 v2, v6, v0, v2
	v_fma_f32 v2, v2, v2, 1.0
	v_mul_f32_e32 v6, 0x4f800000, v2
	v_cmp_gt_f32_e32 vcc, s0, v2
	s_nop 1
	v_cndmask_b32_e32 v2, v2, v6, vcc
	v_sqrt_f32_e32 v6, v2
	s_nop 0
	v_add_u32_e32 v7, -1, v6
	v_fma_f32 v8, -v7, v6, v2
	v_cmp_ge_f32_e64 s[0:1], 0, v8
	v_add_u32_e32 v8, 1, v6
	s_nop 0
	v_cndmask_b32_e64 v7, v6, v7, s[0:1]
	v_fma_f32 v6, -v8, v6, v2
	v_cmp_lt_f32_e64 s[0:1], 0, v6
	s_nop 1
	v_cndmask_b32_e64 v6, v7, v8, s[0:1]
	v_mul_f32_e32 v7, 0x37800000, v6
	v_cndmask_b32_e32 v6, v6, v7, vcc
	v_mov_b32_e32 v7, 0x260
	v_cmp_class_f32_e32 vcc, v2, v7
	s_nop 1
	v_cndmask_b32_e32 v2, v6, v2, vcc
	v_mul_f32_e32 v6, v0, v2
.LBB42_75:
	s_mov_b32 s0, 0xf800000
	v_mul_f32_e32 v0, 0x4f800000, v6
	v_cmp_gt_f32_e32 vcc, s0, v6
	s_nop 1
	v_cndmask_b32_e32 v0, v6, v0, vcc
	v_sqrt_f32_e32 v2, v0
	s_nop 0
	v_add_u32_e32 v6, -1, v2
	v_fma_f32 v7, -v6, v2, v0
	v_cmp_ge_f32_e64 s[0:1], 0, v7
	v_add_u32_e32 v7, 1, v2
	s_nop 0
	v_cndmask_b32_e64 v6, v2, v6, s[0:1]
	v_fma_f32 v2, -v7, v2, v0
	v_cmp_lt_f32_e64 s[0:1], 0, v2
	s_nop 1
	v_cndmask_b32_e64 v2, v6, v7, s[0:1]
	v_mul_f32_e32 v6, 0x37800000, v2
	v_cndmask_b32_e32 v2, v2, v6, vcc
	v_mov_b32_e32 v6, 0x260
	v_cmp_class_f32_e32 vcc, v0, v6
	v_mov_b32_e32 v7, 0
	s_nop 0
	v_cndmask_b32_e32 v6, v2, v0, vcc
	ds_write_b64 v7, v[6:7] offset:576
.LBB42_76:
	s_or_b64 exec, exec, s[4:5]
	v_mov_b32_e32 v0, 0
	s_waitcnt lgkmcnt(0)
	ds_read_b64 v[8:9], v0 offset:576
	v_or_b32_e32 v6, v12, v13
	v_cmp_ne_u32_e64 s[0:1], 0, v6
	s_add_i32 s20, s16, s17
	s_waitcnt lgkmcnt(0)
	v_cmp_neq_f32_e32 vcc, 0, v8
	v_cmp_neq_f32_e64 s[4:5], 0, v9
	s_or_b64 vcc, vcc, s[4:5]
	v_cndmask_b32_e32 v0, 1.0, v8, vcc
	s_nor_b64 s[14:15], vcc, s[0:1]
	v_cndmask_b32_e32 v2, 0, v9, vcc
	s_and_saveexec_b64 s[4:5], s[14:15]
	s_cbranch_execz .LBB42_80
; %bb.77:
	v_mbcnt_lo_u32_b32 v0, exec_lo, 0
	v_mbcnt_hi_u32_b32 v0, exec_hi, v0
	v_cmp_eq_u32_e32 vcc, 0, v0
	s_and_saveexec_b64 s[14:15], vcc
	s_cbranch_execz .LBB42_79
; %bb.78:
	v_mov_b32_e32 v0, 0
	v_mov_b32_e32 v2, s20
	global_atomic_smin v0, v2, s[10:11]
.LBB42_79:
	s_or_b64 exec, exec, s[14:15]
	v_mov_b32_e32 v2, 0
	v_mov_b32_e32 v0, 1.0
.LBB42_80:
	s_or_b64 exec, exec, s[4:5]
	v_mov_b32_e32 v7, 0x240
	v_lshl_add_u32 v7, v12, 5, v7
	s_and_saveexec_b64 s[4:5], s[2:3]
	s_cbranch_execz .LBB42_82
; %bb.81:
	v_mul_f32_e32 v16, v2, v2
	v_fmac_f32_e32 v16, v0, v0
	v_div_scale_f32 v17, s[2:3], v16, v16, 1.0
	v_rcp_f32_e32 v18, v17
	v_div_scale_f32 v19, vcc, 1.0, v16, 1.0
	v_fma_f32 v8, -v17, v18, 1.0
	v_fmac_f32_e32 v18, v8, v18
	v_mul_f32_e32 v20, v19, v18
	v_fma_f32 v8, -v17, v20, v19
	v_fmac_f32_e32 v20, v8, v18
	ds_read_b64 v[8:9], v5
	ds_read_b64 v[10:11], v15
	v_fma_f32 v17, -v17, v20, v19
	v_div_fmas_f32 v17, v17, v18, v20
	v_div_fixup_f32 v16, v17, v16, 1.0
	s_waitcnt lgkmcnt(0)
	v_pk_add_f32 v[8:9], v[8:9], v[10:11] op_sel:[1,1] op_sel_hi:[0,0] neg_lo:[0,1] neg_hi:[0,1]
	v_xor_b32_e32 v10, 0x80000000, v9
	v_mov_b32_e32 v11, v8
	v_pk_mul_f32 v[10:11], v[2:3], v[10:11] op_sel_hi:[0,1]
	v_pk_fma_f32 v[8:9], v[8:9], v[0:1], v[10:11] op_sel_hi:[1,0,1]
	s_nop 0
	v_pk_mul_f32 v[8:9], v[16:17], v[8:9] op_sel_hi:[0,1]
	v_pk_mov_b32 v[10:11], v[8:9], v[8:9] op_sel:[1,0]
	ds_write_b64 v5, v[10:11]
	s_waitcnt lgkmcnt(0)
	ds_read_b64 v[10:11], v7
	ds_read_b64 v[16:17], v3
	s_waitcnt lgkmcnt(0)
	v_pk_fma_f32 v[16:17], v[8:9], v[10:11], v[16:17] op_sel:[1,0,0] op_sel_hi:[0,0,1]
	v_pk_fma_f32 v[8:9], v[8:9], v[10:11], v[16:17] op_sel:[0,1,0] neg_hi:[0,1,0]
	ds_write_b64 v3, v[8:9]
.LBB42_82:
	s_or_b64 exec, exec, s[4:5]
	v_cmp_eq_u32_e32 vcc, 1, v13
	s_waitcnt lgkmcnt(0)
	s_and_saveexec_b64 s[4:5], vcc
	s_cbranch_execz .LBB42_90
; %bb.83:
	v_mov_b32_e32 v8, 0
	ds_read2_b64 v[16:19], v8 offset0:77 offset1:89
	s_waitcnt lgkmcnt(0)
	v_sub_f32_e32 v0, v16, v18
	v_sub_f32_e32 v9, v17, v19
	v_cmp_gt_f32_e32 vcc, 0, v0
	s_nop 1
	v_cndmask_b32_e64 v0, v0, -v0, vcc
	v_cmp_gt_f32_e32 vcc, 0, v9
	s_nop 1
	v_cndmask_b32_e64 v2, v9, -v9, vcc
	v_cmp_gt_f32_e32 vcc, v0, v2
	s_cbranch_vccnz .LBB42_87
; %bb.84:
	v_cmp_eq_f32_e32 vcc, 0, v9
	s_cbranch_vccnz .LBB42_86
; %bb.85:
	v_div_scale_f32 v8, s[2:3], v2, v2, v0
	v_rcp_f32_e32 v9, v8
	v_div_scale_f32 v10, vcc, v0, v2, v0
	s_mov_b32 s2, 0xf800000
	v_fma_f32 v11, -v8, v9, 1.0
	v_fmac_f32_e32 v9, v11, v9
	v_mul_f32_e32 v11, v10, v9
	v_fma_f32 v16, -v8, v11, v10
	v_fmac_f32_e32 v11, v16, v9
	v_fma_f32 v8, -v8, v11, v10
	v_div_fmas_f32 v8, v8, v9, v11
	v_div_fixup_f32 v8, v8, v2, v0
	v_fma_f32 v8, v8, v8, 1.0
	v_mul_f32_e32 v9, 0x4f800000, v8
	v_cmp_gt_f32_e32 vcc, s2, v8
	s_nop 1
	v_cndmask_b32_e32 v8, v8, v9, vcc
	v_sqrt_f32_e32 v9, v8
	s_nop 0
	v_add_u32_e32 v10, -1, v9
	v_fma_f32 v11, -v10, v9, v8
	v_cmp_ge_f32_e64 s[2:3], 0, v11
	v_add_u32_e32 v11, 1, v9
	s_nop 0
	v_cndmask_b32_e64 v10, v9, v10, s[2:3]
	v_fma_f32 v9, -v11, v9, v8
	v_cmp_lt_f32_e64 s[2:3], 0, v9
	s_nop 1
	v_cndmask_b32_e64 v9, v10, v11, s[2:3]
	v_mul_f32_e32 v10, 0x37800000, v9
	v_cndmask_b32_e32 v9, v9, v10, vcc
	v_mov_b32_e32 v10, 0x260
	v_cmp_class_f32_e32 vcc, v8, v10
	s_nop 1
	v_cndmask_b32_e32 v8, v9, v8, vcc
	v_mul_f32_e32 v8, v2, v8
.LBB42_86:
	s_cbranch_execz .LBB42_88
	s_branch .LBB42_89
.LBB42_87:
                                        ; implicit-def: $vgpr8
.LBB42_88:
	v_div_scale_f32 v8, s[2:3], v0, v0, v2
	v_rcp_f32_e32 v9, v8
	v_div_scale_f32 v10, vcc, v2, v0, v2
	s_mov_b32 s2, 0xf800000
	v_fma_f32 v11, -v8, v9, 1.0
	v_fmac_f32_e32 v9, v11, v9
	v_mul_f32_e32 v11, v10, v9
	v_fma_f32 v16, -v8, v11, v10
	v_fmac_f32_e32 v11, v16, v9
	v_fma_f32 v8, -v8, v11, v10
	v_div_fmas_f32 v8, v8, v9, v11
	v_div_fixup_f32 v2, v8, v0, v2
	v_fma_f32 v2, v2, v2, 1.0
	v_mul_f32_e32 v8, 0x4f800000, v2
	v_cmp_gt_f32_e32 vcc, s2, v2
	s_nop 1
	v_cndmask_b32_e32 v2, v2, v8, vcc
	v_sqrt_f32_e32 v8, v2
	s_nop 0
	v_add_u32_e32 v9, -1, v8
	v_fma_f32 v10, -v9, v8, v2
	v_cmp_ge_f32_e64 s[2:3], 0, v10
	v_add_u32_e32 v10, 1, v8
	s_nop 0
	v_cndmask_b32_e64 v9, v8, v9, s[2:3]
	v_fma_f32 v8, -v10, v8, v2
	v_cmp_lt_f32_e64 s[2:3], 0, v8
	s_nop 1
	v_cndmask_b32_e64 v8, v9, v10, s[2:3]
	v_mul_f32_e32 v9, 0x37800000, v8
	v_cndmask_b32_e32 v8, v8, v9, vcc
	v_mov_b32_e32 v9, 0x260
	v_cmp_class_f32_e32 vcc, v2, v9
	s_nop 1
	v_cndmask_b32_e32 v2, v8, v2, vcc
	v_mul_f32_e32 v8, v0, v2
.LBB42_89:
	s_mov_b32 s2, 0xf800000
	v_mul_f32_e32 v0, 0x4f800000, v8
	v_cmp_gt_f32_e32 vcc, s2, v8
	s_nop 1
	v_cndmask_b32_e32 v0, v8, v0, vcc
	v_sqrt_f32_e32 v2, v0
	s_nop 0
	v_add_u32_e32 v8, -1, v2
	v_fma_f32 v9, -v8, v2, v0
	v_cmp_ge_f32_e64 s[2:3], 0, v9
	v_add_u32_e32 v9, 1, v2
	s_nop 0
	v_cndmask_b32_e64 v8, v2, v8, s[2:3]
	v_fma_f32 v2, -v9, v2, v0
	v_cmp_lt_f32_e64 s[2:3], 0, v2
	s_nop 1
	v_cndmask_b32_e64 v2, v8, v9, s[2:3]
	v_mul_f32_e32 v8, 0x37800000, v2
	v_cndmask_b32_e32 v2, v2, v8, vcc
	v_mov_b32_e32 v8, 0x260
	v_cmp_class_f32_e32 vcc, v0, v8
	v_mov_b32_e32 v9, 0
	s_nop 0
	v_cndmask_b32_e32 v8, v2, v0, vcc
	ds_write_b64 v9, v[8:9] offset:616
.LBB42_90:
	s_or_b64 exec, exec, s[4:5]
	v_mov_b32_e32 v0, 0
	s_waitcnt lgkmcnt(0)
	ds_read_b64 v[8:9], v0 offset:616
	s_waitcnt lgkmcnt(0)
	v_cmp_neq_f32_e32 vcc, 0, v8
	v_cmp_neq_f32_e64 s[2:3], 0, v9
	s_or_b64 vcc, vcc, s[2:3]
	v_cndmask_b32_e32 v0, 1.0, v8, vcc
	s_nor_b64 s[4:5], vcc, s[0:1]
	v_cndmask_b32_e32 v2, 0, v9, vcc
	s_and_saveexec_b64 s[2:3], s[4:5]
	s_cbranch_execz .LBB42_94
; %bb.91:
	v_mbcnt_lo_u32_b32 v0, exec_lo, 0
	v_mbcnt_hi_u32_b32 v0, exec_hi, v0
	v_cmp_eq_u32_e32 vcc, 0, v0
	s_and_saveexec_b64 s[4:5], vcc
	s_cbranch_execz .LBB42_93
; %bb.92:
	v_mov_b32_e32 v0, 0
	v_mov_b32_e32 v2, s20
	global_atomic_smin v0, v2, s[10:11]
.LBB42_93:
	s_or_b64 exec, exec, s[4:5]
	v_mov_b32_e32 v2, 0
	v_mov_b32_e32 v0, 1.0
.LBB42_94:
	s_or_b64 exec, exec, s[2:3]
	v_cmp_lt_u32_e32 vcc, 1, v13
	s_and_saveexec_b64 s[2:3], vcc
	s_cbranch_execz .LBB42_96
; %bb.95:
	v_mul_f32_e32 v16, v2, v2
	v_fmac_f32_e32 v16, v0, v0
	v_div_scale_f32 v17, s[4:5], v16, v16, 1.0
	v_rcp_f32_e32 v18, v17
	v_div_scale_f32 v19, vcc, 1.0, v16, 1.0
	v_fma_f32 v8, -v17, v18, 1.0
	v_fmac_f32_e32 v18, v8, v18
	v_mul_f32_e32 v20, v19, v18
	v_fma_f32 v8, -v17, v20, v19
	v_fmac_f32_e32 v20, v8, v18
	ds_read_b64 v[8:9], v5 offset:8
	ds_read_b64 v[10:11], v15 offset:8
	v_fma_f32 v17, -v17, v20, v19
	v_div_fmas_f32 v17, v17, v18, v20
	v_div_fixup_f32 v16, v17, v16, 1.0
	s_waitcnt lgkmcnt(0)
	v_pk_add_f32 v[8:9], v[8:9], v[10:11] op_sel:[1,1] op_sel_hi:[0,0] neg_lo:[0,1] neg_hi:[0,1]
	v_xor_b32_e32 v10, 0x80000000, v9
	v_mov_b32_e32 v11, v8
	v_pk_mul_f32 v[10:11], v[2:3], v[10:11] op_sel_hi:[0,1]
	v_pk_fma_f32 v[8:9], v[8:9], v[0:1], v[10:11] op_sel_hi:[1,0,1]
	s_nop 0
	v_pk_mul_f32 v[8:9], v[16:17], v[8:9] op_sel_hi:[0,1]
	v_pk_mov_b32 v[10:11], v[8:9], v[8:9] op_sel:[1,0]
	ds_write_b64 v5, v[10:11] offset:8
	s_waitcnt lgkmcnt(0)
	ds_read_b64 v[10:11], v7 offset:8
	ds_read_b64 v[16:17], v3
	s_waitcnt lgkmcnt(0)
	v_pk_fma_f32 v[16:17], v[8:9], v[10:11], v[16:17] op_sel:[1,0,0] op_sel_hi:[0,0,1]
	v_pk_fma_f32 v[8:9], v[8:9], v[10:11], v[16:17] op_sel:[0,1,0] neg_hi:[0,1,0]
	ds_write_b64 v3, v[8:9]
.LBB42_96:
	s_or_b64 exec, exec, s[2:3]
	v_cmp_eq_u32_e32 vcc, 2, v13
	s_waitcnt lgkmcnt(0)
	s_and_saveexec_b64 s[4:5], vcc
	s_cbranch_execz .LBB42_104
; %bb.97:
	v_mov_b32_e32 v8, 0
	ds_read2_b64 v[16:19], v8 offset0:82 offset1:94
	s_waitcnt lgkmcnt(0)
	v_sub_f32_e32 v0, v16, v18
	v_sub_f32_e32 v9, v17, v19
	v_cmp_gt_f32_e32 vcc, 0, v0
	s_nop 1
	v_cndmask_b32_e64 v0, v0, -v0, vcc
	v_cmp_gt_f32_e32 vcc, 0, v9
	s_nop 1
	v_cndmask_b32_e64 v2, v9, -v9, vcc
	v_cmp_gt_f32_e32 vcc, v0, v2
	s_cbranch_vccnz .LBB42_101
; %bb.98:
	v_cmp_eq_f32_e32 vcc, 0, v9
	s_cbranch_vccnz .LBB42_100
; %bb.99:
	v_div_scale_f32 v8, s[2:3], v2, v2, v0
	v_rcp_f32_e32 v9, v8
	v_div_scale_f32 v10, vcc, v0, v2, v0
	s_mov_b32 s2, 0xf800000
	v_fma_f32 v11, -v8, v9, 1.0
	v_fmac_f32_e32 v9, v11, v9
	v_mul_f32_e32 v11, v10, v9
	v_fma_f32 v16, -v8, v11, v10
	v_fmac_f32_e32 v11, v16, v9
	v_fma_f32 v8, -v8, v11, v10
	v_div_fmas_f32 v8, v8, v9, v11
	v_div_fixup_f32 v8, v8, v2, v0
	v_fma_f32 v8, v8, v8, 1.0
	v_mul_f32_e32 v9, 0x4f800000, v8
	v_cmp_gt_f32_e32 vcc, s2, v8
	s_nop 1
	v_cndmask_b32_e32 v8, v8, v9, vcc
	v_sqrt_f32_e32 v9, v8
	s_nop 0
	v_add_u32_e32 v10, -1, v9
	v_fma_f32 v11, -v10, v9, v8
	v_cmp_ge_f32_e64 s[2:3], 0, v11
	v_add_u32_e32 v11, 1, v9
	s_nop 0
	v_cndmask_b32_e64 v10, v9, v10, s[2:3]
	v_fma_f32 v9, -v11, v9, v8
	v_cmp_lt_f32_e64 s[2:3], 0, v9
	s_nop 1
	v_cndmask_b32_e64 v9, v10, v11, s[2:3]
	v_mul_f32_e32 v10, 0x37800000, v9
	v_cndmask_b32_e32 v9, v9, v10, vcc
	v_mov_b32_e32 v10, 0x260
	v_cmp_class_f32_e32 vcc, v8, v10
	s_nop 1
	v_cndmask_b32_e32 v8, v9, v8, vcc
	v_mul_f32_e32 v8, v2, v8
.LBB42_100:
	s_cbranch_execz .LBB42_102
	s_branch .LBB42_103
.LBB42_101:
                                        ; implicit-def: $vgpr8
.LBB42_102:
	v_div_scale_f32 v8, s[2:3], v0, v0, v2
	v_rcp_f32_e32 v9, v8
	v_div_scale_f32 v10, vcc, v2, v0, v2
	s_mov_b32 s2, 0xf800000
	v_fma_f32 v11, -v8, v9, 1.0
	v_fmac_f32_e32 v9, v11, v9
	v_mul_f32_e32 v11, v10, v9
	v_fma_f32 v16, -v8, v11, v10
	v_fmac_f32_e32 v11, v16, v9
	v_fma_f32 v8, -v8, v11, v10
	v_div_fmas_f32 v8, v8, v9, v11
	v_div_fixup_f32 v2, v8, v0, v2
	v_fma_f32 v2, v2, v2, 1.0
	v_mul_f32_e32 v8, 0x4f800000, v2
	v_cmp_gt_f32_e32 vcc, s2, v2
	s_nop 1
	v_cndmask_b32_e32 v2, v2, v8, vcc
	v_sqrt_f32_e32 v8, v2
	s_nop 0
	v_add_u32_e32 v9, -1, v8
	v_fma_f32 v10, -v9, v8, v2
	v_cmp_ge_f32_e64 s[2:3], 0, v10
	v_add_u32_e32 v10, 1, v8
	s_nop 0
	v_cndmask_b32_e64 v9, v8, v9, s[2:3]
	v_fma_f32 v8, -v10, v8, v2
	v_cmp_lt_f32_e64 s[2:3], 0, v8
	s_nop 1
	v_cndmask_b32_e64 v8, v9, v10, s[2:3]
	v_mul_f32_e32 v9, 0x37800000, v8
	v_cndmask_b32_e32 v8, v8, v9, vcc
	v_mov_b32_e32 v9, 0x260
	v_cmp_class_f32_e32 vcc, v2, v9
	s_nop 1
	v_cndmask_b32_e32 v2, v8, v2, vcc
	v_mul_f32_e32 v8, v0, v2
.LBB42_103:
	s_mov_b32 s2, 0xf800000
	v_mul_f32_e32 v0, 0x4f800000, v8
	v_cmp_gt_f32_e32 vcc, s2, v8
	s_nop 1
	v_cndmask_b32_e32 v0, v8, v0, vcc
	v_sqrt_f32_e32 v2, v0
	s_nop 0
	v_add_u32_e32 v8, -1, v2
	v_fma_f32 v9, -v8, v2, v0
	v_cmp_ge_f32_e64 s[2:3], 0, v9
	v_add_u32_e32 v9, 1, v2
	s_nop 0
	v_cndmask_b32_e64 v8, v2, v8, s[2:3]
	v_fma_f32 v2, -v9, v2, v0
	v_cmp_lt_f32_e64 s[2:3], 0, v2
	s_nop 1
	v_cndmask_b32_e64 v2, v8, v9, s[2:3]
	v_mul_f32_e32 v8, 0x37800000, v2
	v_cndmask_b32_e32 v2, v2, v8, vcc
	v_mov_b32_e32 v8, 0x260
	v_cmp_class_f32_e32 vcc, v0, v8
	v_mov_b32_e32 v9, 0
	s_nop 0
	v_cndmask_b32_e32 v8, v2, v0, vcc
	ds_write_b64 v9, v[8:9] offset:656
.LBB42_104:
	s_or_b64 exec, exec, s[4:5]
	v_mov_b32_e32 v0, 0
	s_waitcnt lgkmcnt(0)
	ds_read_b64 v[8:9], v0 offset:656
	s_waitcnt lgkmcnt(0)
	v_cmp_neq_f32_e32 vcc, 0, v8
	v_cmp_neq_f32_e64 s[2:3], 0, v9
	s_or_b64 vcc, vcc, s[2:3]
	v_cndmask_b32_e32 v0, 1.0, v8, vcc
	s_nor_b64 s[2:3], vcc, s[0:1]
	v_cndmask_b32_e32 v2, 0, v9, vcc
	s_and_saveexec_b64 s[0:1], s[2:3]
	s_cbranch_execz .LBB42_117
; %bb.105:
	v_mbcnt_lo_u32_b32 v0, exec_lo, 0
	v_mbcnt_hi_u32_b32 v0, exec_hi, v0
	v_cmp_eq_u32_e32 vcc, 0, v0
	s_and_saveexec_b64 s[2:3], vcc
	s_cbranch_execz .LBB42_107
; %bb.106:
	v_mov_b32_e32 v0, 0
	v_mov_b32_e32 v2, s20
	global_atomic_smin v0, v2, s[10:11]
.LBB42_107:
	s_or_b64 exec, exec, s[2:3]
	v_mov_b32_e32 v2, 0
	v_mov_b32_e32 v0, 1.0
	s_or_b64 exec, exec, s[0:1]
	v_cmp_lt_u32_e32 vcc, 2, v13
	s_and_saveexec_b64 s[0:1], vcc
	s_cbranch_execnz .LBB42_118
.LBB42_108:
	s_or_b64 exec, exec, s[0:1]
	s_andn2_b64 vcc, exec, s[12:13]
	s_cbranch_vccnz .LBB42_110
.LBB42_109:
	v_mov_b32_e32 v14, v1
.LBB42_110:
	ds_read_b64 v[0:1], v4
	v_add_u32_e32 v2, s30, v14
	v_ashrrev_i32_e32 v3, 31, v2
	v_lshl_add_u64 v[2:3], v[2:3], 3, s[18:19]
	v_cmp_eq_u32_e32 vcc, 0, v6
	s_waitcnt lgkmcnt(0)
	global_store_dwordx2 v[2:3], v[0:1], off
	s_and_saveexec_b64 s[0:1], vcc
	s_cbranch_execz .LBB42_112
; %bb.111:
	s_add_u32 s2, s6, s8
	s_addc_u32 s3, s7, s9
	v_mov_b32_e32 v0, 0
	v_mov_b32_e32 v1, 1
	buffer_wbl2 sc1
	s_waitcnt vmcnt(0)
	global_store_dword v0, v1, s[2:3] sc1
.LBB42_112:
	s_or_b64 exec, exec, s[0:1]
	s_branch .LBB42_72
.LBB42_113:
	v_or_b32_e32 v0, v12, v13
	v_cmp_eq_u32_e32 vcc, 0, v0
	s_and_saveexec_b64 s[0:1], vcc
	s_cbranch_execz .LBB42_72
; %bb.114:
	v_mbcnt_lo_u32_b32 v0, exec_lo, 0
	v_mbcnt_hi_u32_b32 v0, exec_hi, v0
	v_cmp_eq_u32_e32 vcc, 0, v0
	s_and_saveexec_b64 s[0:1], vcc
	s_cbranch_execz .LBB42_116
; %bb.115:
	s_add_i32 s2, s16, s17
	v_mov_b32_e32 v0, 0
	v_mov_b32_e32 v1, s2
	global_atomic_smin v0, v1, s[10:11]
.LBB42_116:
	s_or_b64 exec, exec, s[0:1]
	s_add_u32 s0, s6, s8
	s_addc_u32 s1, s7, s9
	v_mov_b32_e32 v0, 0
	v_mov_b32_e32 v1, 1
	buffer_wbl2 sc1
	s_waitcnt vmcnt(0)
	global_store_dword v0, v1, s[0:1] sc1
	s_endpgm
.LBB42_117:
	s_or_b64 exec, exec, s[0:1]
	v_cmp_lt_u32_e32 vcc, 2, v13
	s_and_saveexec_b64 s[0:1], vcc
	s_cbranch_execz .LBB42_108
.LBB42_118:
	v_mul_f32_e32 v16, v2, v2
	v_fmac_f32_e32 v16, v0, v0
	v_div_scale_f32 v17, s[2:3], v16, v16, 1.0
	v_rcp_f32_e32 v18, v17
	v_div_scale_f32 v19, vcc, 1.0, v16, 1.0
	v_fma_f32 v8, -v17, v18, 1.0
	v_fmac_f32_e32 v18, v8, v18
	v_mul_f32_e32 v20, v19, v18
	v_fma_f32 v8, -v17, v20, v19
	v_fmac_f32_e32 v20, v8, v18
	ds_read_b64 v[8:9], v5 offset:16
	ds_read_b64 v[10:11], v15 offset:16
	v_fma_f32 v15, -v17, v20, v19
	v_div_fmas_f32 v15, v15, v18, v20
	v_div_fixup_f32 v16, v15, v16, 1.0
	s_waitcnt lgkmcnt(0)
	v_pk_add_f32 v[8:9], v[8:9], v[10:11] op_sel:[1,1] op_sel_hi:[0,0] neg_lo:[0,1] neg_hi:[0,1]
	v_xor_b32_e32 v10, 0x80000000, v9
	v_mov_b32_e32 v11, v8
	v_pk_mul_f32 v[10:11], v[2:3], v[10:11] op_sel_hi:[0,1]
	v_pk_fma_f32 v[8:9], v[8:9], v[0:1], v[10:11] op_sel_hi:[1,0,1]
	s_nop 0
	v_pk_mul_f32 v[8:9], v[16:17], v[8:9] op_sel_hi:[0,1]
	v_pk_mov_b32 v[10:11], v[8:9], v[8:9] op_sel:[1,0]
	ds_write_b64 v5, v[10:11] offset:16
	s_waitcnt lgkmcnt(0)
	ds_read_b64 v[10:11], v7 offset:16
	ds_read_b64 v[16:17], v3
	s_waitcnt lgkmcnt(0)
	v_pk_fma_f32 v[16:17], v[8:9], v[10:11], v[16:17] op_sel:[1,0,0] op_sel_hi:[0,0,1]
	v_pk_fma_f32 v[8:9], v[8:9], v[10:11], v[16:17] op_sel:[0,1,0] neg_hi:[0,1,0]
	ds_write_b64 v3, v[8:9]
	s_or_b64 exec, exec, s[0:1]
	s_andn2_b64 vcc, exec, s[12:13]
	s_waitcnt lgkmcnt(0)
	s_cbranch_vccz .LBB42_109
	s_branch .LBB42_110
	.section	.rodata,"a",@progbits
	.p2align	6, 0x0
	.amdhsa_kernel _ZN9rocsparseL26bsric0_2_8_unrolled_kernelILi9ELi32ELi3E21rocsparse_complex_numIfEEEv20rocsparse_direction_iiPKiS5_PT2_S5_PiS5_S8_21rocsparse_index_base_
		.amdhsa_group_segment_fixed_size 768
		.amdhsa_private_segment_fixed_size 0
		.amdhsa_kernarg_size 76
		.amdhsa_user_sgpr_count 2
		.amdhsa_user_sgpr_dispatch_ptr 0
		.amdhsa_user_sgpr_queue_ptr 0
		.amdhsa_user_sgpr_kernarg_segment_ptr 1
		.amdhsa_user_sgpr_dispatch_id 0
		.amdhsa_user_sgpr_kernarg_preload_length 0
		.amdhsa_user_sgpr_kernarg_preload_offset 0
		.amdhsa_user_sgpr_private_segment_size 0
		.amdhsa_uses_dynamic_stack 0
		.amdhsa_enable_private_segment 0
		.amdhsa_system_sgpr_workgroup_id_x 1
		.amdhsa_system_sgpr_workgroup_id_y 0
		.amdhsa_system_sgpr_workgroup_id_z 0
		.amdhsa_system_sgpr_workgroup_info 0
		.amdhsa_system_vgpr_workitem_id 1
		.amdhsa_next_free_vgpr 68
		.amdhsa_next_free_sgpr 40
		.amdhsa_accum_offset 68
		.amdhsa_reserve_vcc 1
		.amdhsa_float_round_mode_32 0
		.amdhsa_float_round_mode_16_64 0
		.amdhsa_float_denorm_mode_32 3
		.amdhsa_float_denorm_mode_16_64 3
		.amdhsa_dx10_clamp 1
		.amdhsa_ieee_mode 1
		.amdhsa_fp16_overflow 0
		.amdhsa_tg_split 0
		.amdhsa_exception_fp_ieee_invalid_op 0
		.amdhsa_exception_fp_denorm_src 0
		.amdhsa_exception_fp_ieee_div_zero 0
		.amdhsa_exception_fp_ieee_overflow 0
		.amdhsa_exception_fp_ieee_underflow 0
		.amdhsa_exception_fp_ieee_inexact 0
		.amdhsa_exception_int_div_zero 0
	.end_amdhsa_kernel
	.section	.text._ZN9rocsparseL26bsric0_2_8_unrolled_kernelILi9ELi32ELi3E21rocsparse_complex_numIfEEEv20rocsparse_direction_iiPKiS5_PT2_S5_PiS5_S8_21rocsparse_index_base_,"axG",@progbits,_ZN9rocsparseL26bsric0_2_8_unrolled_kernelILi9ELi32ELi3E21rocsparse_complex_numIfEEEv20rocsparse_direction_iiPKiS5_PT2_S5_PiS5_S8_21rocsparse_index_base_,comdat
.Lfunc_end42:
	.size	_ZN9rocsparseL26bsric0_2_8_unrolled_kernelILi9ELi32ELi3E21rocsparse_complex_numIfEEEv20rocsparse_direction_iiPKiS5_PT2_S5_PiS5_S8_21rocsparse_index_base_, .Lfunc_end42-_ZN9rocsparseL26bsric0_2_8_unrolled_kernelILi9ELi32ELi3E21rocsparse_complex_numIfEEEv20rocsparse_direction_iiPKiS5_PT2_S5_PiS5_S8_21rocsparse_index_base_
                                        ; -- End function
	.set _ZN9rocsparseL26bsric0_2_8_unrolled_kernelILi9ELi32ELi3E21rocsparse_complex_numIfEEEv20rocsparse_direction_iiPKiS5_PT2_S5_PiS5_S8_21rocsparse_index_base_.num_vgpr, 68
	.set _ZN9rocsparseL26bsric0_2_8_unrolled_kernelILi9ELi32ELi3E21rocsparse_complex_numIfEEEv20rocsparse_direction_iiPKiS5_PT2_S5_PiS5_S8_21rocsparse_index_base_.num_agpr, 0
	.set _ZN9rocsparseL26bsric0_2_8_unrolled_kernelILi9ELi32ELi3E21rocsparse_complex_numIfEEEv20rocsparse_direction_iiPKiS5_PT2_S5_PiS5_S8_21rocsparse_index_base_.numbered_sgpr, 40
	.set _ZN9rocsparseL26bsric0_2_8_unrolled_kernelILi9ELi32ELi3E21rocsparse_complex_numIfEEEv20rocsparse_direction_iiPKiS5_PT2_S5_PiS5_S8_21rocsparse_index_base_.num_named_barrier, 0
	.set _ZN9rocsparseL26bsric0_2_8_unrolled_kernelILi9ELi32ELi3E21rocsparse_complex_numIfEEEv20rocsparse_direction_iiPKiS5_PT2_S5_PiS5_S8_21rocsparse_index_base_.private_seg_size, 0
	.set _ZN9rocsparseL26bsric0_2_8_unrolled_kernelILi9ELi32ELi3E21rocsparse_complex_numIfEEEv20rocsparse_direction_iiPKiS5_PT2_S5_PiS5_S8_21rocsparse_index_base_.uses_vcc, 1
	.set _ZN9rocsparseL26bsric0_2_8_unrolled_kernelILi9ELi32ELi3E21rocsparse_complex_numIfEEEv20rocsparse_direction_iiPKiS5_PT2_S5_PiS5_S8_21rocsparse_index_base_.uses_flat_scratch, 0
	.set _ZN9rocsparseL26bsric0_2_8_unrolled_kernelILi9ELi32ELi3E21rocsparse_complex_numIfEEEv20rocsparse_direction_iiPKiS5_PT2_S5_PiS5_S8_21rocsparse_index_base_.has_dyn_sized_stack, 0
	.set _ZN9rocsparseL26bsric0_2_8_unrolled_kernelILi9ELi32ELi3E21rocsparse_complex_numIfEEEv20rocsparse_direction_iiPKiS5_PT2_S5_PiS5_S8_21rocsparse_index_base_.has_recursion, 0
	.set _ZN9rocsparseL26bsric0_2_8_unrolled_kernelILi9ELi32ELi3E21rocsparse_complex_numIfEEEv20rocsparse_direction_iiPKiS5_PT2_S5_PiS5_S8_21rocsparse_index_base_.has_indirect_call, 0
	.section	.AMDGPU.csdata,"",@progbits
; Kernel info:
; codeLenInByte = 7996
; TotalNumSgprs: 46
; NumVgprs: 68
; NumAgprs: 0
; TotalNumVgprs: 68
; ScratchSize: 0
; MemoryBound: 0
; FloatMode: 240
; IeeeMode: 1
; LDSByteSize: 768 bytes/workgroup (compile time only)
; SGPRBlocks: 5
; VGPRBlocks: 8
; NumSGPRsForWavesPerEU: 46
; NumVGPRsForWavesPerEU: 68
; AccumOffset: 68
; Occupancy: 7
; WaveLimiterHint : 1
; COMPUTE_PGM_RSRC2:SCRATCH_EN: 0
; COMPUTE_PGM_RSRC2:USER_SGPR: 2
; COMPUTE_PGM_RSRC2:TRAP_HANDLER: 0
; COMPUTE_PGM_RSRC2:TGID_X_EN: 1
; COMPUTE_PGM_RSRC2:TGID_Y_EN: 0
; COMPUTE_PGM_RSRC2:TGID_Z_EN: 0
; COMPUTE_PGM_RSRC2:TIDIG_COMP_CNT: 1
; COMPUTE_PGM_RSRC3_GFX90A:ACCUM_OFFSET: 16
; COMPUTE_PGM_RSRC3_GFX90A:TG_SPLIT: 0
	.section	.text._ZN9rocsparseL26bsric0_2_8_unrolled_kernelILi16ELi32ELi4E21rocsparse_complex_numIfEEEv20rocsparse_direction_iiPKiS5_PT2_S5_PiS5_S8_21rocsparse_index_base_,"axG",@progbits,_ZN9rocsparseL26bsric0_2_8_unrolled_kernelILi16ELi32ELi4E21rocsparse_complex_numIfEEEv20rocsparse_direction_iiPKiS5_PT2_S5_PiS5_S8_21rocsparse_index_base_,comdat
	.globl	_ZN9rocsparseL26bsric0_2_8_unrolled_kernelILi16ELi32ELi4E21rocsparse_complex_numIfEEEv20rocsparse_direction_iiPKiS5_PT2_S5_PiS5_S8_21rocsparse_index_base_ ; -- Begin function _ZN9rocsparseL26bsric0_2_8_unrolled_kernelILi16ELi32ELi4E21rocsparse_complex_numIfEEEv20rocsparse_direction_iiPKiS5_PT2_S5_PiS5_S8_21rocsparse_index_base_
	.p2align	8
	.type	_ZN9rocsparseL26bsric0_2_8_unrolled_kernelILi16ELi32ELi4E21rocsparse_complex_numIfEEEv20rocsparse_direction_iiPKiS5_PT2_S5_PiS5_S8_21rocsparse_index_base_,@function
_ZN9rocsparseL26bsric0_2_8_unrolled_kernelILi16ELi32ELi4E21rocsparse_complex_numIfEEEv20rocsparse_direction_iiPKiS5_PT2_S5_PiS5_S8_21rocsparse_index_base_: ; @_ZN9rocsparseL26bsric0_2_8_unrolled_kernelILi16ELi32ELi4E21rocsparse_complex_numIfEEEv20rocsparse_direction_iiPKiS5_PT2_S5_PiS5_S8_21rocsparse_index_base_
; %bb.0:
	s_load_dwordx8 s[4:11], s[0:1], 0x28
	s_mov_b32 s3, 0
	s_lshl_b64 s[2:3], s[2:3], 2
	v_and_b32_e32 v8, 0x3ff, v0
	v_bfe_u32 v9, v0, 10, 10
	s_waitcnt lgkmcnt(0)
	s_add_u32 s2, s8, s2
	s_addc_u32 s3, s9, s3
	s_load_dword s16, s[2:3], 0x0
	s_waitcnt lgkmcnt(0)
	s_ashr_i32 s17, s16, 31
	s_lshl_b64 s[8:9], s[16:17], 2
	s_add_u32 s2, s4, s8
	s_addc_u32 s3, s5, s9
	s_load_dword s30, s[2:3], 0x0
	s_load_dword s17, s[0:1], 0x48
	s_waitcnt lgkmcnt(0)
	s_cmp_lg_u32 s30, -1
	s_cbranch_scc0 .LBB43_16
; %bb.1:
	s_load_dwordx4 s[12:15], s[0:1], 0x10
	v_lshlrev_b32_e32 v14, 2, v9
	v_add_u32_e32 v13, v14, v8
	s_waitcnt lgkmcnt(0)
	s_add_u32 s2, s12, s8
	s_addc_u32 s3, s13, s9
	s_load_dword s24, s[2:3], 0x0
	s_waitcnt lgkmcnt(0)
	s_sub_i32 s31, s24, s17
	v_add_u32_e32 v0, s31, v13
	v_cmp_ge_i32_e32 vcc, s30, v0
	s_and_saveexec_b64 s[2:3], vcc
	s_cbranch_execz .LBB43_14
; %bb.2:
	v_add_u32_e32 v1, s24, v13
	v_subrev_u32_e32 v1, s17, v1
	v_add_u32_e32 v1, 16, v1
	s_add_i32 s18, s30, 1
	v_max_i32_e32 v1, s18, v1
	v_not_b32_e32 v2, v8
	v_add3_u32 v1, s17, v1, v2
	v_add_u32_e32 v2, s24, v14
	v_sub_u32_e32 v1, v1, v2
	v_cmp_lt_u32_e32 vcc, 15, v1
	s_mov_b64 s[20:21], -1
	s_and_saveexec_b64 s[18:19], vcc
	s_cbranch_execz .LBB43_11
; %bb.3:
	v_lshrrev_b32_e32 v4, 4, v1
	v_add_u32_e32 v2, -1, v4
	v_add_u32_e32 v1, 16, v0
	v_lshrrev_b32_e32 v3, 1, v2
	v_add_u32_e32 v5, 1, v3
	v_cmp_lt_u32_e32 vcc, 13, v2
	v_mov_b64_e32 v[2:3], v[0:1]
	s_and_saveexec_b64 s[20:21], vcc
	s_cbranch_execz .LBB43_7
; %bb.4:
	v_and_b32_e32 v6, -8, v5
	s_mov_b64 s[22:23], 0
	v_mov_b64_e32 v[2:3], v[0:1]
.LBB43_5:                               ; =>This Inner Loop Header: Depth=1
	v_ashrrev_i32_e32 v17, 31, v2
	v_mov_b32_e32 v16, v2
	v_ashrrev_i32_e32 v11, 31, v3
	v_mov_b32_e32 v10, v3
	v_add_u32_e32 v18, 32, v2
	v_add_u32_e32 v20, 32, v3
	v_lshl_add_u64 v[16:17], v[16:17], 2, s[14:15]
	v_add_u32_e32 v22, 64, v2
	v_add_u32_e32 v24, 64, v3
	;; [unrolled: 1-line block ×12, first 2 shown]
	v_lshl_add_u64 v[10:11], v[10:11], 2, s[14:15]
	v_ashrrev_i32_e32 v21, 31, v20
	v_ashrrev_i32_e32 v19, 31, v18
	global_load_dword v1, v[16:17], off
	global_load_dword v7, v[10:11], off
	v_ashrrev_i32_e32 v25, 31, v24
	v_ashrrev_i32_e32 v23, 31, v22
	;; [unrolled: 1-line block ×12, first 2 shown]
	v_lshl_add_u64 v[10:11], v[18:19], 2, s[14:15]
	v_lshl_add_u64 v[16:17], v[20:21], 2, s[14:15]
	;; [unrolled: 1-line block ×13, first 2 shown]
	global_load_dword v12, v[16:17], off
	v_lshl_add_u64 v[16:17], v[44:45], 2, s[14:15]
	global_load_dword v15, v[10:11], off
	global_load_dword v19, v[48:49], off
	;; [unrolled: 1-line block ×13, first 2 shown]
	v_subrev_u32_e32 v11, s31, v2
	v_add_u32_e32 v6, -8, v6
	v_subrev_u32_e32 v10, s31, v3
	v_lshlrev_b32_e32 v11, 2, v11
	v_subrev_u32_e32 v17, s31, v18
	v_cmp_eq_u32_e32 vcc, 0, v6
	v_add_u32_e32 v3, 0x100, v3
	v_add_u32_e32 v2, 0x100, v2
	v_lshlrev_b32_e32 v10, 2, v10
	v_subrev_u32_e32 v16, s31, v20
	v_subrev_u32_e32 v18, s31, v24
	;; [unrolled: 1-line block ×13, first 2 shown]
	v_lshlrev_b32_e32 v17, 2, v17
	s_or_b64 s[22:23], vcc, s[22:23]
	v_lshlrev_b32_e32 v16, 2, v16
	v_lshlrev_b32_e32 v20, 2, v20
	;; [unrolled: 1-line block ×13, first 2 shown]
	s_waitcnt vmcnt(15)
	v_subrev_u32_e32 v1, s17, v1
	s_waitcnt vmcnt(14)
	v_subrev_u32_e32 v7, s17, v7
	ds_write_b32 v11, v1 offset:896
	ds_write_b32 v10, v7 offset:896
	s_waitcnt vmcnt(12)
	v_subrev_u32_e32 v7, s17, v15
	s_waitcnt vmcnt(11)
	v_subrev_u32_e32 v10, s17, v19
	;; [unrolled: 2-line block ×8, first 2 shown]
	v_subrev_u32_e32 v1, s17, v12
	v_subrev_u32_e32 v12, s17, v23
	;; [unrolled: 1-line block ×3, first 2 shown]
	s_waitcnt vmcnt(2)
	v_subrev_u32_e32 v29, s17, v37
	s_waitcnt vmcnt(1)
	v_subrev_u32_e32 v31, s17, v39
	;; [unrolled: 2-line block ×3, first 2 shown]
	ds_write_b32 v17, v7 offset:896
	ds_write_b32 v16, v1 offset:896
	;; [unrolled: 1-line block ×14, first 2 shown]
	s_andn2_b64 exec, exec, s[22:23]
	s_cbranch_execnz .LBB43_5
; %bb.6:
	s_or_b64 exec, exec, s[22:23]
.LBB43_7:
	s_or_b64 exec, exec, s[20:21]
	v_and_b32_e32 v1, 7, v5
	v_cmp_ne_u32_e32 vcc, 0, v1
	s_and_saveexec_b64 s[20:21], vcc
	s_cbranch_execz .LBB43_10
; %bb.8:
	s_mov_b64 s[22:23], 0
.LBB43_9:                               ; =>This Inner Loop Header: Depth=1
	v_ashrrev_i32_e32 v7, 31, v3
	v_mov_b32_e32 v6, v3
	v_ashrrev_i32_e32 v11, 31, v2
	v_mov_b32_e32 v10, v2
	v_lshl_add_u64 v[6:7], v[6:7], 2, s[14:15]
	v_lshl_add_u64 v[10:11], v[10:11], 2, s[14:15]
	global_load_dword v5, v[6:7], off
	global_load_dword v12, v[10:11], off
	v_add_u32_e32 v1, -1, v1
	v_subrev_u32_e32 v7, s31, v2
	v_cmp_eq_u32_e32 vcc, 0, v1
	v_subrev_u32_e32 v6, s31, v3
	v_add_u32_e32 v3, 32, v3
	v_add_u32_e32 v2, 32, v2
	v_lshlrev_b32_e32 v7, 2, v7
	s_or_b64 s[22:23], vcc, s[22:23]
	v_lshlrev_b32_e32 v6, 2, v6
	s_waitcnt vmcnt(1)
	v_subrev_u32_e32 v5, s17, v5
	s_waitcnt vmcnt(0)
	v_subrev_u32_e32 v10, s17, v12
	ds_write_b32 v7, v10 offset:896
	ds_write_b32 v6, v5 offset:896
	s_andn2_b64 exec, exec, s[22:23]
	s_cbranch_execnz .LBB43_9
.LBB43_10:
	s_or_b64 exec, exec, s[20:21]
	v_add_u32_e32 v1, 1, v4
	v_and_b32_e32 v2, 0x1ffffffe, v1
	v_cmp_ne_u32_e32 vcc, v1, v2
	v_lshl_add_u32 v0, v2, 4, v0
	s_orn2_b64 s[20:21], vcc, exec
.LBB43_11:
	s_or_b64 exec, exec, s[18:19]
	s_and_b64 exec, exec, s[20:21]
	s_cbranch_execz .LBB43_14
; %bb.12:
	v_add_u32_e32 v1, s17, v0
	v_subrev_u32_e32 v1, s24, v1
	v_mov_b32_e32 v2, 0x380
	v_lshl_add_u32 v4, v1, 2, v2
	v_ashrrev_i32_e32 v1, 31, v0
	v_lshl_add_u64 v[2:3], v[0:1], 2, s[14:15]
	s_mov_b64 s[18:19], 0
.LBB43_13:                              ; =>This Inner Loop Header: Depth=1
	global_load_dword v1, v[2:3], off
	v_add_u32_e32 v0, 16, v0
	v_cmp_lt_i32_e32 vcc, s30, v0
	v_lshl_add_u64 v[2:3], v[2:3], 0, 64
	s_or_b64 s[18:19], vcc, s[18:19]
	s_waitcnt vmcnt(0)
	v_subrev_u32_e32 v1, s17, v1
	ds_write_b32 v4, v1
	v_add_u32_e32 v4, 64, v4
	s_andn2_b64 exec, exec, s[18:19]
	s_cbranch_execnz .LBB43_13
.LBB43_14:
	s_or_b64 exec, exec, s[2:3]
	s_load_dwordx2 s[18:19], s[0:1], 0x20
	v_mov_b32_e32 v0, 0x1e0
	v_mad_u32_u24 v11, v9, 40, v0
	v_mov_b32_e32 v0, 0
	v_lshl_add_u32 v10, v8, 3, v11
	v_mov_b32_e32 v1, v0
	s_cmp_lt_i32 s31, s30
	ds_write_b64 v10, v[0:1]
	s_waitcnt lgkmcnt(0)
	s_cbranch_scc1 .LBB43_18
; %bb.15:
	v_lshl_add_u32 v15, v8, 2, v9
	v_or_b32_e32 v12, v8, v9
	s_load_dword s33, s[0:1], 0x0
	s_cbranch_execz .LBB43_19
	s_branch .LBB43_60
.LBB43_16:
	s_cbranch_execnz .LBB43_119
.LBB43_17:
	s_endpgm
.LBB43_18:
                                        ; implicit-def: $vgpr15
                                        ; implicit-def: $vgpr12
	s_load_dword s33, s[0:1], 0x0
.LBB43_19:
	s_waitcnt lgkmcnt(0)
	s_cmp_lg_u32 s33, 0
	s_cselect_b64 s[20:21], -1, 0
	s_cmp_eq_u32 s33, 0
	v_lshlrev_b32_e32 v16, 2, v8
	v_mov_b32_e32 v0, 0x140
	v_mov_b32_e32 v2, 0xa0
	v_add_u32_e32 v15, v16, v9
	v_mad_u32_u24 v17, v9, 40, v0
	v_lshlrev_b32_e32 v1, 3, v8
	v_mad_u32_u24 v20, v9, 40, v2
	v_or_b32_e32 v12, v8, v9
	s_cselect_b64 vcc, -1, 0
	v_add_u32_e32 v18, v17, v1
	v_mad_u32_u24 v19, v9, 40, v1
	v_add_u32_e32 v21, v20, v1
	v_mad_u32_u24 v22, v8, 40, v0
	v_cmp_ne_u32_e64 s[0:1], 0, v12
	v_cndmask_b32_e32 v23, v15, v13, vcc
	v_mov_b32_e32 v24, 0
	s_mov_b32 s22, s31
	s_branch .LBB43_22
.LBB43_20:                              ;   in Loop: Header=BB43_22 Depth=1
	s_or_b64 exec, exec, s[24:25]
	v_mov_b32_e32 v4, 0
	v_mov_b32_e32 v2, 1.0
.LBB43_21:                              ;   in Loop: Header=BB43_22 Depth=1
	s_or_b64 exec, exec, s[2:3]
	v_mul_f32_e32 v3, v4, v4
	v_fmac_f32_e32 v3, v2, v2
	v_div_scale_f32 v5, s[2:3], v3, v3, 1.0
	v_rcp_f32_e32 v25, v5
	ds_read_b64 v[34:35], v17 offset:16
	ds_read2_b64 v[26:29], v17 offset1:1
	s_add_i32 s22, s22, 1
	s_cmp_ge_i32 s22, s30
	v_fma_f32 v30, -v5, v25, 1.0
	v_fmac_f32_e32 v25, v30, v25
	v_div_scale_f32 v30, vcc, 1.0, v3, 1.0
	v_mul_f32_e32 v38, v30, v25
	v_fma_f32 v31, -v5, v38, v30
	v_fmac_f32_e32 v38, v31, v25
	v_fma_f32 v5, -v5, v38, v30
	ds_read2_b64 v[30:33], v24 offset0:15 offset1:16
	ds_read_b64 v[36:37], v20 offset:24
	ds_read_b64 v[40:41], v24 offset:136
	v_div_fmas_f32 v5, v5, v25, v38
	v_div_fixup_f32 v38, v5, v3, 1.0
	s_cselect_b64 s[2:3], -1, 0
	s_waitcnt lgkmcnt(1)
	v_pk_fma_f32 v[36:37], v[30:31], v[26:27], v[36:37] op_sel_hi:[1,0,1]
	s_nop 0
	v_pk_fma_f32 v[26:27], v[30:31], v[26:27], v[36:37] op_sel:[0,1,1] op_sel_hi:[1,1,0] neg_lo:[0,1,0]
	s_nop 0
	v_pk_fma_f32 v[26:27], v[32:33], v[28:29], v[26:27] op_sel:[1,0,0] op_sel_hi:[0,0,1]
	v_mov_b32_e32 v28, v29
	v_pk_fma_f32 v[26:27], v[32:33], v[28:29], v[26:27] op_sel_hi:[1,0,1] neg_lo:[0,1,0]
	v_mov_b32_e32 v28, v7
	s_waitcnt lgkmcnt(0)
	v_pk_fma_f32 v[26:27], v[40:41], v[34:35], v[26:27] op_sel:[1,0,0] op_sel_hi:[0,0,1]
	v_pk_fma_f32 v[26:27], v[40:41], v[34:35], v[26:27] op_sel:[0,1,0] neg_lo:[0,1,0]
	v_mov_b32_e32 v29, v6
	v_pk_add_f32 v[6:7], v[28:29], v[26:27] neg_lo:[0,1] neg_hi:[0,1]
	s_nop 0
	v_xor_b32_e32 v26, 0x80000000, v7
	v_mov_b32_e32 v27, v6
	v_pk_mul_f32 v[4:5], v[4:5], v[26:27] op_sel_hi:[0,1]
	v_pk_fma_f32 v[2:3], v[6:7], v[2:3], v[4:5] op_sel_hi:[1,0,1]
	s_nop 0
	v_pk_mul_f32 v[2:3], v[38:39], v[2:3] op_sel_hi:[0,1]
	v_pk_mov_b32 v[4:5], v[2:3], v[2:3] op_sel:[1,0]
	ds_write_b64 v17, v[4:5] offset:24
	s_waitcnt lgkmcnt(0)
	ds_read_b64 v[4:5], v22 offset:24
	ds_read_b64 v[6:7], v10
	s_waitcnt lgkmcnt(0)
	v_pk_fma_f32 v[6:7], v[2:3], v[4:5], v[6:7] op_sel:[1,0,0] op_sel_hi:[0,0,1]
	v_pk_fma_f32 v[2:3], v[2:3], v[4:5], v[6:7] op_sel:[0,1,0] neg_hi:[0,1,0]
	ds_write_b64 v10, v[2:3]
	s_waitcnt lgkmcnt(0)
	ds_read_b64 v[2:3], v18
	s_waitcnt lgkmcnt(0)
	global_store_dwordx2 v[0:1], v[2:3], off
	buffer_wbl2 sc1
	s_waitcnt vmcnt(0)
	buffer_inv sc1
	s_and_b64 vcc, exec, s[2:3]
	s_cbranch_vccnz .LBB43_60
.LBB43_22:                              ; =>This Loop Header: Depth=1
                                        ;     Child Loop BB43_25 Depth 2
                                        ;     Child Loop BB43_36 Depth 2
	;; [unrolled: 1-line block ×3, first 2 shown]
	s_ashr_i32 s23, s22, 31
	s_lshl_b64 s[2:3], s[22:23], 2
	s_add_u32 s2, s14, s2
	s_addc_u32 s3, s15, s3
	s_load_dword s23, s[2:3], 0x0
	s_waitcnt lgkmcnt(0)
	s_sub_i32 s24, s23, s17
	s_ashr_i32 s25, s24, 31
	s_lshl_b64 s[2:3], s[24:25], 2
	s_add_u32 s26, s4, s2
	s_addc_u32 s27, s5, s3
	s_load_dword s25, s[26:27], 0x0
	s_waitcnt lgkmcnt(0)
	s_cmp_eq_u32 s25, -1
	s_cbranch_scc1 .LBB43_59
; %bb.23:                               ;   in Loop: Header=BB43_22 Depth=1
	v_lshl_add_u32 v0, s22, 4, v23
	v_ashrrev_i32_e32 v1, 31, v0
	v_lshl_add_u64 v[0:1], v[0:1], 3, s[18:19]
	global_load_dwordx2 v[2:3], v[0:1], off
	s_add_u32 s26, s12, s2
	s_addc_u32 s27, s13, s3
	s_load_dword s26, s[26:27], 0x0
	ds_read_b32 v4, v24 offset:896
	s_mov_b32 s27, 0
	s_waitcnt lgkmcnt(0)
	s_sub_i32 s26, s26, s17
	s_cmp_le_i32 s26, s25
	v_cmp_ge_i32_e32 vcc, s24, v4
	s_cselect_b64 s[28:29], -1, 0
	s_and_b64 s[28:29], s[28:29], vcc
	s_andn2_b64 vcc, exec, s[28:29]
	s_waitcnt vmcnt(0)
	ds_write_b64 v18, v[2:3]
	s_cbranch_vccnz .LBB43_35
; %bb.24:                               ;   in Loop: Header=BB43_22 Depth=1
	s_mov_b32 s34, 0
	s_mov_b32 s35, 0
.LBB43_25:                              ;   Parent Loop BB43_22 Depth=1
                                        ; =>  This Inner Loop Header: Depth=2
	s_ashr_i32 s27, s26, 31
	s_lshl_b64 s[28:29], s[26:27], 2
	s_add_u32 s28, s14, s28
	s_addc_u32 s29, s15, s29
	s_load_dword s27, s[28:29], 0x0
	s_lshl_b32 s28, s35, 2
	v_mov_b32_e32 v2, s28
	ds_read_b32 v2, v2 offset:896
	s_mov_b64 s[28:29], -1
	s_waitcnt lgkmcnt(0)
	s_sub_i32 s39, s27, s17
                                        ; implicit-def: $sgpr27
                                        ; implicit-def: $sgpr38
                                        ; implicit-def: $sgpr37
	v_cmp_ge_i32_e32 vcc, s39, v2
	v_readfirstlane_b32 s36, v2
	s_cbranch_vccz .LBB43_31
; %bb.26:                               ;   in Loop: Header=BB43_25 Depth=2
	s_cmp_le_i32 s39, s36
                                        ; implicit-def: $sgpr27
                                        ; implicit-def: $sgpr38
                                        ; implicit-def: $sgpr37
	s_cbranch_scc0 .LBB43_28
; %bb.27:                               ;   in Loop: Header=BB43_25 Depth=2
	s_add_i32 s27, s35, s31
	s_lshl_b32 s27, s27, 4
	s_lshl_b32 s28, s34, 2
	v_mov_b32_e32 v3, s27
	s_lshl_b32 s27, s26, 4
	v_mov_b32_e32 v2, s28
	v_mov_b32_e32 v4, s27
	ds_write2_b32 v2, v4, v3 offset0:160 offset1:192
	s_add_i32 s37, s35, 1
	s_add_i32 s38, s26, 1
	;; [unrolled: 1-line block ×3, first 2 shown]
	s_mov_b64 s[28:29], 0
.LBB43_28:                              ;   in Loop: Header=BB43_25 Depth=2
	s_andn2_b64 vcc, exec, s[28:29]
	s_cbranch_vccnz .LBB43_30
; %bb.29:                               ;   in Loop: Header=BB43_25 Depth=2
	s_add_i32 s37, s35, 1
	s_mov_b32 s27, s34
	s_mov_b32 s38, s26
.LBB43_30:                              ;   in Loop: Header=BB43_25 Depth=2
	s_mov_b64 s[28:29], 0
.LBB43_31:                              ;   in Loop: Header=BB43_25 Depth=2
	s_andn2_b64 vcc, exec, s[28:29]
	s_cbranch_vccnz .LBB43_33
; %bb.32:                               ;   in Loop: Header=BB43_25 Depth=2
	s_add_i32 s38, s26, 1
	s_mov_b32 s37, s35
	s_mov_b32 s27, s34
.LBB43_33:                              ;   in Loop: Header=BB43_25 Depth=2
	s_cmp_le_i32 s38, s25
	s_cselect_b64 s[28:29], -1, 0
	s_cmp_le_i32 s36, s24
	s_cselect_b64 s[34:35], -1, 0
	s_and_b64 s[28:29], s[28:29], s[34:35]
	s_and_b64 vcc, exec, s[28:29]
	s_cbranch_vccz .LBB43_35
; %bb.34:                               ;   in Loop: Header=BB43_25 Depth=2
	s_mov_b32 s34, s27
	s_mov_b32 s26, s38
	;; [unrolled: 1-line block ×3, first 2 shown]
	s_branch .LBB43_25
.LBB43_35:                              ;   in Loop: Header=BB43_22 Depth=1
	s_add_u32 s2, s6, s2
	s_addc_u32 s3, s7, s3
	s_waitcnt lgkmcnt(0)
.LBB43_36:                              ;   Parent Loop BB43_22 Depth=1
                                        ; =>  This Inner Loop Header: Depth=2
	global_load_dword v2, v24, s[2:3] sc1
	s_waitcnt vmcnt(0)
	v_cmp_eq_u32_e32 vcc, 0, v2
	s_cbranch_vccnz .LBB43_36
; %bb.37:                               ;   in Loop: Header=BB43_22 Depth=1
	v_lshl_add_u32 v2, s25, 4, v23
	v_ashrrev_i32_e32 v3, 31, v2
	v_lshl_add_u64 v[2:3], v[2:3], 3, s[18:19]
	buffer_inv sc1
	global_load_dwordx2 v[2:3], v[2:3], off
	v_mov_b32_e32 v7, 0
	s_cmp_lt_i32 s27, 2
	v_mov_b32_e32 v6, v7
	s_waitcnt vmcnt(0)
	ds_write_b64 v19, v[2:3]
	s_waitcnt lgkmcnt(0)
	s_cbranch_scc1 .LBB43_44
; %bb.38:                               ;   in Loop: Header=BB43_22 Depth=1
	v_mov_b32_e32 v6, 0
	s_add_i32 s24, s27, -1
	s_movk_i32 s25, 0x280
	v_mov_b32_e32 v7, v6
	s_branch .LBB43_40
.LBB43_39:                              ;   in Loop: Header=BB43_40 Depth=2
	s_add_i32 s24, s24, -1
	s_add_i32 s25, s25, 4
	s_cmp_eq_u32 s24, 0
	s_cbranch_scc1 .LBB43_44
.LBB43_40:                              ;   Parent Loop BB43_22 Depth=1
                                        ; =>  This Inner Loop Header: Depth=2
	s_waitcnt lgkmcnt(0)
	v_mov_b32_e32 v4, s25
	ds_read2_b32 v[4:5], v4 offset1:32
	v_mov_b32_e32 v2, v6
	v_mov_b32_e32 v3, v7
	s_mov_b64 s[2:3], -1
	s_and_b64 vcc, exec, s[20:21]
                                        ; implicit-def: $vgpr7
	s_cbranch_vccz .LBB43_42
; %bb.41:                               ;   in Loop: Header=BB43_40 Depth=2
	s_waitcnt lgkmcnt(0)
	v_add_u32_e32 v6, v4, v8
	v_add_u32_e32 v28, v5, v9
	v_ashrrev_i32_e32 v29, 31, v28
	v_add_u32_e32 v32, 4, v6
	v_add_u32_e32 v34, 4, v28
	v_ashrrev_i32_e32 v7, 31, v6
	v_lshl_add_u64 v[30:31], v[28:29], 3, s[18:19]
	v_ashrrev_i32_e32 v33, 31, v32
	v_ashrrev_i32_e32 v35, 31, v34
	v_lshl_add_u64 v[26:27], v[6:7], 3, s[18:19]
	v_lshl_add_u64 v[32:33], v[32:33], 3, s[18:19]
	;; [unrolled: 1-line block ×3, first 2 shown]
	global_load_dwordx2 v[40:41], v[30:31], off
	global_load_dwordx2 v[42:43], v[34:35], off
	;; [unrolled: 1-line block ×4, first 2 shown]
	v_add_u32_e32 v38, 8, v28
	v_add_u32_e32 v36, 8, v6
	v_ashrrev_i32_e32 v39, 31, v38
	v_add_u32_e32 v6, 12, v6
	v_ashrrev_i32_e32 v37, 31, v36
	v_lshl_add_u64 v[38:39], v[38:39], 3, s[18:19]
	v_ashrrev_i32_e32 v7, 31, v6
	v_add_u32_e32 v28, 12, v28
	v_lshl_add_u64 v[36:37], v[36:37], 3, s[18:19]
	v_lshl_add_u64 v[6:7], v[6:7], 3, s[18:19]
	v_ashrrev_i32_e32 v29, 31, v28
	global_load_dwordx2 v[26:27], v[38:39], off
	global_load_dwordx2 v[30:31], v[6:7], off
	;; [unrolled: 1-line block ×3, first 2 shown]
	v_lshl_add_u64 v[6:7], v[28:29], 3, s[18:19]
	global_load_dwordx2 v[6:7], v[6:7], off
	s_waitcnt vmcnt(4)
	v_pk_fma_f32 v[28:29], v[46:47], v[40:41], v[2:3] op_sel_hi:[1,0,1]
	s_nop 0
	v_pk_fma_f32 v[28:29], v[46:47], v[40:41], v[28:29] op_sel:[1,1,0] op_sel_hi:[0,1,1] neg_hi:[0,1,0]
	v_pk_fma_f32 v[28:29], v[44:45], v[42:43], v[28:29] op_sel_hi:[1,0,1]
	s_nop 0
	v_pk_fma_f32 v[28:29], v[44:45], v[42:43], v[28:29] op_sel:[1,1,0] op_sel_hi:[0,1,1] neg_hi:[0,1,0]
	s_waitcnt vmcnt(1)
	v_pk_fma_f32 v[28:29], v[32:33], v[26:27], v[28:29] op_sel_hi:[1,0,1]
	s_nop 0
	v_pk_fma_f32 v[26:27], v[32:33], v[26:27], v[28:29] op_sel:[1,1,0] op_sel_hi:[0,1,1] neg_hi:[0,1,0]
	s_waitcnt vmcnt(0)
	v_pk_fma_f32 v[26:27], v[30:31], v[6:7], v[26:27] op_sel_hi:[1,0,1]
	s_nop 0
	v_pk_fma_f32 v[6:7], v[30:31], v[6:7], v[26:27] op_sel:[1,1,0] op_sel_hi:[0,1,1] neg_hi:[0,1,0]
	s_cbranch_execnz .LBB43_39
	s_branch .LBB43_43
.LBB43_42:                              ;   in Loop: Header=BB43_40 Depth=2
	s_andn2_b64 vcc, exec, s[2:3]
	s_cbranch_vccnz .LBB43_39
.LBB43_43:                              ;   in Loop: Header=BB43_40 Depth=2
	s_waitcnt lgkmcnt(0)
	v_add_u32_e32 v6, v4, v16
	v_ashrrev_i32_e32 v7, 31, v6
	v_add_u32_e32 v4, v5, v14
	v_lshl_add_u64 v[38:39], v[6:7], 3, s[18:19]
	v_ashrrev_i32_e32 v5, 31, v4
	v_lshl_add_u64 v[40:41], v[4:5], 3, s[18:19]
	global_load_dwordx4 v[4:7], v[38:39], off
	global_load_dwordx4 v[26:29], v[40:41], off
	global_load_dwordx4 v[30:33], v[40:41], off offset:16
	global_load_dwordx4 v[34:37], v[38:39], off offset:16
	s_waitcnt vmcnt(2)
	v_pk_fma_f32 v[2:3], v[4:5], v[26:27], v[2:3] op_sel_hi:[1,0,1]
	s_nop 0
	v_pk_fma_f32 v[2:3], v[4:5], v[26:27], v[2:3] op_sel:[1,1,0] op_sel_hi:[0,1,1] neg_hi:[0,1,0]
	v_mov_b32_e32 v38, v29
	v_pk_fma_f32 v[2:3], v[6:7], v[28:29], v[2:3] op_sel_hi:[1,0,1]
	s_waitcnt vmcnt(1)
	v_mov_b32_e32 v4, v33
	v_pk_fma_f32 v[2:3], v[6:7], v[38:39], v[2:3] op_sel:[1,0,0] op_sel_hi:[0,0,1] neg_hi:[0,1,0]
	s_waitcnt vmcnt(0)
	v_pk_fma_f32 v[2:3], v[34:35], v[30:31], v[2:3] op_sel_hi:[1,0,1]
	s_nop 0
	v_pk_fma_f32 v[2:3], v[34:35], v[30:31], v[2:3] op_sel:[1,1,0] op_sel_hi:[0,1,1] neg_hi:[0,1,0]
	v_pk_fma_f32 v[2:3], v[36:37], v[32:33], v[2:3] op_sel_hi:[1,0,1]
	s_nop 0
	v_pk_fma_f32 v[6:7], v[36:37], v[4:5], v[2:3] op_sel:[1,0,0] op_sel_hi:[0,0,1] neg_hi:[0,1,0]
	s_branch .LBB43_39
.LBB43_44:                              ;   in Loop: Header=BB43_22 Depth=1
	ds_write_b64 v21, v[6:7]
	s_waitcnt lgkmcnt(0)
	ds_read_b64 v[2:3], v24
	ds_read_b64 v[6:7], v17
	s_waitcnt lgkmcnt(1)
	v_cmp_neq_f32_e32 vcc, 0, v2
	v_cmp_neq_f32_e64 s[2:3], 0, v3
	s_or_b64 vcc, vcc, s[2:3]
	v_cndmask_b32_e32 v2, 1.0, v2, vcc
	s_nor_b64 s[24:25], vcc, s[0:1]
	v_cndmask_b32_e32 v4, 0, v3, vcc
	s_and_saveexec_b64 s[2:3], s[24:25]
	s_cbranch_execz .LBB43_48
; %bb.45:                               ;   in Loop: Header=BB43_22 Depth=1
	v_mbcnt_lo_u32_b32 v2, exec_lo, 0
	v_mbcnt_hi_u32_b32 v2, exec_hi, v2
	v_cmp_eq_u32_e32 vcc, 0, v2
	s_and_saveexec_b64 s[24:25], vcc
	s_cbranch_execz .LBB43_47
; %bb.46:                               ;   in Loop: Header=BB43_22 Depth=1
	v_mov_b32_e32 v2, s23
	global_atomic_smin v24, v2, s[10:11]
.LBB43_47:                              ;   in Loop: Header=BB43_22 Depth=1
	s_or_b64 exec, exec, s[24:25]
	v_mov_b32_e32 v4, 0
	v_mov_b32_e32 v2, 1.0
.LBB43_48:                              ;   in Loop: Header=BB43_22 Depth=1
	s_or_b64 exec, exec, s[2:3]
	v_mul_f32_e32 v3, v4, v4
	v_fmac_f32_e32 v3, v2, v2
	v_div_scale_f32 v5, s[2:3], v3, v3, 1.0
	v_rcp_f32_e32 v25, v5
	v_div_scale_f32 v26, vcc, 1.0, v3, 1.0
	s_waitcnt lgkmcnt(0)
	v_mov_b32_e32 v30, v7
	v_fma_f32 v27, -v5, v25, 1.0
	v_fmac_f32_e32 v25, v27, v25
	v_mul_f32_e32 v28, v26, v25
	v_fma_f32 v27, -v5, v28, v26
	v_fmac_f32_e32 v28, v27, v25
	v_fma_f32 v5, -v5, v28, v26
	ds_read_b64 v[26:27], v20
	v_mov_b32_e32 v31, v6
	v_div_fmas_f32 v5, v5, v25, v28
	v_div_fixup_f32 v28, v5, v3, 1.0
	s_waitcnt lgkmcnt(0)
	v_pk_add_f32 v[6:7], v[30:31], v[26:27] op_sel:[0,1] op_sel_hi:[1,0] neg_lo:[0,1] neg_hi:[0,1]
	s_nop 0
	v_xor_b32_e32 v26, 0x80000000, v7
	v_mov_b32_e32 v27, v6
	v_pk_mul_f32 v[4:5], v[4:5], v[26:27] op_sel_hi:[0,1]
	v_pk_fma_f32 v[2:3], v[6:7], v[2:3], v[4:5] op_sel_hi:[1,0,1]
	s_nop 0
	v_pk_mul_f32 v[2:3], v[28:29], v[2:3] op_sel_hi:[0,1]
	v_pk_mov_b32 v[4:5], v[2:3], v[2:3] op_sel:[1,0]
	ds_write_b64 v17, v[4:5]
	s_waitcnt lgkmcnt(0)
	ds_read_b64 v[4:5], v22
	ds_read_b64 v[6:7], v10
	s_waitcnt lgkmcnt(0)
	v_pk_fma_f32 v[6:7], v[2:3], v[4:5], v[6:7] op_sel:[1,0,0] op_sel_hi:[0,0,1]
	v_pk_fma_f32 v[2:3], v[2:3], v[4:5], v[6:7] op_sel:[0,1,0] neg_hi:[0,1,0]
	ds_write_b64 v10, v[2:3]
	s_waitcnt lgkmcnt(0)
	ds_read_b64 v[2:3], v24 offset:48
	ds_read_b64 v[6:7], v17 offset:8
	s_waitcnt lgkmcnt(1)
	v_cmp_neq_f32_e32 vcc, 0, v2
	v_cmp_neq_f32_e64 s[2:3], 0, v3
	s_or_b64 vcc, vcc, s[2:3]
	v_cndmask_b32_e32 v2, 1.0, v2, vcc
	s_nor_b64 s[24:25], vcc, s[0:1]
	v_cndmask_b32_e32 v4, 0, v3, vcc
	s_and_saveexec_b64 s[2:3], s[24:25]
	s_cbranch_execz .LBB43_52
; %bb.49:                               ;   in Loop: Header=BB43_22 Depth=1
	v_mbcnt_lo_u32_b32 v2, exec_lo, 0
	v_mbcnt_hi_u32_b32 v2, exec_hi, v2
	v_cmp_eq_u32_e32 vcc, 0, v2
	s_and_saveexec_b64 s[24:25], vcc
	s_cbranch_execz .LBB43_51
; %bb.50:                               ;   in Loop: Header=BB43_22 Depth=1
	v_mov_b32_e32 v2, s23
	global_atomic_smin v24, v2, s[10:11]
.LBB43_51:                              ;   in Loop: Header=BB43_22 Depth=1
	s_or_b64 exec, exec, s[24:25]
	v_mov_b32_e32 v4, 0
	v_mov_b32_e32 v2, 1.0
.LBB43_52:                              ;   in Loop: Header=BB43_22 Depth=1
	s_or_b64 exec, exec, s[2:3]
	v_mul_f32_e32 v3, v4, v4
	v_fmac_f32_e32 v3, v2, v2
	v_div_scale_f32 v5, s[2:3], v3, v3, 1.0
	v_rcp_f32_e32 v25, v5
	v_div_scale_f32 v32, vcc, 1.0, v3, 1.0
	v_fma_f32 v26, -v5, v25, 1.0
	v_fmac_f32_e32 v25, v26, v25
	v_mul_f32_e32 v33, v32, v25
	v_fma_f32 v26, -v5, v33, v32
	v_fmac_f32_e32 v33, v26, v25
	ds_read_b64 v[26:27], v17
	ds_read_b64 v[28:29], v24 offset:40
	ds_read_b64 v[30:31], v20 offset:8
	v_fma_f32 v5, -v5, v33, v32
	v_div_fmas_f32 v5, v5, v25, v33
	v_div_fixup_f32 v32, v5, v3, 1.0
	s_waitcnt lgkmcnt(0)
	v_pk_fma_f32 v[30:31], v[28:29], v[26:27], v[30:31] op_sel_hi:[1,0,1]
	s_nop 0
	v_pk_fma_f32 v[26:27], v[28:29], v[26:27], v[30:31] op_sel:[0,1,1] op_sel_hi:[1,1,0] neg_lo:[0,1,0]
	v_mov_b32_e32 v28, v7
	v_mov_b32_e32 v29, v6
	v_pk_add_f32 v[6:7], v[28:29], v[26:27] neg_lo:[0,1] neg_hi:[0,1]
	s_nop 0
	v_xor_b32_e32 v26, 0x80000000, v7
	v_mov_b32_e32 v27, v6
	v_pk_mul_f32 v[4:5], v[4:5], v[26:27] op_sel_hi:[0,1]
	v_pk_fma_f32 v[2:3], v[6:7], v[2:3], v[4:5] op_sel_hi:[1,0,1]
	s_nop 0
	v_pk_mul_f32 v[2:3], v[32:33], v[2:3] op_sel_hi:[0,1]
	v_pk_mov_b32 v[4:5], v[2:3], v[2:3] op_sel:[1,0]
	ds_write_b64 v17, v[4:5] offset:8
	s_waitcnt lgkmcnt(0)
	ds_read_b64 v[4:5], v22 offset:8
	ds_read_b64 v[6:7], v10
	s_waitcnt lgkmcnt(0)
	v_pk_fma_f32 v[6:7], v[2:3], v[4:5], v[6:7] op_sel:[1,0,0] op_sel_hi:[0,0,1]
	v_pk_fma_f32 v[2:3], v[2:3], v[4:5], v[6:7] op_sel:[0,1,0] neg_hi:[0,1,0]
	ds_write_b64 v10, v[2:3]
	s_waitcnt lgkmcnt(0)
	ds_read_b64 v[2:3], v24 offset:96
	ds_read_b64 v[6:7], v17 offset:16
	s_waitcnt lgkmcnt(1)
	v_cmp_neq_f32_e32 vcc, 0, v2
	v_cmp_neq_f32_e64 s[2:3], 0, v3
	s_or_b64 vcc, vcc, s[2:3]
	v_cndmask_b32_e32 v2, 1.0, v2, vcc
	s_nor_b64 s[24:25], vcc, s[0:1]
	v_cndmask_b32_e32 v4, 0, v3, vcc
	s_and_saveexec_b64 s[2:3], s[24:25]
	s_cbranch_execz .LBB43_56
; %bb.53:                               ;   in Loop: Header=BB43_22 Depth=1
	v_mbcnt_lo_u32_b32 v2, exec_lo, 0
	v_mbcnt_hi_u32_b32 v2, exec_hi, v2
	v_cmp_eq_u32_e32 vcc, 0, v2
	s_and_saveexec_b64 s[24:25], vcc
	s_cbranch_execz .LBB43_55
; %bb.54:                               ;   in Loop: Header=BB43_22 Depth=1
	v_mov_b32_e32 v2, s23
	global_atomic_smin v24, v2, s[10:11]
.LBB43_55:                              ;   in Loop: Header=BB43_22 Depth=1
	s_or_b64 exec, exec, s[24:25]
	v_mov_b32_e32 v4, 0
	v_mov_b32_e32 v2, 1.0
.LBB43_56:                              ;   in Loop: Header=BB43_22 Depth=1
	s_or_b64 exec, exec, s[2:3]
	v_mul_f32_e32 v3, v4, v4
	v_fmac_f32_e32 v3, v2, v2
	v_div_scale_f32 v5, s[2:3], v3, v3, 1.0
	v_rcp_f32_e32 v25, v5
	v_div_scale_f32 v36, vcc, 1.0, v3, 1.0
	v_fma_f32 v26, -v5, v25, 1.0
	v_fmac_f32_e32 v25, v26, v25
	v_mul_f32_e32 v37, v36, v25
	v_fma_f32 v26, -v5, v37, v36
	v_fmac_f32_e32 v37, v26, v25
	ds_read_b128 v[26:29], v24 offset:80
	ds_read2_b64 v[30:33], v17 offset1:1
	ds_read_b64 v[34:35], v20 offset:16
	v_fma_f32 v5, -v5, v37, v36
	v_div_fmas_f32 v5, v5, v25, v37
	v_div_fixup_f32 v36, v5, v3, 1.0
	s_waitcnt lgkmcnt(0)
	v_pk_fma_f32 v[34:35], v[26:27], v[30:31], v[34:35] op_sel_hi:[1,0,1]
	s_nop 0
	v_pk_fma_f32 v[26:27], v[26:27], v[30:31], v[34:35] op_sel:[0,1,1] op_sel_hi:[1,1,0] neg_lo:[0,1,0]
	v_mov_b32_e32 v30, v33
	v_pk_fma_f32 v[26:27], v[28:29], v[32:33], v[26:27] op_sel:[1,0,0] op_sel_hi:[0,0,1]
	v_pk_fma_f32 v[26:27], v[28:29], v[30:31], v[26:27] op_sel_hi:[1,0,1] neg_lo:[0,1,0]
	v_mov_b32_e32 v28, v7
	v_mov_b32_e32 v29, v6
	v_pk_add_f32 v[6:7], v[28:29], v[26:27] neg_lo:[0,1] neg_hi:[0,1]
	s_nop 0
	v_xor_b32_e32 v26, 0x80000000, v7
	v_mov_b32_e32 v27, v6
	v_pk_mul_f32 v[4:5], v[4:5], v[26:27] op_sel_hi:[0,1]
	v_pk_fma_f32 v[2:3], v[6:7], v[2:3], v[4:5] op_sel_hi:[1,0,1]
	s_nop 0
	v_pk_mul_f32 v[2:3], v[36:37], v[2:3] op_sel_hi:[0,1]
	v_pk_mov_b32 v[4:5], v[2:3], v[2:3] op_sel:[1,0]
	ds_write_b64 v17, v[4:5] offset:16
	s_waitcnt lgkmcnt(0)
	ds_read_b64 v[4:5], v22 offset:16
	ds_read_b64 v[6:7], v10
	s_waitcnt lgkmcnt(0)
	v_pk_fma_f32 v[6:7], v[2:3], v[4:5], v[6:7] op_sel:[1,0,0] op_sel_hi:[0,0,1]
	v_pk_fma_f32 v[2:3], v[2:3], v[4:5], v[6:7] op_sel:[0,1,0] neg_hi:[0,1,0]
	ds_write_b64 v10, v[2:3]
	s_waitcnt lgkmcnt(0)
	ds_read_b64 v[2:3], v24 offset:144
	ds_read_b64 v[6:7], v17 offset:24
	s_waitcnt lgkmcnt(1)
	v_cmp_neq_f32_e32 vcc, 0, v2
	v_cmp_neq_f32_e64 s[2:3], 0, v3
	s_or_b64 vcc, vcc, s[2:3]
	v_cndmask_b32_e32 v2, 1.0, v2, vcc
	s_nor_b64 s[24:25], vcc, s[0:1]
	v_cndmask_b32_e32 v4, 0, v3, vcc
	s_and_saveexec_b64 s[2:3], s[24:25]
	s_cbranch_execz .LBB43_21
; %bb.57:                               ;   in Loop: Header=BB43_22 Depth=1
	v_mbcnt_lo_u32_b32 v2, exec_lo, 0
	v_mbcnt_hi_u32_b32 v2, exec_hi, v2
	v_cmp_eq_u32_e32 vcc, 0, v2
	s_and_saveexec_b64 s[24:25], vcc
	s_cbranch_execz .LBB43_20
; %bb.58:                               ;   in Loop: Header=BB43_22 Depth=1
	v_mov_b32_e32 v2, s23
	global_atomic_smin v24, v2, s[10:11]
	s_branch .LBB43_20
.LBB43_59:                              ;   in Loop: Header=BB43_22 Depth=1
                                        ; implicit-def: $sgpr22
	s_cbranch_execz .LBB43_22
.LBB43_60:
	s_waitcnt lgkmcnt(0)
	s_cmp_eq_u32 s33, 0
	s_cselect_b64 vcc, -1, 0
	v_cndmask_b32_e32 v0, v15, v13, vcc
	v_lshl_add_u32 v0, s30, 4, v0
	v_ashrrev_i32_e32 v1, 31, v0
	v_lshl_add_u64 v[0:1], v[0:1], 3, s[18:19]
	global_load_dwordx2 v[6:7], v[0:1], off
	v_mov_b32_e32 v2, 0x140
	v_mad_u32_u24 v5, v9, 40, v2
	v_cmp_ne_u32_e64 s[2:3], 0, v9
	v_lshl_add_u32 v3, v8, 3, v5
	v_cmp_eq_u32_e32 vcc, 0, v9
	s_waitcnt vmcnt(0)
	ds_write_b64 v3, v[6:7]
	s_waitcnt lgkmcnt(0)
	s_and_saveexec_b64 s[4:5], vcc
	s_cbranch_execz .LBB43_68
; %bb.61:
	v_mov_b32_e32 v6, 0
	ds_read2_b64 v[14:17], v6 offset0:40 offset1:60
	s_waitcnt lgkmcnt(0)
	v_sub_f32_e32 v2, v14, v16
	v_sub_f32_e32 v7, v15, v17
	v_cmp_gt_f32_e32 vcc, 0, v2
	s_nop 1
	v_cndmask_b32_e64 v2, v2, -v2, vcc
	v_cmp_gt_f32_e32 vcc, 0, v7
	s_nop 1
	v_cndmask_b32_e64 v4, v7, -v7, vcc
	v_cmp_ngt_f32_e32 vcc, v2, v4
	s_cbranch_vccz .LBB43_65
; %bb.62:
	v_cmp_eq_f32_e32 vcc, 0, v7
	s_cbranch_vccnz .LBB43_64
; %bb.63:
	v_div_scale_f32 v6, s[0:1], v4, v4, v2
	v_rcp_f32_e32 v7, v6
	v_div_scale_f32 v13, vcc, v2, v4, v2
	s_mov_b32 s0, 0xf800000
	v_fma_f32 v14, -v6, v7, 1.0
	v_fmac_f32_e32 v7, v14, v7
	v_mul_f32_e32 v14, v13, v7
	v_fma_f32 v15, -v6, v14, v13
	v_fmac_f32_e32 v14, v15, v7
	v_fma_f32 v6, -v6, v14, v13
	v_div_fmas_f32 v6, v6, v7, v14
	v_div_fixup_f32 v6, v6, v4, v2
	v_fma_f32 v6, v6, v6, 1.0
	v_mul_f32_e32 v7, 0x4f800000, v6
	v_cmp_gt_f32_e32 vcc, s0, v6
	s_nop 1
	v_cndmask_b32_e32 v6, v6, v7, vcc
	v_sqrt_f32_e32 v7, v6
	s_nop 0
	v_add_u32_e32 v13, -1, v7
	v_fma_f32 v14, -v13, v7, v6
	v_cmp_ge_f32_e64 s[0:1], 0, v14
	v_add_u32_e32 v14, 1, v7
	s_nop 0
	v_cndmask_b32_e64 v13, v7, v13, s[0:1]
	v_fma_f32 v7, -v14, v7, v6
	v_cmp_lt_f32_e64 s[0:1], 0, v7
	s_nop 1
	v_cndmask_b32_e64 v7, v13, v14, s[0:1]
	v_mul_f32_e32 v13, 0x37800000, v7
	v_cndmask_b32_e32 v7, v7, v13, vcc
	v_mov_b32_e32 v13, 0x260
	v_cmp_class_f32_e32 vcc, v6, v13
	s_nop 1
	v_cndmask_b32_e32 v6, v7, v6, vcc
	v_mul_f32_e32 v6, v4, v6
.LBB43_64:
	s_cbranch_execz .LBB43_66
	s_branch .LBB43_67
.LBB43_65:
                                        ; implicit-def: $vgpr6
.LBB43_66:
	v_div_scale_f32 v6, s[0:1], v2, v2, v4
	v_rcp_f32_e32 v7, v6
	v_div_scale_f32 v13, vcc, v4, v2, v4
	s_mov_b32 s0, 0xf800000
	v_fma_f32 v14, -v6, v7, 1.0
	v_fmac_f32_e32 v7, v14, v7
	v_mul_f32_e32 v14, v13, v7
	v_fma_f32 v15, -v6, v14, v13
	v_fmac_f32_e32 v14, v15, v7
	v_fma_f32 v6, -v6, v14, v13
	v_div_fmas_f32 v6, v6, v7, v14
	v_div_fixup_f32 v4, v6, v2, v4
	v_fma_f32 v4, v4, v4, 1.0
	v_mul_f32_e32 v6, 0x4f800000, v4
	v_cmp_gt_f32_e32 vcc, s0, v4
	s_nop 1
	v_cndmask_b32_e32 v4, v4, v6, vcc
	v_sqrt_f32_e32 v6, v4
	s_nop 0
	v_add_u32_e32 v7, -1, v6
	v_fma_f32 v13, -v7, v6, v4
	v_cmp_ge_f32_e64 s[0:1], 0, v13
	v_add_u32_e32 v13, 1, v6
	s_nop 0
	v_cndmask_b32_e64 v7, v6, v7, s[0:1]
	v_fma_f32 v6, -v13, v6, v4
	v_cmp_lt_f32_e64 s[0:1], 0, v6
	s_nop 1
	v_cndmask_b32_e64 v6, v7, v13, s[0:1]
	v_mul_f32_e32 v7, 0x37800000, v6
	v_cndmask_b32_e32 v6, v6, v7, vcc
	v_mov_b32_e32 v7, 0x260
	v_cmp_class_f32_e32 vcc, v4, v7
	s_nop 1
	v_cndmask_b32_e32 v4, v6, v4, vcc
	v_mul_f32_e32 v6, v2, v4
.LBB43_67:
	s_mov_b32 s0, 0xf800000
	v_mul_f32_e32 v2, 0x4f800000, v6
	v_cmp_gt_f32_e32 vcc, s0, v6
	s_nop 1
	v_cndmask_b32_e32 v2, v6, v2, vcc
	v_sqrt_f32_e32 v4, v2
	s_nop 0
	v_add_u32_e32 v6, -1, v4
	v_fma_f32 v7, -v6, v4, v2
	v_cmp_ge_f32_e64 s[0:1], 0, v7
	v_add_u32_e32 v7, 1, v4
	s_nop 0
	v_cndmask_b32_e64 v6, v4, v6, s[0:1]
	v_fma_f32 v4, -v7, v4, v2
	v_cmp_lt_f32_e64 s[0:1], 0, v4
	s_nop 1
	v_cndmask_b32_e64 v4, v6, v7, s[0:1]
	v_mul_f32_e32 v6, 0x37800000, v4
	v_cndmask_b32_e32 v4, v4, v6, vcc
	v_mov_b32_e32 v6, 0x260
	v_cmp_class_f32_e32 vcc, v2, v6
	v_mov_b32_e32 v7, 0
	s_nop 0
	v_cndmask_b32_e32 v6, v4, v2, vcc
	ds_write_b64 v7, v[6:7] offset:320
.LBB43_68:
	s_or_b64 exec, exec, s[4:5]
	v_mov_b32_e32 v2, 0
	s_waitcnt lgkmcnt(0)
	ds_read_b64 v[6:7], v2 offset:320
	v_cmp_ne_u32_e64 s[0:1], 0, v12
	s_add_i32 s14, s16, s17
	s_waitcnt lgkmcnt(0)
	v_cmp_neq_f32_e32 vcc, 0, v6
	v_cmp_neq_f32_e64 s[4:5], 0, v7
	s_or_b64 vcc, vcc, s[4:5]
	v_cndmask_b32_e32 v2, 1.0, v6, vcc
	s_nor_b64 s[12:13], vcc, s[0:1]
	v_cndmask_b32_e32 v4, 0, v7, vcc
	s_and_saveexec_b64 s[4:5], s[12:13]
	s_cbranch_execz .LBB43_72
; %bb.69:
	v_mbcnt_lo_u32_b32 v2, exec_lo, 0
	v_mbcnt_hi_u32_b32 v2, exec_hi, v2
	v_cmp_eq_u32_e32 vcc, 0, v2
	s_and_saveexec_b64 s[12:13], vcc
	s_cbranch_execz .LBB43_71
; %bb.70:
	v_mov_b32_e32 v2, 0
	v_mov_b32_e32 v4, s14
	global_atomic_smin v2, v4, s[10:11]
.LBB43_71:
	s_or_b64 exec, exec, s[12:13]
	v_mov_b32_e32 v4, 0
	v_mov_b32_e32 v2, 1.0
.LBB43_72:
	s_or_b64 exec, exec, s[4:5]
	v_mov_b32_e32 v6, 0x140
	v_mad_u32_u24 v6, v8, 40, v6
	s_and_saveexec_b64 s[4:5], s[2:3]
	s_cbranch_execz .LBB43_74
; %bb.73:
	v_mul_f32_e32 v7, v4, v4
	v_fmac_f32_e32 v7, v2, v2
	v_div_scale_f32 v13, s[2:3], v7, v7, 1.0
	v_rcp_f32_e32 v18, v13
	v_div_scale_f32 v19, vcc, 1.0, v7, 1.0
	v_fma_f32 v14, -v13, v18, 1.0
	v_fmac_f32_e32 v18, v14, v18
	v_mul_f32_e32 v20, v19, v18
	v_fma_f32 v14, -v13, v20, v19
	v_fmac_f32_e32 v20, v14, v18
	ds_read_b64 v[14:15], v5
	ds_read_b64 v[16:17], v11
	v_fma_f32 v13, -v13, v20, v19
	v_div_fmas_f32 v13, v13, v18, v20
	v_div_fixup_f32 v18, v13, v7, 1.0
	s_waitcnt lgkmcnt(0)
	v_pk_add_f32 v[14:15], v[14:15], v[16:17] op_sel:[1,1] op_sel_hi:[0,0] neg_lo:[0,1] neg_hi:[0,1]
	v_xor_b32_e32 v16, 0x80000000, v15
	v_mov_b32_e32 v17, v14
	v_pk_mul_f32 v[16:17], v[4:5], v[16:17] op_sel_hi:[0,1]
	v_pk_fma_f32 v[14:15], v[14:15], v[2:3], v[16:17] op_sel_hi:[1,0,1]
	s_nop 0
	v_pk_mul_f32 v[14:15], v[18:19], v[14:15] op_sel_hi:[0,1]
	v_pk_mov_b32 v[16:17], v[14:15], v[14:15] op_sel:[1,0]
	ds_write_b64 v5, v[16:17]
	s_waitcnt lgkmcnt(0)
	ds_read_b64 v[16:17], v6
	ds_read_b64 v[18:19], v10
	s_waitcnt lgkmcnt(0)
	v_pk_fma_f32 v[18:19], v[14:15], v[16:17], v[18:19] op_sel:[1,0,0] op_sel_hi:[0,0,1]
	v_pk_fma_f32 v[14:15], v[14:15], v[16:17], v[18:19] op_sel:[0,1,0] neg_hi:[0,1,0]
	ds_write_b64 v10, v[14:15]
.LBB43_74:
	s_or_b64 exec, exec, s[4:5]
	v_cmp_eq_u32_e32 vcc, 1, v9
	s_waitcnt lgkmcnt(0)
	s_and_saveexec_b64 s[4:5], vcc
	s_cbranch_execz .LBB43_82
; %bb.75:
	v_mov_b32_e32 v7, 0
	ds_read2_b64 v[14:17], v7 offset0:46 offset1:66
	s_waitcnt lgkmcnt(0)
	v_sub_f32_e32 v2, v14, v16
	v_sub_f32_e32 v13, v15, v17
	v_cmp_gt_f32_e32 vcc, 0, v2
	s_nop 1
	v_cndmask_b32_e64 v2, v2, -v2, vcc
	v_cmp_gt_f32_e32 vcc, 0, v13
	s_nop 1
	v_cndmask_b32_e64 v4, v13, -v13, vcc
	v_cmp_gt_f32_e32 vcc, v2, v4
	s_cbranch_vccnz .LBB43_79
; %bb.76:
	v_cmp_eq_f32_e32 vcc, 0, v13
	s_cbranch_vccnz .LBB43_78
; %bb.77:
	v_div_scale_f32 v7, s[2:3], v4, v4, v2
	v_rcp_f32_e32 v13, v7
	v_div_scale_f32 v14, vcc, v2, v4, v2
	s_mov_b32 s2, 0xf800000
	v_fma_f32 v15, -v7, v13, 1.0
	v_fmac_f32_e32 v13, v15, v13
	v_mul_f32_e32 v15, v14, v13
	v_fma_f32 v16, -v7, v15, v14
	v_fmac_f32_e32 v15, v16, v13
	v_fma_f32 v7, -v7, v15, v14
	v_div_fmas_f32 v7, v7, v13, v15
	v_div_fixup_f32 v7, v7, v4, v2
	v_fma_f32 v7, v7, v7, 1.0
	v_mul_f32_e32 v13, 0x4f800000, v7
	v_cmp_gt_f32_e32 vcc, s2, v7
	s_nop 1
	v_cndmask_b32_e32 v7, v7, v13, vcc
	v_sqrt_f32_e32 v13, v7
	s_nop 0
	v_add_u32_e32 v14, -1, v13
	v_fma_f32 v15, -v14, v13, v7
	v_cmp_ge_f32_e64 s[2:3], 0, v15
	v_add_u32_e32 v15, 1, v13
	s_nop 0
	v_cndmask_b32_e64 v14, v13, v14, s[2:3]
	v_fma_f32 v13, -v15, v13, v7
	v_cmp_lt_f32_e64 s[2:3], 0, v13
	s_nop 1
	v_cndmask_b32_e64 v13, v14, v15, s[2:3]
	v_mul_f32_e32 v14, 0x37800000, v13
	v_cndmask_b32_e32 v13, v13, v14, vcc
	v_mov_b32_e32 v14, 0x260
	v_cmp_class_f32_e32 vcc, v7, v14
	s_nop 1
	v_cndmask_b32_e32 v7, v13, v7, vcc
	v_mul_f32_e32 v7, v4, v7
.LBB43_78:
	s_cbranch_execz .LBB43_80
	s_branch .LBB43_81
.LBB43_79:
                                        ; implicit-def: $vgpr7
.LBB43_80:
	v_div_scale_f32 v7, s[2:3], v2, v2, v4
	v_rcp_f32_e32 v13, v7
	v_div_scale_f32 v14, vcc, v4, v2, v4
	s_mov_b32 s2, 0xf800000
	v_fma_f32 v15, -v7, v13, 1.0
	v_fmac_f32_e32 v13, v15, v13
	v_mul_f32_e32 v15, v14, v13
	v_fma_f32 v16, -v7, v15, v14
	v_fmac_f32_e32 v15, v16, v13
	v_fma_f32 v7, -v7, v15, v14
	v_div_fmas_f32 v7, v7, v13, v15
	v_div_fixup_f32 v4, v7, v2, v4
	v_fma_f32 v4, v4, v4, 1.0
	v_mul_f32_e32 v7, 0x4f800000, v4
	v_cmp_gt_f32_e32 vcc, s2, v4
	s_nop 1
	v_cndmask_b32_e32 v4, v4, v7, vcc
	v_sqrt_f32_e32 v7, v4
	s_nop 0
	v_add_u32_e32 v13, -1, v7
	v_fma_f32 v14, -v13, v7, v4
	v_cmp_ge_f32_e64 s[2:3], 0, v14
	v_add_u32_e32 v14, 1, v7
	s_nop 0
	v_cndmask_b32_e64 v13, v7, v13, s[2:3]
	v_fma_f32 v7, -v14, v7, v4
	v_cmp_lt_f32_e64 s[2:3], 0, v7
	s_nop 1
	v_cndmask_b32_e64 v7, v13, v14, s[2:3]
	v_mul_f32_e32 v13, 0x37800000, v7
	v_cndmask_b32_e32 v7, v7, v13, vcc
	v_mov_b32_e32 v13, 0x260
	v_cmp_class_f32_e32 vcc, v4, v13
	s_nop 1
	v_cndmask_b32_e32 v4, v7, v4, vcc
	v_mul_f32_e32 v7, v2, v4
.LBB43_81:
	s_mov_b32 s2, 0xf800000
	v_mul_f32_e32 v2, 0x4f800000, v7
	v_cmp_gt_f32_e32 vcc, s2, v7
	v_mov_b32_e32 v15, 0
	s_nop 0
	v_cndmask_b32_e32 v2, v7, v2, vcc
	v_sqrt_f32_e32 v4, v2
	s_nop 0
	v_add_u32_e32 v7, -1, v4
	v_fma_f32 v13, -v7, v4, v2
	v_cmp_ge_f32_e64 s[2:3], 0, v13
	v_add_u32_e32 v13, 1, v4
	s_nop 0
	v_cndmask_b32_e64 v7, v4, v7, s[2:3]
	v_fma_f32 v4, -v13, v4, v2
	v_cmp_lt_f32_e64 s[2:3], 0, v4
	s_nop 1
	v_cndmask_b32_e64 v4, v7, v13, s[2:3]
	v_mul_f32_e32 v7, 0x37800000, v4
	v_cndmask_b32_e32 v4, v4, v7, vcc
	v_mov_b32_e32 v7, 0x260
	v_cmp_class_f32_e32 vcc, v2, v7
	s_nop 1
	v_cndmask_b32_e32 v14, v4, v2, vcc
	ds_write_b64 v15, v[14:15] offset:368
.LBB43_82:
	s_or_b64 exec, exec, s[4:5]
	v_mov_b32_e32 v2, 0
	s_waitcnt lgkmcnt(0)
	ds_read_b64 v[14:15], v2 offset:368
	s_waitcnt lgkmcnt(0)
	v_cmp_neq_f32_e32 vcc, 0, v14
	v_cmp_neq_f32_e64 s[2:3], 0, v15
	s_or_b64 vcc, vcc, s[2:3]
	v_cndmask_b32_e32 v2, 1.0, v14, vcc
	s_nor_b64 s[4:5], vcc, s[0:1]
	v_cndmask_b32_e32 v4, 0, v15, vcc
	s_and_saveexec_b64 s[2:3], s[4:5]
	s_cbranch_execz .LBB43_86
; %bb.83:
	v_mbcnt_lo_u32_b32 v2, exec_lo, 0
	v_mbcnt_hi_u32_b32 v2, exec_hi, v2
	v_cmp_eq_u32_e32 vcc, 0, v2
	s_and_saveexec_b64 s[4:5], vcc
	s_cbranch_execz .LBB43_85
; %bb.84:
	v_mov_b32_e32 v2, 0
	v_mov_b32_e32 v4, s14
	global_atomic_smin v2, v4, s[10:11]
.LBB43_85:
	s_or_b64 exec, exec, s[4:5]
	v_mov_b32_e32 v4, 0
	v_mov_b32_e32 v2, 1.0
.LBB43_86:
	s_or_b64 exec, exec, s[2:3]
	v_cmp_lt_u32_e32 vcc, 1, v9
	s_and_saveexec_b64 s[2:3], vcc
	s_cbranch_execz .LBB43_88
; %bb.87:
	v_mul_f32_e32 v7, v4, v4
	v_fmac_f32_e32 v7, v2, v2
	v_div_scale_f32 v13, s[4:5], v7, v7, 1.0
	v_rcp_f32_e32 v18, v13
	v_div_scale_f32 v19, vcc, 1.0, v7, 1.0
	v_fma_f32 v14, -v13, v18, 1.0
	v_fmac_f32_e32 v18, v14, v18
	v_mul_f32_e32 v20, v19, v18
	v_fma_f32 v14, -v13, v20, v19
	v_fmac_f32_e32 v20, v14, v18
	ds_read_b64 v[14:15], v5 offset:8
	ds_read_b64 v[16:17], v11 offset:8
	v_fma_f32 v13, -v13, v20, v19
	v_div_fmas_f32 v13, v13, v18, v20
	v_div_fixup_f32 v18, v13, v7, 1.0
	s_waitcnt lgkmcnt(0)
	v_pk_add_f32 v[14:15], v[14:15], v[16:17] op_sel:[1,1] op_sel_hi:[0,0] neg_lo:[0,1] neg_hi:[0,1]
	v_xor_b32_e32 v16, 0x80000000, v15
	v_mov_b32_e32 v17, v14
	v_pk_mul_f32 v[16:17], v[4:5], v[16:17] op_sel_hi:[0,1]
	v_pk_fma_f32 v[14:15], v[14:15], v[2:3], v[16:17] op_sel_hi:[1,0,1]
	s_nop 0
	v_pk_mul_f32 v[14:15], v[18:19], v[14:15] op_sel_hi:[0,1]
	v_pk_mov_b32 v[16:17], v[14:15], v[14:15] op_sel:[1,0]
	ds_write_b64 v5, v[16:17] offset:8
	s_waitcnt lgkmcnt(0)
	ds_read_b64 v[16:17], v6 offset:8
	ds_read_b64 v[18:19], v10
	s_waitcnt lgkmcnt(0)
	v_pk_fma_f32 v[18:19], v[14:15], v[16:17], v[18:19] op_sel:[1,0,0] op_sel_hi:[0,0,1]
	v_pk_fma_f32 v[14:15], v[14:15], v[16:17], v[18:19] op_sel:[0,1,0] neg_hi:[0,1,0]
	ds_write_b64 v10, v[14:15]
.LBB43_88:
	s_or_b64 exec, exec, s[2:3]
	v_cmp_eq_u32_e32 vcc, 2, v9
	s_waitcnt lgkmcnt(0)
	s_and_saveexec_b64 s[4:5], vcc
	s_cbranch_execz .LBB43_96
; %bb.89:
	v_mov_b32_e32 v7, 0
	ds_read2_b64 v[14:17], v7 offset0:52 offset1:72
	s_waitcnt lgkmcnt(0)
	v_sub_f32_e32 v2, v14, v16
	v_sub_f32_e32 v13, v15, v17
	v_cmp_gt_f32_e32 vcc, 0, v2
	s_nop 1
	v_cndmask_b32_e64 v2, v2, -v2, vcc
	v_cmp_gt_f32_e32 vcc, 0, v13
	s_nop 1
	v_cndmask_b32_e64 v4, v13, -v13, vcc
	v_cmp_gt_f32_e32 vcc, v2, v4
	s_cbranch_vccnz .LBB43_93
; %bb.90:
	v_cmp_eq_f32_e32 vcc, 0, v13
	s_cbranch_vccnz .LBB43_92
; %bb.91:
	v_div_scale_f32 v7, s[2:3], v4, v4, v2
	v_rcp_f32_e32 v13, v7
	v_div_scale_f32 v14, vcc, v2, v4, v2
	s_mov_b32 s2, 0xf800000
	v_fma_f32 v15, -v7, v13, 1.0
	v_fmac_f32_e32 v13, v15, v13
	v_mul_f32_e32 v15, v14, v13
	v_fma_f32 v16, -v7, v15, v14
	v_fmac_f32_e32 v15, v16, v13
	v_fma_f32 v7, -v7, v15, v14
	v_div_fmas_f32 v7, v7, v13, v15
	v_div_fixup_f32 v7, v7, v4, v2
	v_fma_f32 v7, v7, v7, 1.0
	v_mul_f32_e32 v13, 0x4f800000, v7
	v_cmp_gt_f32_e32 vcc, s2, v7
	s_nop 1
	v_cndmask_b32_e32 v7, v7, v13, vcc
	v_sqrt_f32_e32 v13, v7
	s_nop 0
	v_add_u32_e32 v14, -1, v13
	v_fma_f32 v15, -v14, v13, v7
	v_cmp_ge_f32_e64 s[2:3], 0, v15
	v_add_u32_e32 v15, 1, v13
	s_nop 0
	v_cndmask_b32_e64 v14, v13, v14, s[2:3]
	v_fma_f32 v13, -v15, v13, v7
	v_cmp_lt_f32_e64 s[2:3], 0, v13
	s_nop 1
	v_cndmask_b32_e64 v13, v14, v15, s[2:3]
	v_mul_f32_e32 v14, 0x37800000, v13
	v_cndmask_b32_e32 v13, v13, v14, vcc
	v_mov_b32_e32 v14, 0x260
	v_cmp_class_f32_e32 vcc, v7, v14
	s_nop 1
	v_cndmask_b32_e32 v7, v13, v7, vcc
	v_mul_f32_e32 v7, v4, v7
.LBB43_92:
	s_cbranch_execz .LBB43_94
	s_branch .LBB43_95
.LBB43_93:
                                        ; implicit-def: $vgpr7
.LBB43_94:
	v_div_scale_f32 v7, s[2:3], v2, v2, v4
	v_rcp_f32_e32 v13, v7
	v_div_scale_f32 v14, vcc, v4, v2, v4
	s_mov_b32 s2, 0xf800000
	v_fma_f32 v15, -v7, v13, 1.0
	v_fmac_f32_e32 v13, v15, v13
	v_mul_f32_e32 v15, v14, v13
	v_fma_f32 v16, -v7, v15, v14
	v_fmac_f32_e32 v15, v16, v13
	v_fma_f32 v7, -v7, v15, v14
	v_div_fmas_f32 v7, v7, v13, v15
	v_div_fixup_f32 v4, v7, v2, v4
	v_fma_f32 v4, v4, v4, 1.0
	v_mul_f32_e32 v7, 0x4f800000, v4
	v_cmp_gt_f32_e32 vcc, s2, v4
	s_nop 1
	v_cndmask_b32_e32 v4, v4, v7, vcc
	v_sqrt_f32_e32 v7, v4
	s_nop 0
	v_add_u32_e32 v13, -1, v7
	v_fma_f32 v14, -v13, v7, v4
	v_cmp_ge_f32_e64 s[2:3], 0, v14
	v_add_u32_e32 v14, 1, v7
	s_nop 0
	v_cndmask_b32_e64 v13, v7, v13, s[2:3]
	v_fma_f32 v7, -v14, v7, v4
	v_cmp_lt_f32_e64 s[2:3], 0, v7
	s_nop 1
	v_cndmask_b32_e64 v7, v13, v14, s[2:3]
	v_mul_f32_e32 v13, 0x37800000, v7
	v_cndmask_b32_e32 v7, v7, v13, vcc
	v_mov_b32_e32 v13, 0x260
	v_cmp_class_f32_e32 vcc, v4, v13
	s_nop 1
	v_cndmask_b32_e32 v4, v7, v4, vcc
	v_mul_f32_e32 v7, v2, v4
.LBB43_95:
	s_mov_b32 s2, 0xf800000
	v_mul_f32_e32 v2, 0x4f800000, v7
	v_cmp_gt_f32_e32 vcc, s2, v7
	v_mov_b32_e32 v15, 0
	s_nop 0
	v_cndmask_b32_e32 v2, v7, v2, vcc
	v_sqrt_f32_e32 v4, v2
	s_nop 0
	v_add_u32_e32 v7, -1, v4
	v_fma_f32 v13, -v7, v4, v2
	v_cmp_ge_f32_e64 s[2:3], 0, v13
	v_add_u32_e32 v13, 1, v4
	s_nop 0
	v_cndmask_b32_e64 v7, v4, v7, s[2:3]
	v_fma_f32 v4, -v13, v4, v2
	v_cmp_lt_f32_e64 s[2:3], 0, v4
	s_nop 1
	v_cndmask_b32_e64 v4, v7, v13, s[2:3]
	v_mul_f32_e32 v7, 0x37800000, v4
	v_cndmask_b32_e32 v4, v4, v7, vcc
	v_mov_b32_e32 v7, 0x260
	v_cmp_class_f32_e32 vcc, v2, v7
	s_nop 1
	v_cndmask_b32_e32 v14, v4, v2, vcc
	ds_write_b64 v15, v[14:15] offset:416
.LBB43_96:
	s_or_b64 exec, exec, s[4:5]
	v_mov_b32_e32 v2, 0
	s_waitcnt lgkmcnt(0)
	ds_read_b64 v[14:15], v2 offset:416
	s_waitcnt lgkmcnt(0)
	v_cmp_neq_f32_e32 vcc, 0, v14
	v_cmp_neq_f32_e64 s[2:3], 0, v15
	s_or_b64 vcc, vcc, s[2:3]
	v_cndmask_b32_e32 v2, 1.0, v14, vcc
	s_nor_b64 s[4:5], vcc, s[0:1]
	v_cndmask_b32_e32 v4, 0, v15, vcc
	s_and_saveexec_b64 s[2:3], s[4:5]
	s_cbranch_execz .LBB43_100
; %bb.97:
	v_mbcnt_lo_u32_b32 v2, exec_lo, 0
	v_mbcnt_hi_u32_b32 v2, exec_hi, v2
	v_cmp_eq_u32_e32 vcc, 0, v2
	s_and_saveexec_b64 s[4:5], vcc
	s_cbranch_execz .LBB43_99
; %bb.98:
	v_mov_b32_e32 v2, 0
	v_mov_b32_e32 v4, s14
	global_atomic_smin v2, v4, s[10:11]
.LBB43_99:
	s_or_b64 exec, exec, s[4:5]
	v_mov_b32_e32 v4, 0
	v_mov_b32_e32 v2, 1.0
.LBB43_100:
	s_or_b64 exec, exec, s[2:3]
	v_cmp_lt_u32_e32 vcc, 2, v9
	s_and_saveexec_b64 s[2:3], vcc
	s_cbranch_execz .LBB43_102
; %bb.101:
	v_mul_f32_e32 v7, v4, v4
	v_fmac_f32_e32 v7, v2, v2
	v_div_scale_f32 v13, s[4:5], v7, v7, 1.0
	v_rcp_f32_e32 v18, v13
	v_div_scale_f32 v19, vcc, 1.0, v7, 1.0
	v_fma_f32 v14, -v13, v18, 1.0
	v_fmac_f32_e32 v18, v14, v18
	v_mul_f32_e32 v20, v19, v18
	v_fma_f32 v14, -v13, v20, v19
	v_fmac_f32_e32 v20, v14, v18
	ds_read_b64 v[14:15], v5 offset:16
	ds_read_b64 v[16:17], v11 offset:16
	v_fma_f32 v13, -v13, v20, v19
	v_div_fmas_f32 v13, v13, v18, v20
	v_div_fixup_f32 v18, v13, v7, 1.0
	s_waitcnt lgkmcnt(0)
	v_pk_add_f32 v[14:15], v[14:15], v[16:17] op_sel:[1,1] op_sel_hi:[0,0] neg_lo:[0,1] neg_hi:[0,1]
	v_xor_b32_e32 v16, 0x80000000, v15
	v_mov_b32_e32 v17, v14
	v_pk_mul_f32 v[16:17], v[4:5], v[16:17] op_sel_hi:[0,1]
	v_pk_fma_f32 v[14:15], v[14:15], v[2:3], v[16:17] op_sel_hi:[1,0,1]
	s_nop 0
	v_pk_mul_f32 v[14:15], v[18:19], v[14:15] op_sel_hi:[0,1]
	v_pk_mov_b32 v[16:17], v[14:15], v[14:15] op_sel:[1,0]
	ds_write_b64 v5, v[16:17] offset:16
	s_waitcnt lgkmcnt(0)
	ds_read_b64 v[16:17], v6 offset:16
	ds_read_b64 v[18:19], v10
	s_waitcnt lgkmcnt(0)
	v_pk_fma_f32 v[18:19], v[14:15], v[16:17], v[18:19] op_sel:[1,0,0] op_sel_hi:[0,0,1]
	v_pk_fma_f32 v[14:15], v[14:15], v[16:17], v[18:19] op_sel:[0,1,0] neg_hi:[0,1,0]
	ds_write_b64 v10, v[14:15]
.LBB43_102:
	s_or_b64 exec, exec, s[2:3]
	v_cmp_eq_u32_e32 vcc, 3, v9
	s_waitcnt lgkmcnt(0)
	s_and_saveexec_b64 s[4:5], vcc
	s_cbranch_execz .LBB43_110
; %bb.103:
	v_mov_b32_e32 v7, 0
	ds_read2_b64 v[14:17], v7 offset0:58 offset1:78
	s_waitcnt lgkmcnt(0)
	v_sub_f32_e32 v2, v14, v16
	v_sub_f32_e32 v13, v15, v17
	v_cmp_gt_f32_e32 vcc, 0, v2
	s_nop 1
	v_cndmask_b32_e64 v2, v2, -v2, vcc
	v_cmp_gt_f32_e32 vcc, 0, v13
	s_nop 1
	v_cndmask_b32_e64 v4, v13, -v13, vcc
	v_cmp_gt_f32_e32 vcc, v2, v4
	s_cbranch_vccnz .LBB43_107
; %bb.104:
	v_cmp_eq_f32_e32 vcc, 0, v13
	s_cbranch_vccnz .LBB43_106
; %bb.105:
	v_div_scale_f32 v7, s[2:3], v4, v4, v2
	v_rcp_f32_e32 v13, v7
	v_div_scale_f32 v14, vcc, v2, v4, v2
	s_mov_b32 s2, 0xf800000
	v_fma_f32 v15, -v7, v13, 1.0
	v_fmac_f32_e32 v13, v15, v13
	v_mul_f32_e32 v15, v14, v13
	v_fma_f32 v16, -v7, v15, v14
	v_fmac_f32_e32 v15, v16, v13
	v_fma_f32 v7, -v7, v15, v14
	v_div_fmas_f32 v7, v7, v13, v15
	v_div_fixup_f32 v7, v7, v4, v2
	v_fma_f32 v7, v7, v7, 1.0
	v_mul_f32_e32 v13, 0x4f800000, v7
	v_cmp_gt_f32_e32 vcc, s2, v7
	s_nop 1
	v_cndmask_b32_e32 v7, v7, v13, vcc
	v_sqrt_f32_e32 v13, v7
	s_nop 0
	v_add_u32_e32 v14, -1, v13
	v_fma_f32 v15, -v14, v13, v7
	v_cmp_ge_f32_e64 s[2:3], 0, v15
	v_add_u32_e32 v15, 1, v13
	s_nop 0
	v_cndmask_b32_e64 v14, v13, v14, s[2:3]
	v_fma_f32 v13, -v15, v13, v7
	v_cmp_lt_f32_e64 s[2:3], 0, v13
	s_nop 1
	v_cndmask_b32_e64 v13, v14, v15, s[2:3]
	v_mul_f32_e32 v14, 0x37800000, v13
	v_cndmask_b32_e32 v13, v13, v14, vcc
	v_mov_b32_e32 v14, 0x260
	v_cmp_class_f32_e32 vcc, v7, v14
	s_nop 1
	v_cndmask_b32_e32 v7, v13, v7, vcc
	v_mul_f32_e32 v7, v4, v7
.LBB43_106:
	s_cbranch_execz .LBB43_108
	s_branch .LBB43_109
.LBB43_107:
                                        ; implicit-def: $vgpr7
.LBB43_108:
	v_div_scale_f32 v7, s[2:3], v2, v2, v4
	v_rcp_f32_e32 v13, v7
	v_div_scale_f32 v14, vcc, v4, v2, v4
	s_mov_b32 s2, 0xf800000
	v_fma_f32 v15, -v7, v13, 1.0
	v_fmac_f32_e32 v13, v15, v13
	v_mul_f32_e32 v15, v14, v13
	v_fma_f32 v16, -v7, v15, v14
	v_fmac_f32_e32 v15, v16, v13
	v_fma_f32 v7, -v7, v15, v14
	v_div_fmas_f32 v7, v7, v13, v15
	v_div_fixup_f32 v4, v7, v2, v4
	v_fma_f32 v4, v4, v4, 1.0
	v_mul_f32_e32 v7, 0x4f800000, v4
	v_cmp_gt_f32_e32 vcc, s2, v4
	s_nop 1
	v_cndmask_b32_e32 v4, v4, v7, vcc
	v_sqrt_f32_e32 v7, v4
	s_nop 0
	v_add_u32_e32 v13, -1, v7
	v_fma_f32 v14, -v13, v7, v4
	v_cmp_ge_f32_e64 s[2:3], 0, v14
	v_add_u32_e32 v14, 1, v7
	s_nop 0
	v_cndmask_b32_e64 v13, v7, v13, s[2:3]
	v_fma_f32 v7, -v14, v7, v4
	v_cmp_lt_f32_e64 s[2:3], 0, v7
	s_nop 1
	v_cndmask_b32_e64 v7, v13, v14, s[2:3]
	v_mul_f32_e32 v13, 0x37800000, v7
	v_cndmask_b32_e32 v7, v7, v13, vcc
	v_mov_b32_e32 v13, 0x260
	v_cmp_class_f32_e32 vcc, v4, v13
	s_nop 1
	v_cndmask_b32_e32 v4, v7, v4, vcc
	v_mul_f32_e32 v7, v2, v4
.LBB43_109:
	s_mov_b32 s2, 0xf800000
	v_mul_f32_e32 v2, 0x4f800000, v7
	v_cmp_gt_f32_e32 vcc, s2, v7
	v_mov_b32_e32 v15, 0
	s_nop 0
	v_cndmask_b32_e32 v2, v7, v2, vcc
	v_sqrt_f32_e32 v4, v2
	s_nop 0
	v_add_u32_e32 v7, -1, v4
	v_fma_f32 v13, -v7, v4, v2
	v_cmp_ge_f32_e64 s[2:3], 0, v13
	v_add_u32_e32 v13, 1, v4
	s_nop 0
	v_cndmask_b32_e64 v7, v4, v7, s[2:3]
	v_fma_f32 v4, -v13, v4, v2
	v_cmp_lt_f32_e64 s[2:3], 0, v4
	s_nop 1
	v_cndmask_b32_e64 v4, v7, v13, s[2:3]
	v_mul_f32_e32 v7, 0x37800000, v4
	v_cndmask_b32_e32 v4, v4, v7, vcc
	v_mov_b32_e32 v7, 0x260
	v_cmp_class_f32_e32 vcc, v2, v7
	s_nop 1
	v_cndmask_b32_e32 v14, v4, v2, vcc
	ds_write_b64 v15, v[14:15] offset:464
.LBB43_110:
	s_or_b64 exec, exec, s[4:5]
	v_mov_b32_e32 v2, 0
	s_waitcnt lgkmcnt(0)
	ds_read_b64 v[14:15], v2 offset:464
	s_waitcnt lgkmcnt(0)
	v_cmp_neq_f32_e32 vcc, 0, v14
	v_cmp_neq_f32_e64 s[2:3], 0, v15
	s_or_b64 vcc, vcc, s[2:3]
	v_cndmask_b32_e32 v2, 1.0, v14, vcc
	s_nor_b64 s[2:3], vcc, s[0:1]
	v_cndmask_b32_e32 v4, 0, v15, vcc
	s_and_saveexec_b64 s[0:1], s[2:3]
	s_cbranch_execz .LBB43_114
; %bb.111:
	v_mbcnt_lo_u32_b32 v2, exec_lo, 0
	v_mbcnt_hi_u32_b32 v2, exec_hi, v2
	v_cmp_eq_u32_e32 vcc, 0, v2
	s_and_saveexec_b64 s[2:3], vcc
	s_cbranch_execz .LBB43_113
; %bb.112:
	v_mov_b32_e32 v2, 0
	v_mov_b32_e32 v4, s14
	global_atomic_smin v2, v4, s[10:11]
.LBB43_113:
	s_or_b64 exec, exec, s[2:3]
	v_mov_b32_e32 v4, 0
	v_mov_b32_e32 v2, 1.0
.LBB43_114:
	s_or_b64 exec, exec, s[0:1]
	v_cmp_lt_u32_e32 vcc, 3, v9
	s_and_saveexec_b64 s[0:1], vcc
	s_cbranch_execz .LBB43_116
; %bb.115:
	v_mul_f32_e32 v7, v4, v4
	v_fmac_f32_e32 v7, v2, v2
	v_div_scale_f32 v13, s[2:3], v7, v7, 1.0
	v_rcp_f32_e32 v18, v13
	v_div_scale_f32 v19, vcc, 1.0, v7, 1.0
	v_fma_f32 v14, -v13, v18, 1.0
	v_fmac_f32_e32 v18, v14, v18
	v_mul_f32_e32 v20, v19, v18
	v_fma_f32 v14, -v13, v20, v19
	v_fmac_f32_e32 v20, v14, v18
	ds_read_b64 v[14:15], v5 offset:24
	ds_read_b64 v[16:17], v11 offset:24
	v_fma_f32 v11, -v13, v20, v19
	v_div_fmas_f32 v11, v11, v18, v20
	v_div_fixup_f32 v18, v11, v7, 1.0
	s_waitcnt lgkmcnt(0)
	v_pk_add_f32 v[14:15], v[14:15], v[16:17] op_sel:[1,1] op_sel_hi:[0,0] neg_lo:[0,1] neg_hi:[0,1]
	v_xor_b32_e32 v16, 0x80000000, v15
	v_mov_b32_e32 v17, v14
	v_pk_mul_f32 v[16:17], v[4:5], v[16:17] op_sel_hi:[0,1]
	v_pk_fma_f32 v[14:15], v[14:15], v[2:3], v[16:17] op_sel_hi:[1,0,1]
	s_nop 0
	v_pk_mul_f32 v[14:15], v[18:19], v[14:15] op_sel_hi:[0,1]
	v_pk_mov_b32 v[16:17], v[14:15], v[14:15] op_sel:[1,0]
	ds_write_b64 v5, v[16:17] offset:24
	s_waitcnt lgkmcnt(0)
	ds_read_b64 v[4:5], v6 offset:24
	ds_read_b64 v[6:7], v10
	s_waitcnt lgkmcnt(0)
	v_pk_fma_f32 v[6:7], v[14:15], v[4:5], v[6:7] op_sel:[1,0,0] op_sel_hi:[0,0,1]
	v_pk_fma_f32 v[4:5], v[14:15], v[4:5], v[6:7] op_sel:[0,1,0] neg_hi:[0,1,0]
	ds_write_b64 v10, v[4:5]
.LBB43_116:
	s_or_b64 exec, exec, s[0:1]
	s_waitcnt lgkmcnt(0)
	ds_read_b64 v[2:3], v3
	v_cmp_eq_u32_e32 vcc, 0, v12
	s_waitcnt lgkmcnt(0)
	global_store_dwordx2 v[0:1], v[2:3], off
	s_and_saveexec_b64 s[0:1], vcc
	s_cbranch_execz .LBB43_118
; %bb.117:
	s_add_u32 s2, s6, s8
	s_addc_u32 s3, s7, s9
	v_mov_b32_e32 v0, 0
	v_mov_b32_e32 v1, 1
	buffer_wbl2 sc1
	s_waitcnt vmcnt(0)
	global_store_dword v0, v1, s[2:3] sc1
.LBB43_118:
	s_or_b64 exec, exec, s[0:1]
	s_branch .LBB43_17
.LBB43_119:
	v_or_b32_e32 v0, v8, v9
	v_cmp_eq_u32_e32 vcc, 0, v0
	s_and_saveexec_b64 s[0:1], vcc
	s_cbranch_execz .LBB43_17
; %bb.120:
	v_mbcnt_lo_u32_b32 v0, exec_lo, 0
	v_mbcnt_hi_u32_b32 v0, exec_hi, v0
	v_cmp_eq_u32_e32 vcc, 0, v0
	s_and_saveexec_b64 s[0:1], vcc
	s_cbranch_execz .LBB43_122
; %bb.121:
	s_add_i32 s2, s16, s17
	v_mov_b32_e32 v0, 0
	v_mov_b32_e32 v1, s2
	global_atomic_smin v0, v1, s[10:11]
.LBB43_122:
	s_or_b64 exec, exec, s[0:1]
	s_add_u32 s0, s6, s8
	s_addc_u32 s1, s7, s9
	v_mov_b32_e32 v0, 0
	v_mov_b32_e32 v1, 1
	buffer_wbl2 sc1
	s_waitcnt vmcnt(0)
	global_store_dword v0, v1, s[0:1] sc1
	s_endpgm
	.section	.rodata,"a",@progbits
	.p2align	6, 0x0
	.amdhsa_kernel _ZN9rocsparseL26bsric0_2_8_unrolled_kernelILi16ELi32ELi4E21rocsparse_complex_numIfEEEv20rocsparse_direction_iiPKiS5_PT2_S5_PiS5_S8_21rocsparse_index_base_
		.amdhsa_group_segment_fixed_size 1024
		.amdhsa_private_segment_fixed_size 0
		.amdhsa_kernarg_size 76
		.amdhsa_user_sgpr_count 2
		.amdhsa_user_sgpr_dispatch_ptr 0
		.amdhsa_user_sgpr_queue_ptr 0
		.amdhsa_user_sgpr_kernarg_segment_ptr 1
		.amdhsa_user_sgpr_dispatch_id 0
		.amdhsa_user_sgpr_kernarg_preload_length 0
		.amdhsa_user_sgpr_kernarg_preload_offset 0
		.amdhsa_user_sgpr_private_segment_size 0
		.amdhsa_uses_dynamic_stack 0
		.amdhsa_enable_private_segment 0
		.amdhsa_system_sgpr_workgroup_id_x 1
		.amdhsa_system_sgpr_workgroup_id_y 0
		.amdhsa_system_sgpr_workgroup_id_z 0
		.amdhsa_system_sgpr_workgroup_info 0
		.amdhsa_system_vgpr_workitem_id 1
		.amdhsa_next_free_vgpr 68
		.amdhsa_next_free_sgpr 40
		.amdhsa_accum_offset 68
		.amdhsa_reserve_vcc 1
		.amdhsa_float_round_mode_32 0
		.amdhsa_float_round_mode_16_64 0
		.amdhsa_float_denorm_mode_32 3
		.amdhsa_float_denorm_mode_16_64 3
		.amdhsa_dx10_clamp 1
		.amdhsa_ieee_mode 1
		.amdhsa_fp16_overflow 0
		.amdhsa_tg_split 0
		.amdhsa_exception_fp_ieee_invalid_op 0
		.amdhsa_exception_fp_denorm_src 0
		.amdhsa_exception_fp_ieee_div_zero 0
		.amdhsa_exception_fp_ieee_overflow 0
		.amdhsa_exception_fp_ieee_underflow 0
		.amdhsa_exception_fp_ieee_inexact 0
		.amdhsa_exception_int_div_zero 0
	.end_amdhsa_kernel
	.section	.text._ZN9rocsparseL26bsric0_2_8_unrolled_kernelILi16ELi32ELi4E21rocsparse_complex_numIfEEEv20rocsparse_direction_iiPKiS5_PT2_S5_PiS5_S8_21rocsparse_index_base_,"axG",@progbits,_ZN9rocsparseL26bsric0_2_8_unrolled_kernelILi16ELi32ELi4E21rocsparse_complex_numIfEEEv20rocsparse_direction_iiPKiS5_PT2_S5_PiS5_S8_21rocsparse_index_base_,comdat
.Lfunc_end43:
	.size	_ZN9rocsparseL26bsric0_2_8_unrolled_kernelILi16ELi32ELi4E21rocsparse_complex_numIfEEEv20rocsparse_direction_iiPKiS5_PT2_S5_PiS5_S8_21rocsparse_index_base_, .Lfunc_end43-_ZN9rocsparseL26bsric0_2_8_unrolled_kernelILi16ELi32ELi4E21rocsparse_complex_numIfEEEv20rocsparse_direction_iiPKiS5_PT2_S5_PiS5_S8_21rocsparse_index_base_
                                        ; -- End function
	.set _ZN9rocsparseL26bsric0_2_8_unrolled_kernelILi16ELi32ELi4E21rocsparse_complex_numIfEEEv20rocsparse_direction_iiPKiS5_PT2_S5_PiS5_S8_21rocsparse_index_base_.num_vgpr, 68
	.set _ZN9rocsparseL26bsric0_2_8_unrolled_kernelILi16ELi32ELi4E21rocsparse_complex_numIfEEEv20rocsparse_direction_iiPKiS5_PT2_S5_PiS5_S8_21rocsparse_index_base_.num_agpr, 0
	.set _ZN9rocsparseL26bsric0_2_8_unrolled_kernelILi16ELi32ELi4E21rocsparse_complex_numIfEEEv20rocsparse_direction_iiPKiS5_PT2_S5_PiS5_S8_21rocsparse_index_base_.numbered_sgpr, 40
	.set _ZN9rocsparseL26bsric0_2_8_unrolled_kernelILi16ELi32ELi4E21rocsparse_complex_numIfEEEv20rocsparse_direction_iiPKiS5_PT2_S5_PiS5_S8_21rocsparse_index_base_.num_named_barrier, 0
	.set _ZN9rocsparseL26bsric0_2_8_unrolled_kernelILi16ELi32ELi4E21rocsparse_complex_numIfEEEv20rocsparse_direction_iiPKiS5_PT2_S5_PiS5_S8_21rocsparse_index_base_.private_seg_size, 0
	.set _ZN9rocsparseL26bsric0_2_8_unrolled_kernelILi16ELi32ELi4E21rocsparse_complex_numIfEEEv20rocsparse_direction_iiPKiS5_PT2_S5_PiS5_S8_21rocsparse_index_base_.uses_vcc, 1
	.set _ZN9rocsparseL26bsric0_2_8_unrolled_kernelILi16ELi32ELi4E21rocsparse_complex_numIfEEEv20rocsparse_direction_iiPKiS5_PT2_S5_PiS5_S8_21rocsparse_index_base_.uses_flat_scratch, 0
	.set _ZN9rocsparseL26bsric0_2_8_unrolled_kernelILi16ELi32ELi4E21rocsparse_complex_numIfEEEv20rocsparse_direction_iiPKiS5_PT2_S5_PiS5_S8_21rocsparse_index_base_.has_dyn_sized_stack, 0
	.set _ZN9rocsparseL26bsric0_2_8_unrolled_kernelILi16ELi32ELi4E21rocsparse_complex_numIfEEEv20rocsparse_direction_iiPKiS5_PT2_S5_PiS5_S8_21rocsparse_index_base_.has_recursion, 0
	.set _ZN9rocsparseL26bsric0_2_8_unrolled_kernelILi16ELi32ELi4E21rocsparse_complex_numIfEEEv20rocsparse_direction_iiPKiS5_PT2_S5_PiS5_S8_21rocsparse_index_base_.has_indirect_call, 0
	.section	.AMDGPU.csdata,"",@progbits
; Kernel info:
; codeLenInByte = 8624
; TotalNumSgprs: 46
; NumVgprs: 68
; NumAgprs: 0
; TotalNumVgprs: 68
; ScratchSize: 0
; MemoryBound: 0
; FloatMode: 240
; IeeeMode: 1
; LDSByteSize: 1024 bytes/workgroup (compile time only)
; SGPRBlocks: 5
; VGPRBlocks: 8
; NumSGPRsForWavesPerEU: 46
; NumVGPRsForWavesPerEU: 68
; AccumOffset: 68
; Occupancy: 7
; WaveLimiterHint : 1
; COMPUTE_PGM_RSRC2:SCRATCH_EN: 0
; COMPUTE_PGM_RSRC2:USER_SGPR: 2
; COMPUTE_PGM_RSRC2:TRAP_HANDLER: 0
; COMPUTE_PGM_RSRC2:TGID_X_EN: 1
; COMPUTE_PGM_RSRC2:TGID_Y_EN: 0
; COMPUTE_PGM_RSRC2:TGID_Z_EN: 0
; COMPUTE_PGM_RSRC2:TIDIG_COMP_CNT: 1
; COMPUTE_PGM_RSRC3_GFX90A:ACCUM_OFFSET: 16
; COMPUTE_PGM_RSRC3_GFX90A:TG_SPLIT: 0
	.section	.text._ZN9rocsparseL26bsric0_2_8_unrolled_kernelILi25ELi32ELi5E21rocsparse_complex_numIfEEEv20rocsparse_direction_iiPKiS5_PT2_S5_PiS5_S8_21rocsparse_index_base_,"axG",@progbits,_ZN9rocsparseL26bsric0_2_8_unrolled_kernelILi25ELi32ELi5E21rocsparse_complex_numIfEEEv20rocsparse_direction_iiPKiS5_PT2_S5_PiS5_S8_21rocsparse_index_base_,comdat
	.globl	_ZN9rocsparseL26bsric0_2_8_unrolled_kernelILi25ELi32ELi5E21rocsparse_complex_numIfEEEv20rocsparse_direction_iiPKiS5_PT2_S5_PiS5_S8_21rocsparse_index_base_ ; -- Begin function _ZN9rocsparseL26bsric0_2_8_unrolled_kernelILi25ELi32ELi5E21rocsparse_complex_numIfEEEv20rocsparse_direction_iiPKiS5_PT2_S5_PiS5_S8_21rocsparse_index_base_
	.p2align	8
	.type	_ZN9rocsparseL26bsric0_2_8_unrolled_kernelILi25ELi32ELi5E21rocsparse_complex_numIfEEEv20rocsparse_direction_iiPKiS5_PT2_S5_PiS5_S8_21rocsparse_index_base_,@function
_ZN9rocsparseL26bsric0_2_8_unrolled_kernelILi25ELi32ELi5E21rocsparse_complex_numIfEEEv20rocsparse_direction_iiPKiS5_PT2_S5_PiS5_S8_21rocsparse_index_base_: ; @_ZN9rocsparseL26bsric0_2_8_unrolled_kernelILi25ELi32ELi5E21rocsparse_complex_numIfEEEv20rocsparse_direction_iiPKiS5_PT2_S5_PiS5_S8_21rocsparse_index_base_
; %bb.0:
	s_load_dwordx8 s[4:11], s[0:1], 0x28
	s_mov_b32 s3, 0
	s_lshl_b64 s[2:3], s[2:3], 2
	v_and_b32_e32 v12, 0x3ff, v0
	v_bfe_u32 v13, v0, 10, 10
	s_waitcnt lgkmcnt(0)
	s_add_u32 s2, s8, s2
	s_addc_u32 s3, s9, s3
	s_load_dword s16, s[2:3], 0x0
	s_waitcnt lgkmcnt(0)
	s_ashr_i32 s17, s16, 31
	s_lshl_b64 s[8:9], s[16:17], 2
	s_add_u32 s2, s4, s8
	s_addc_u32 s3, s5, s9
	s_load_dword s30, s[2:3], 0x0
	s_load_dword s17, s[0:1], 0x48
	s_waitcnt lgkmcnt(0)
	s_cmp_lg_u32 s30, -1
	s_cbranch_scc0 .LBB44_69
; %bb.1:
	s_load_dwordx4 s[12:15], s[0:1], 0x10
	s_load_dwordx2 s[18:19], s[0:1], 0x20
	v_mad_u32_u24 v14, v13, 5, v12
	v_mul_u32_u24_e32 v17, 5, v13
	s_waitcnt lgkmcnt(0)
	s_add_u32 s2, s12, s8
	s_addc_u32 s3, s13, s9
	s_load_dword s26, s[2:3], 0x0
	s_waitcnt lgkmcnt(0)
	s_sub_i32 s31, s26, s17
	v_add_u32_e32 v0, s31, v14
	v_cmp_ge_i32_e32 vcc, s30, v0
	s_and_saveexec_b64 s[20:21], vcc
	s_cbranch_execz .LBB44_14
; %bb.2:
	v_add_u32_e32 v1, s26, v12
	v_add_u32_e32 v2, v1, v17
	v_subrev_u32_e32 v2, s17, v2
	v_add_u32_e32 v2, 25, v2
	s_add_i32 s2, s30, 1
	v_max_i32_e32 v2, s2, v2
	v_add_u32_e32 v2, s17, v2
	v_sub_u32_e32 v1, v2, v1
	v_subrev_u32_e32 v1, 25, v1
	v_cmp_ne_u32_e32 vcc, v1, v17
	s_mov_b64 s[22:23], -1
	s_nop 0
	v_addc_co_u32_e64 v2, s[2:3], 0, v17, vcc
	v_sub_u32_e32 v1, v1, v2
	s_mov_b32 s2, 0x51eb851f
	v_mul_hi_u32 v1, v1, s2
	v_lshrrev_b32_e32 v1, 3, v1
	v_addc_co_u32_e32 v4, vcc, 0, v1, vcc
	v_cmp_ne_u32_e32 vcc, 0, v4
	s_and_saveexec_b64 s[2:3], vcc
	s_cbranch_execz .LBB44_11
; %bb.3:
	v_add_u32_e32 v2, -1, v4
	v_add_u32_e32 v1, 25, v0
	v_lshrrev_b32_e32 v2, 1, v2
	v_add_u32_e32 v5, 1, v2
	v_cmp_lt_u32_e32 vcc, 14, v4
	v_mov_b64_e32 v[2:3], v[0:1]
	s_and_saveexec_b64 s[22:23], vcc
	s_cbranch_execz .LBB44_7
; %bb.4:
	v_and_b32_e32 v6, -8, v5
	s_mov_b64 s[24:25], 0
	v_mov_b64_e32 v[2:3], v[0:1]
.LBB44_5:                               ; =>This Inner Loop Header: Depth=1
	v_ashrrev_i32_e32 v11, 31, v2
	v_mov_b32_e32 v10, v2
	v_ashrrev_i32_e32 v9, 31, v3
	v_mov_b32_e32 v8, v3
	v_add_u32_e32 v18, 50, v2
	v_add_u32_e32 v20, 50, v3
	v_lshl_add_u64 v[10:11], v[10:11], 2, s[14:15]
	v_add_u32_e32 v22, 0x64, v2
	v_add_u32_e32 v24, 0x64, v3
	;; [unrolled: 1-line block ×12, first 2 shown]
	v_lshl_add_u64 v[8:9], v[8:9], 2, s[14:15]
	v_ashrrev_i32_e32 v21, 31, v20
	v_ashrrev_i32_e32 v19, 31, v18
	global_load_dword v1, v[10:11], off
	global_load_dword v7, v[8:9], off
	v_ashrrev_i32_e32 v25, 31, v24
	v_ashrrev_i32_e32 v23, 31, v22
	;; [unrolled: 1-line block ×12, first 2 shown]
	v_lshl_add_u64 v[8:9], v[18:19], 2, s[14:15]
	v_lshl_add_u64 v[10:11], v[20:21], 2, s[14:15]
	v_lshl_add_u64 v[46:47], v[22:23], 2, s[14:15]
	v_lshl_add_u64 v[48:49], v[24:25], 2, s[14:15]
	v_lshl_add_u64 v[50:51], v[26:27], 2, s[14:15]
	v_lshl_add_u64 v[52:53], v[28:29], 2, s[14:15]
	v_lshl_add_u64 v[54:55], v[30:31], 2, s[14:15]
	v_lshl_add_u64 v[56:57], v[32:33], 2, s[14:15]
	v_lshl_add_u64 v[58:59], v[34:35], 2, s[14:15]
	v_lshl_add_u64 v[60:61], v[36:37], 2, s[14:15]
	v_lshl_add_u64 v[62:63], v[38:39], 2, s[14:15]
	v_lshl_add_u64 v[64:65], v[40:41], 2, s[14:15]
	v_lshl_add_u64 v[66:67], v[42:43], 2, s[14:15]
	global_load_dword v15, v[10:11], off
	v_lshl_add_u64 v[10:11], v[44:45], 2, s[14:15]
	global_load_dword v16, v[8:9], off
	global_load_dword v19, v[48:49], off
	;; [unrolled: 1-line block ×13, first 2 shown]
	v_subrev_u32_e32 v9, s31, v2
	v_add_u32_e32 v6, -8, v6
	v_subrev_u32_e32 v8, s31, v3
	v_lshlrev_b32_e32 v9, 2, v9
	v_subrev_u32_e32 v11, s31, v18
	v_cmp_eq_u32_e32 vcc, 0, v6
	v_add_u32_e32 v3, 0x190, v3
	v_add_u32_e32 v2, 0x190, v2
	v_lshlrev_b32_e32 v8, 2, v8
	v_subrev_u32_e32 v10, s31, v20
	v_subrev_u32_e32 v18, s31, v24
	;; [unrolled: 1-line block ×13, first 2 shown]
	v_lshlrev_b32_e32 v11, 2, v11
	s_or_b64 s[24:25], vcc, s[24:25]
	v_lshlrev_b32_e32 v10, 2, v10
	v_lshlrev_b32_e32 v20, 2, v20
	v_lshlrev_b32_e32 v18, 2, v18
	v_lshlrev_b32_e32 v24, 2, v24
	v_lshlrev_b32_e32 v22, 2, v22
	v_lshlrev_b32_e32 v28, 2, v28
	v_lshlrev_b32_e32 v26, 2, v26
	v_lshlrev_b32_e32 v32, 2, v32
	v_lshlrev_b32_e32 v30, 2, v30
	v_lshlrev_b32_e32 v36, 2, v36
	v_lshlrev_b32_e32 v34, 2, v34
	v_lshlrev_b32_e32 v40, 2, v40
	v_lshlrev_b32_e32 v38, 2, v38
	s_waitcnt vmcnt(15)
	v_subrev_u32_e32 v1, s17, v1
	s_waitcnt vmcnt(14)
	v_subrev_u32_e32 v7, s17, v7
	ds_write_b32 v9, v1 offset:1216
	ds_write_b32 v8, v7 offset:1216
	s_waitcnt vmcnt(12)
	v_subrev_u32_e32 v7, s17, v16
	s_waitcnt vmcnt(11)
	v_subrev_u32_e32 v8, s17, v19
	;; [unrolled: 2-line block ×8, first 2 shown]
	v_subrev_u32_e32 v1, s17, v15
	v_subrev_u32_e32 v15, s17, v23
	;; [unrolled: 1-line block ×3, first 2 shown]
	s_waitcnt vmcnt(2)
	v_subrev_u32_e32 v29, s17, v37
	s_waitcnt vmcnt(1)
	v_subrev_u32_e32 v31, s17, v39
	;; [unrolled: 2-line block ×3, first 2 shown]
	ds_write_b32 v11, v7 offset:1216
	ds_write_b32 v10, v1 offset:1216
	;; [unrolled: 1-line block ×14, first 2 shown]
	s_andn2_b64 exec, exec, s[24:25]
	s_cbranch_execnz .LBB44_5
; %bb.6:
	s_or_b64 exec, exec, s[24:25]
.LBB44_7:
	s_or_b64 exec, exec, s[22:23]
	v_and_b32_e32 v1, 7, v5
	v_cmp_ne_u32_e32 vcc, 0, v1
	s_and_saveexec_b64 s[22:23], vcc
	s_cbranch_execz .LBB44_10
; %bb.8:
	v_sub_u32_e32 v1, 0, v1
	s_mov_b64 s[24:25], 0
.LBB44_9:                               ; =>This Inner Loop Header: Depth=1
	v_ashrrev_i32_e32 v7, 31, v3
	v_mov_b32_e32 v6, v3
	v_ashrrev_i32_e32 v9, 31, v2
	v_mov_b32_e32 v8, v2
	v_lshl_add_u64 v[6:7], v[6:7], 2, s[14:15]
	v_lshl_add_u64 v[8:9], v[8:9], 2, s[14:15]
	global_load_dword v5, v[6:7], off
	global_load_dword v10, v[8:9], off
	v_subrev_u32_e32 v7, s31, v2
	v_add_co_u32_e32 v1, vcc, 1, v1
	v_subrev_u32_e32 v6, s31, v3
	v_add_u32_e32 v3, 50, v3
	v_add_u32_e32 v2, 50, v2
	v_lshlrev_b32_e32 v7, 2, v7
	s_or_b64 s[24:25], vcc, s[24:25]
	v_lshlrev_b32_e32 v6, 2, v6
	s_waitcnt vmcnt(1)
	v_subrev_u32_e32 v5, s17, v5
	s_waitcnt vmcnt(0)
	v_subrev_u32_e32 v8, s17, v10
	ds_write_b32 v7, v8 offset:1216
	ds_write_b32 v6, v5 offset:1216
	s_andn2_b64 exec, exec, s[24:25]
	s_cbranch_execnz .LBB44_9
.LBB44_10:
	s_or_b64 exec, exec, s[22:23]
	v_add_u32_e32 v2, 1, v4
	v_and_b32_e32 v3, 0x3ffffffe, v2
	v_mad_u64_u32 v[0:1], s[22:23], v3, 25, v[0:1]
	v_cmp_ne_u32_e32 vcc, v2, v3
	s_orn2_b64 s[22:23], vcc, exec
.LBB44_11:
	s_or_b64 exec, exec, s[2:3]
	s_and_b64 exec, exec, s[22:23]
	s_cbranch_execz .LBB44_14
; %bb.12:
	v_add_u32_e32 v1, s17, v0
	v_subrev_u32_e32 v1, s26, v1
	v_mov_b32_e32 v2, 0x4c0
	v_lshl_add_u32 v4, v1, 2, v2
	v_ashrrev_i32_e32 v1, 31, v0
	v_lshl_add_u64 v[2:3], v[0:1], 2, s[14:15]
	s_mov_b64 s[2:3], 0
	s_mov_b64 s[22:23], 0x64
.LBB44_13:                              ; =>This Inner Loop Header: Depth=1
	global_load_dword v1, v[2:3], off
	v_add_u32_e32 v0, 25, v0
	v_cmp_lt_i32_e32 vcc, s30, v0
	v_lshl_add_u64 v[2:3], v[2:3], 0, s[22:23]
	s_or_b64 s[2:3], vcc, s[2:3]
	s_waitcnt vmcnt(0)
	v_subrev_u32_e32 v1, s17, v1
	ds_write_b32 v4, v1
	v_add_u32_e32 v4, 0x64, v4
	s_andn2_b64 exec, exec, s[2:3]
	s_cbranch_execnz .LBB44_13
.LBB44_14:
	s_or_b64 exec, exec, s[20:21]
	s_load_dword s33, s[0:1], 0x0
	v_mov_b32_e32 v0, 0x2d0
	v_mad_u32_u24 v16, v13, 48, v0
	v_mov_b32_e32 v0, 0
	v_lshl_add_u32 v15, v12, 3, v16
	v_mov_b32_e32 v1, v0
	s_cmp_ge_i32 s31, s30
	v_mad_u32_u24 v3, v12, 5, v13
	ds_write_b64 v15, v[0:1]
	s_waitcnt lgkmcnt(0)
	s_cbranch_scc1 .LBB44_62
; %bb.15:
	s_cmp_lg_u32 s33, 0
	s_cselect_b64 s[20:21], -1, 0
	s_cmp_eq_u32 s33, 0
	v_mov_b32_e32 v2, 0x1e0
	v_mov_b32_e32 v5, 0xf0
	v_mad_u32_u24 v1, v12, 5, v13
	v_mad_u32_u24 v19, v13, 48, v2
	v_lshlrev_b32_e32 v4, 3, v12
	v_mad_u32_u24 v22, v13, 48, v5
	v_mad_u32_u24 v24, v12, 48, v2
	v_or_b32_e32 v2, v12, v13
	s_cselect_b64 vcc, -1, 0
	v_mul_u32_u24_e32 v18, 5, v12
	v_add_u32_e32 v20, v19, v4
	v_mad_u32_u24 v21, v13, 48, v4
	v_add_u32_e32 v23, v22, v4
	v_cmp_ne_u32_e64 s[0:1], 0, v2
	v_cndmask_b32_e32 v2, v1, v14, vcc
	s_mov_b32 s22, s31
	s_branch .LBB44_18
.LBB44_16:                              ;   in Loop: Header=BB44_18 Depth=1
	s_or_b64 exec, exec, s[24:25]
	v_mov_b32_e32 v8, 0
	v_mov_b32_e32 v6, 1.0
.LBB44_17:                              ;   in Loop: Header=BB44_18 Depth=1
	s_or_b64 exec, exec, s[2:3]
	v_mul_f32_e32 v1, v8, v8
	v_fmac_f32_e32 v1, v6, v6
	v_div_scale_f32 v7, s[2:3], v1, v1, 1.0
	v_rcp_f32_e32 v9, v7
	ds_read_b128 v[26:29], v19
	ds_read_b128 v[30:33], v19 offset:16
	s_add_i32 s22, s22, 1
	s_cmp_ge_i32 s22, s30
	v_fma_f32 v25, -v7, v9, 1.0
	v_fmac_f32_e32 v9, v25, v9
	v_div_scale_f32 v25, vcc, 1.0, v1, 1.0
	v_mul_f32_e32 v38, v25, v9
	v_fma_f32 v34, -v7, v38, v25
	v_fmac_f32_e32 v38, v34, v9
	ds_read_b128 v[34:37], v0 offset:192
	ds_read_b64 v[42:43], v22 offset:32
	v_fma_f32 v7, -v7, v38, v25
	v_div_fmas_f32 v7, v7, v9, v38
	ds_read_b128 v[38:41], v0 offset:208
	v_div_fixup_f32 v44, v7, v1, 1.0
	s_waitcnt lgkmcnt(1)
	v_pk_fma_f32 v[42:43], v[34:35], v[26:27], v[42:43] op_sel_hi:[1,0,1]
	s_cselect_b64 s[2:3], -1, 0
	v_pk_fma_f32 v[26:27], v[34:35], v[26:27], v[42:43] op_sel:[0,1,1] op_sel_hi:[1,1,0] neg_lo:[0,1,0]
	s_nop 0
	v_pk_fma_f32 v[26:27], v[36:37], v[28:29], v[26:27] op_sel:[1,0,0] op_sel_hi:[0,0,1]
	v_mov_b32_e32 v28, v29
	v_pk_fma_f32 v[26:27], v[36:37], v[28:29], v[26:27] op_sel_hi:[1,0,1] neg_lo:[0,1,0]
	v_mov_b32_e32 v28, v33
	s_waitcnt lgkmcnt(0)
	v_pk_fma_f32 v[26:27], v[38:39], v[30:31], v[26:27] op_sel:[1,0,0] op_sel_hi:[0,0,1]
	v_pk_fma_f32 v[26:27], v[38:39], v[30:31], v[26:27] op_sel:[0,1,0] neg_lo:[0,1,0]
	s_nop 0
	v_pk_fma_f32 v[26:27], v[40:41], v[32:33], v[26:27] op_sel:[1,0,0] op_sel_hi:[0,0,1]
	v_pk_fma_f32 v[26:27], v[40:41], v[28:29], v[26:27] op_sel_hi:[1,0,1] neg_lo:[0,1,0]
	v_mov_b32_e32 v28, v11
	v_mov_b32_e32 v29, v10
	v_pk_add_f32 v[10:11], v[28:29], v[26:27] neg_lo:[0,1] neg_hi:[0,1]
	s_nop 0
	v_xor_b32_e32 v26, 0x80000000, v11
	v_mov_b32_e32 v27, v10
	v_pk_mul_f32 v[8:9], v[8:9], v[26:27] op_sel_hi:[0,1]
	v_pk_fma_f32 v[6:7], v[10:11], v[6:7], v[8:9] op_sel_hi:[1,0,1]
	s_nop 0
	v_pk_mul_f32 v[6:7], v[44:45], v[6:7] op_sel_hi:[0,1]
	v_pk_mov_b32 v[8:9], v[6:7], v[6:7] op_sel:[1,0]
	ds_write_b64 v19, v[8:9] offset:32
	s_waitcnt lgkmcnt(0)
	ds_read_b64 v[8:9], v24 offset:32
	ds_read_b64 v[10:11], v15
	s_waitcnt lgkmcnt(0)
	v_pk_fma_f32 v[10:11], v[6:7], v[8:9], v[10:11] op_sel:[1,0,0] op_sel_hi:[0,0,1]
	v_pk_fma_f32 v[6:7], v[6:7], v[8:9], v[10:11] op_sel:[0,1,0] neg_hi:[0,1,0]
	ds_write_b64 v15, v[6:7]
	s_waitcnt lgkmcnt(0)
	ds_read_b64 v[6:7], v20
	s_waitcnt lgkmcnt(0)
	global_store_dwordx2 v[4:5], v[6:7], off
	buffer_wbl2 sc1
	s_waitcnt vmcnt(0)
	buffer_inv sc1
	s_and_b64 vcc, exec, s[2:3]
	s_cbranch_vccnz .LBB44_62
.LBB44_18:                              ; =>This Loop Header: Depth=1
                                        ;     Child Loop BB44_21 Depth 2
                                        ;     Child Loop BB44_32 Depth 2
	;; [unrolled: 1-line block ×3, first 2 shown]
	s_ashr_i32 s23, s22, 31
	s_lshl_b64 s[2:3], s[22:23], 2
	s_add_u32 s2, s14, s2
	s_addc_u32 s3, s15, s3
	s_load_dword s23, s[2:3], 0x0
	s_waitcnt lgkmcnt(0)
	s_sub_i32 s24, s23, s17
	s_ashr_i32 s25, s24, 31
	s_lshl_b64 s[2:3], s[24:25], 2
	s_add_u32 s26, s4, s2
	s_addc_u32 s27, s5, s3
	s_load_dword s25, s[26:27], 0x0
	s_waitcnt lgkmcnt(0)
	s_cmp_eq_u32 s25, -1
	s_cbranch_scc1 .LBB44_41
; %bb.19:                               ;   in Loop: Header=BB44_18 Depth=1
	v_mad_u64_u32 v[4:5], s[26:27], s22, 25, v[2:3]
	v_ashrrev_i32_e32 v5, 31, v4
	v_lshl_add_u64 v[4:5], v[4:5], 3, s[18:19]
	global_load_dwordx2 v[6:7], v[4:5], off
	s_add_u32 s26, s12, s2
	s_addc_u32 s27, s13, s3
	s_load_dword s26, s[26:27], 0x0
	ds_read_b32 v1, v0 offset:1216
	s_mov_b32 s27, 0
	s_waitcnt lgkmcnt(0)
	s_sub_i32 s26, s26, s17
	s_cmp_le_i32 s26, s25
	v_cmp_ge_i32_e32 vcc, s24, v1
	s_cselect_b64 s[28:29], -1, 0
	s_and_b64 s[28:29], s[28:29], vcc
	s_andn2_b64 vcc, exec, s[28:29]
	s_waitcnt vmcnt(0)
	ds_write_b64 v20, v[6:7]
	s_cbranch_vccnz .LBB44_31
; %bb.20:                               ;   in Loop: Header=BB44_18 Depth=1
	s_mov_b32 s34, 0
	s_mov_b32 s35, 0
.LBB44_21:                              ;   Parent Loop BB44_18 Depth=1
                                        ; =>  This Inner Loop Header: Depth=2
	s_ashr_i32 s27, s26, 31
	s_lshl_b64 s[28:29], s[26:27], 2
	s_add_u32 s28, s14, s28
	s_addc_u32 s29, s15, s29
	s_load_dword s27, s[28:29], 0x0
	s_lshl_b32 s28, s35, 2
	v_mov_b32_e32 v1, s28
	ds_read_b32 v1, v1 offset:1216
	s_mov_b64 s[28:29], -1
	s_waitcnt lgkmcnt(0)
	s_sub_i32 s39, s27, s17
                                        ; implicit-def: $sgpr27
                                        ; implicit-def: $sgpr38
                                        ; implicit-def: $sgpr37
	v_cmp_ge_i32_e32 vcc, s39, v1
	v_readfirstlane_b32 s36, v1
	s_cbranch_vccz .LBB44_27
; %bb.22:                               ;   in Loop: Header=BB44_21 Depth=2
	s_cmp_le_i32 s39, s36
                                        ; implicit-def: $sgpr27
                                        ; implicit-def: $sgpr38
                                        ; implicit-def: $sgpr37
	s_cbranch_scc0 .LBB44_24
; %bb.23:                               ;   in Loop: Header=BB44_21 Depth=2
	s_add_i32 s27, s35, s31
	s_mul_i32 s27, s27, 25
	s_lshl_b32 s28, s34, 2
	v_mov_b32_e32 v1, s28
	v_mov_b32_e32 v6, s27
	s_mul_i32 s27, s26, 25
	v_mov_b32_e32 v7, s27
	v_add_u32_e32 v1, 0x200, v1
	ds_write2_b32 v1, v7, v6 offset0:112 offset1:144
	s_add_i32 s37, s35, 1
	s_add_i32 s38, s26, 1
	;; [unrolled: 1-line block ×3, first 2 shown]
	s_mov_b64 s[28:29], 0
.LBB44_24:                              ;   in Loop: Header=BB44_21 Depth=2
	s_andn2_b64 vcc, exec, s[28:29]
	s_cbranch_vccnz .LBB44_26
; %bb.25:                               ;   in Loop: Header=BB44_21 Depth=2
	s_add_i32 s37, s35, 1
	s_mov_b32 s27, s34
	s_mov_b32 s38, s26
.LBB44_26:                              ;   in Loop: Header=BB44_21 Depth=2
	s_mov_b64 s[28:29], 0
.LBB44_27:                              ;   in Loop: Header=BB44_21 Depth=2
	s_andn2_b64 vcc, exec, s[28:29]
	s_cbranch_vccnz .LBB44_29
; %bb.28:                               ;   in Loop: Header=BB44_21 Depth=2
	s_add_i32 s38, s26, 1
	s_mov_b32 s37, s35
	s_mov_b32 s27, s34
.LBB44_29:                              ;   in Loop: Header=BB44_21 Depth=2
	s_cmp_le_i32 s38, s25
	s_cselect_b64 s[28:29], -1, 0
	s_cmp_le_i32 s36, s24
	s_cselect_b64 s[34:35], -1, 0
	s_and_b64 s[28:29], s[28:29], s[34:35]
	s_and_b64 vcc, exec, s[28:29]
	s_cbranch_vccz .LBB44_31
; %bb.30:                               ;   in Loop: Header=BB44_21 Depth=2
	s_mov_b32 s34, s27
	s_mov_b32 s26, s38
	;; [unrolled: 1-line block ×3, first 2 shown]
	s_branch .LBB44_21
.LBB44_31:                              ;   in Loop: Header=BB44_18 Depth=1
	s_add_u32 s2, s6, s2
	s_addc_u32 s3, s7, s3
	s_waitcnt lgkmcnt(0)
.LBB44_32:                              ;   Parent Loop BB44_18 Depth=1
                                        ; =>  This Inner Loop Header: Depth=2
	global_load_dword v1, v0, s[2:3] sc1
	s_waitcnt vmcnt(0)
	v_cmp_eq_u32_e32 vcc, 0, v1
	s_cbranch_vccnz .LBB44_32
; %bb.33:                               ;   in Loop: Header=BB44_18 Depth=1
	v_mad_u64_u32 v[6:7], s[2:3], s25, 25, v[2:3]
	v_ashrrev_i32_e32 v7, 31, v6
	v_lshl_add_u64 v[6:7], v[6:7], 3, s[18:19]
	buffer_inv sc1
	global_load_dwordx2 v[8:9], v[6:7], off
	v_mov_b32_e32 v7, 0
	s_cmp_lt_i32 s27, 2
	v_mov_b32_e32 v6, 0
	s_waitcnt vmcnt(0)
	ds_write_b64 v21, v[8:9]
	s_waitcnt lgkmcnt(0)
	s_cbranch_scc1 .LBB44_43
; %bb.34:                               ;   in Loop: Header=BB44_18 Depth=1
	v_mov_b32_e32 v1, v0
	s_add_i32 s24, s27, -1
	s_movk_i32 s25, 0x3c0
	v_mov_b64_e32 v[6:7], v[0:1]
.LBB44_35:                              ;   Parent Loop BB44_18 Depth=1
                                        ; =>  This Inner Loop Header: Depth=2
	v_mov_b32_e32 v1, s25
	s_waitcnt lgkmcnt(0)
	ds_read2_b32 v[8:9], v1 offset1:32
	s_mov_b64 s[2:3], -1
	s_and_b64 vcc, exec, s[20:21]
                                        ; implicit-def: $vgpr10_vgpr11
	s_cbranch_vccz .LBB44_38
; %bb.36:                               ;   in Loop: Header=BB44_35 Depth=2
	s_waitcnt lgkmcnt(0)
	v_add_u32_e32 v10, v8, v12
	v_add_u32_e32 v28, v9, v13
	v_ashrrev_i32_e32 v29, 31, v28
	v_add_u32_e32 v32, 5, v10
	v_add_u32_e32 v34, 5, v28
	;; [unrolled: 1-line block ×6, first 2 shown]
	v_ashrrev_i32_e32 v11, 31, v10
	v_lshl_add_u64 v[30:31], v[28:29], 3, s[18:19]
	v_ashrrev_i32_e32 v33, 31, v32
	v_ashrrev_i32_e32 v35, 31, v34
	;; [unrolled: 1-line block ×6, first 2 shown]
	v_lshl_add_u64 v[26:27], v[10:11], 3, s[18:19]
	v_lshl_add_u64 v[32:33], v[32:33], 3, s[18:19]
	;; [unrolled: 1-line block ×7, first 2 shown]
	global_load_dwordx2 v[44:45], v[30:31], off
	global_load_dwordx2 v[46:47], v[34:35], off
	;; [unrolled: 1-line block ×8, first 2 shown]
	v_add_u32_e32 v28, 20, v28
	v_add_u32_e32 v10, 20, v10
	v_ashrrev_i32_e32 v29, 31, v28
	v_ashrrev_i32_e32 v11, 31, v10
	v_lshl_add_u64 v[26:27], v[28:29], 3, s[18:19]
	v_lshl_add_u64 v[10:11], v[10:11], 3, s[18:19]
	global_load_dwordx2 v[28:29], v[26:27], off
	global_load_dwordx2 v[30:31], v[10:11], off
	s_waitcnt vmcnt(6)
	v_pk_fma_f32 v[10:11], v[50:51], v[44:45], v[6:7] op_sel:[1,0,0] op_sel_hi:[0,0,1]
	v_pk_fma_f32 v[10:11], v[50:51], v[44:45], v[10:11] op_sel:[0,1,0] neg_lo:[0,1,0]
	s_nop 0
	v_pk_fma_f32 v[10:11], v[48:49], v[46:47], v[10:11] op_sel:[1,0,0] op_sel_hi:[0,0,1]
	v_pk_fma_f32 v[10:11], v[48:49], v[46:47], v[10:11] op_sel:[0,1,0] neg_lo:[0,1,0]
	s_waitcnt vmcnt(2)
	v_pk_fma_f32 v[10:11], v[58:59], v[52:53], v[10:11] op_sel:[1,0,0] op_sel_hi:[0,0,1]
	v_pk_fma_f32 v[10:11], v[58:59], v[52:53], v[10:11] op_sel:[0,1,0] neg_lo:[0,1,0]
	s_nop 0
	v_pk_fma_f32 v[10:11], v[56:57], v[54:55], v[10:11] op_sel:[1,0,0] op_sel_hi:[0,0,1]
	v_pk_fma_f32 v[10:11], v[56:57], v[54:55], v[10:11] op_sel:[0,1,0] neg_lo:[0,1,0]
	s_waitcnt vmcnt(0)
	v_pk_fma_f32 v[10:11], v[30:31], v[28:29], v[10:11] op_sel:[1,0,0] op_sel_hi:[0,0,1]
	v_pk_fma_f32 v[10:11], v[30:31], v[28:29], v[10:11] op_sel:[0,1,0] neg_lo:[0,1,0]
	s_cbranch_execz .LBB44_39
.LBB44_37:                              ;   in Loop: Header=BB44_35 Depth=2
	s_add_i32 s24, s24, -1
	s_add_i32 s25, s25, 4
	s_cmp_eq_u32 s24, 0
	s_cbranch_scc0 .LBB44_40
	s_branch .LBB44_42
.LBB44_38:                              ;   in Loop: Header=BB44_35 Depth=2
	s_andn2_b64 vcc, exec, s[2:3]
	s_cbranch_vccnz .LBB44_37
.LBB44_39:                              ;   in Loop: Header=BB44_35 Depth=2
	s_waitcnt lgkmcnt(0)
	v_add_u32_e32 v10, v8, v18
	v_add_u32_e32 v8, v9, v17
	v_ashrrev_i32_e32 v9, 31, v8
	v_ashrrev_i32_e32 v11, 31, v10
	v_lshl_add_u64 v[40:41], v[8:9], 3, s[18:19]
	v_lshl_add_u64 v[38:39], v[10:11], 3, s[18:19]
	global_load_dwordx4 v[8:11], v[40:41], off
	global_load_dwordx4 v[26:29], v[38:39], off
	global_load_dwordx4 v[30:33], v[38:39], off offset:16
	global_load_dwordx4 v[34:37], v[40:41], off offset:16
	global_load_dwordx2 v[42:43], v[40:41], off offset:32
	global_load_dwordx2 v[44:45], v[38:39], off offset:32
	s_waitcnt vmcnt(5)
	v_mov_b32_e32 v38, v11
	s_waitcnt vmcnt(4)
	v_pk_fma_f32 v[6:7], v[26:27], v[8:9], v[6:7] op_sel:[1,0,0] op_sel_hi:[0,0,1]
	v_pk_fma_f32 v[6:7], v[26:27], v[8:9], v[6:7] op_sel:[0,1,0] neg_lo:[0,1,0]
	s_waitcnt vmcnt(2)
	v_mov_b32_e32 v8, v37
	v_pk_fma_f32 v[6:7], v[28:29], v[10:11], v[6:7] op_sel:[1,0,0] op_sel_hi:[0,0,1]
	v_pk_fma_f32 v[6:7], v[28:29], v[38:39], v[6:7] op_sel_hi:[1,0,1] neg_lo:[0,1,0]
	s_nop 0
	v_pk_fma_f32 v[6:7], v[30:31], v[34:35], v[6:7] op_sel:[1,0,0] op_sel_hi:[0,0,1]
	v_pk_fma_f32 v[6:7], v[30:31], v[34:35], v[6:7] op_sel:[0,1,0] neg_lo:[0,1,0]
	s_nop 0
	v_pk_fma_f32 v[6:7], v[32:33], v[36:37], v[6:7] op_sel:[1,0,0] op_sel_hi:[0,0,1]
	v_pk_fma_f32 v[6:7], v[32:33], v[8:9], v[6:7] op_sel_hi:[1,0,1] neg_lo:[0,1,0]
	s_waitcnt vmcnt(0)
	v_pk_fma_f32 v[6:7], v[44:45], v[42:43], v[6:7] op_sel:[1,0,0] op_sel_hi:[0,0,1]
	v_pk_fma_f32 v[10:11], v[44:45], v[42:43], v[6:7] op_sel:[0,1,0] neg_lo:[0,1,0]
	s_add_i32 s24, s24, -1
	s_add_i32 s25, s25, 4
	s_cmp_eq_u32 s24, 0
	s_cbranch_scc1 .LBB44_42
.LBB44_40:                              ;   in Loop: Header=BB44_35 Depth=2
	v_mov_b64_e32 v[6:7], v[10:11]
	s_branch .LBB44_35
.LBB44_41:                              ;   in Loop: Header=BB44_18 Depth=1
                                        ; implicit-def: $sgpr22
	s_cbranch_execz .LBB44_18
	s_branch .LBB44_62
.LBB44_42:                              ;   in Loop: Header=BB44_18 Depth=1
	v_mov_b32_e32 v7, v10
	v_mov_b32_e32 v6, v11
.LBB44_43:                              ;   in Loop: Header=BB44_18 Depth=1
	ds_write_b64 v23, v[6:7]
	s_waitcnt lgkmcnt(0)
	ds_read_b64 v[6:7], v0
	ds_read_b64 v[10:11], v19
	s_waitcnt lgkmcnt(1)
	v_cmp_neq_f32_e32 vcc, 0, v6
	v_cmp_neq_f32_e64 s[2:3], 0, v7
	s_or_b64 vcc, vcc, s[2:3]
	v_cndmask_b32_e32 v6, 1.0, v6, vcc
	s_nor_b64 s[24:25], vcc, s[0:1]
	v_cndmask_b32_e32 v8, 0, v7, vcc
	s_and_saveexec_b64 s[2:3], s[24:25]
	s_cbranch_execz .LBB44_47
; %bb.44:                               ;   in Loop: Header=BB44_18 Depth=1
	v_mbcnt_lo_u32_b32 v1, exec_lo, 0
	v_mbcnt_hi_u32_b32 v1, exec_hi, v1
	v_cmp_eq_u32_e32 vcc, 0, v1
	s_and_saveexec_b64 s[24:25], vcc
	s_cbranch_execz .LBB44_46
; %bb.45:                               ;   in Loop: Header=BB44_18 Depth=1
	v_mov_b32_e32 v1, s23
	global_atomic_smin v0, v1, s[10:11]
.LBB44_46:                              ;   in Loop: Header=BB44_18 Depth=1
	s_or_b64 exec, exec, s[24:25]
	v_mov_b32_e32 v8, 0
	v_mov_b32_e32 v6, 1.0
.LBB44_47:                              ;   in Loop: Header=BB44_18 Depth=1
	s_or_b64 exec, exec, s[2:3]
	v_mul_f32_e32 v1, v8, v8
	v_fmac_f32_e32 v1, v6, v6
	v_div_scale_f32 v7, s[2:3], v1, v1, 1.0
	v_rcp_f32_e32 v9, v7
	v_div_scale_f32 v25, vcc, 1.0, v1, 1.0
	s_waitcnt lgkmcnt(0)
	v_mov_b32_e32 v30, v11
	v_fma_f32 v26, -v7, v9, 1.0
	v_fmac_f32_e32 v9, v26, v9
	v_mul_f32_e32 v28, v25, v9
	v_fma_f32 v26, -v7, v28, v25
	v_fmac_f32_e32 v28, v26, v9
	ds_read_b64 v[26:27], v22
	v_mov_b32_e32 v31, v10
	v_fma_f32 v7, -v7, v28, v25
	v_div_fmas_f32 v7, v7, v9, v28
	v_div_fixup_f32 v28, v7, v1, 1.0
	s_waitcnt lgkmcnt(0)
	v_pk_add_f32 v[10:11], v[30:31], v[26:27] op_sel:[0,1] op_sel_hi:[1,0] neg_lo:[0,1] neg_hi:[0,1]
	s_nop 0
	v_xor_b32_e32 v26, 0x80000000, v11
	v_mov_b32_e32 v27, v10
	v_pk_mul_f32 v[8:9], v[8:9], v[26:27] op_sel_hi:[0,1]
	v_pk_fma_f32 v[6:7], v[10:11], v[6:7], v[8:9] op_sel_hi:[1,0,1]
	s_nop 0
	v_pk_mul_f32 v[6:7], v[28:29], v[6:7] op_sel_hi:[0,1]
	v_pk_mov_b32 v[8:9], v[6:7], v[6:7] op_sel:[1,0]
	ds_write_b64 v19, v[8:9]
	s_waitcnt lgkmcnt(0)
	ds_read_b64 v[8:9], v24
	ds_read_b64 v[10:11], v15
	s_waitcnt lgkmcnt(0)
	v_pk_fma_f32 v[10:11], v[6:7], v[8:9], v[10:11] op_sel:[1,0,0] op_sel_hi:[0,0,1]
	v_pk_fma_f32 v[6:7], v[6:7], v[8:9], v[10:11] op_sel:[0,1,0] neg_hi:[0,1,0]
	ds_write_b64 v15, v[6:7]
	s_waitcnt lgkmcnt(0)
	ds_read_b64 v[6:7], v0 offset:56
	ds_read_b64 v[10:11], v19 offset:8
	s_waitcnt lgkmcnt(1)
	v_cmp_neq_f32_e32 vcc, 0, v6
	v_cmp_neq_f32_e64 s[2:3], 0, v7
	s_or_b64 vcc, vcc, s[2:3]
	v_cndmask_b32_e32 v6, 1.0, v6, vcc
	s_nor_b64 s[24:25], vcc, s[0:1]
	v_cndmask_b32_e32 v8, 0, v7, vcc
	s_and_saveexec_b64 s[2:3], s[24:25]
	s_cbranch_execz .LBB44_51
; %bb.48:                               ;   in Loop: Header=BB44_18 Depth=1
	v_mbcnt_lo_u32_b32 v1, exec_lo, 0
	v_mbcnt_hi_u32_b32 v1, exec_hi, v1
	v_cmp_eq_u32_e32 vcc, 0, v1
	s_and_saveexec_b64 s[24:25], vcc
	s_cbranch_execz .LBB44_50
; %bb.49:                               ;   in Loop: Header=BB44_18 Depth=1
	v_mov_b32_e32 v1, s23
	global_atomic_smin v0, v1, s[10:11]
.LBB44_50:                              ;   in Loop: Header=BB44_18 Depth=1
	s_or_b64 exec, exec, s[24:25]
	v_mov_b32_e32 v8, 0
	v_mov_b32_e32 v6, 1.0
.LBB44_51:                              ;   in Loop: Header=BB44_18 Depth=1
	s_or_b64 exec, exec, s[2:3]
	v_mul_f32_e32 v1, v8, v8
	v_fmac_f32_e32 v1, v6, v6
	v_div_scale_f32 v7, s[2:3], v1, v1, 1.0
	v_rcp_f32_e32 v9, v7
	v_div_scale_f32 v25, vcc, 1.0, v1, 1.0
	v_fma_f32 v26, -v7, v9, 1.0
	v_fmac_f32_e32 v9, v26, v9
	v_mul_f32_e32 v32, v25, v9
	v_fma_f32 v26, -v7, v32, v25
	v_fmac_f32_e32 v32, v26, v9
	ds_read_b64 v[26:27], v19
	ds_read_b64 v[28:29], v0 offset:48
	ds_read_b64 v[30:31], v22 offset:8
	v_fma_f32 v7, -v7, v32, v25
	v_div_fmas_f32 v7, v7, v9, v32
	v_div_fixup_f32 v32, v7, v1, 1.0
	s_waitcnt lgkmcnt(0)
	v_pk_fma_f32 v[30:31], v[28:29], v[26:27], v[30:31] op_sel_hi:[1,0,1]
	s_nop 0
	v_pk_fma_f32 v[26:27], v[28:29], v[26:27], v[30:31] op_sel:[0,1,1] op_sel_hi:[1,1,0] neg_lo:[0,1,0]
	v_mov_b32_e32 v28, v11
	v_mov_b32_e32 v29, v10
	v_pk_add_f32 v[10:11], v[28:29], v[26:27] neg_lo:[0,1] neg_hi:[0,1]
	s_nop 0
	v_xor_b32_e32 v26, 0x80000000, v11
	v_mov_b32_e32 v27, v10
	v_pk_mul_f32 v[8:9], v[8:9], v[26:27] op_sel_hi:[0,1]
	v_pk_fma_f32 v[6:7], v[10:11], v[6:7], v[8:9] op_sel_hi:[1,0,1]
	s_nop 0
	v_pk_mul_f32 v[6:7], v[32:33], v[6:7] op_sel_hi:[0,1]
	v_pk_mov_b32 v[8:9], v[6:7], v[6:7] op_sel:[1,0]
	ds_write_b64 v19, v[8:9] offset:8
	s_waitcnt lgkmcnt(0)
	ds_read_b64 v[8:9], v24 offset:8
	ds_read_b64 v[10:11], v15
	s_waitcnt lgkmcnt(0)
	v_pk_fma_f32 v[10:11], v[6:7], v[8:9], v[10:11] op_sel:[1,0,0] op_sel_hi:[0,0,1]
	v_pk_fma_f32 v[6:7], v[6:7], v[8:9], v[10:11] op_sel:[0,1,0] neg_hi:[0,1,0]
	ds_write_b64 v15, v[6:7]
	s_waitcnt lgkmcnt(0)
	ds_read_b64 v[6:7], v0 offset:112
	ds_read_b64 v[10:11], v19 offset:16
	s_waitcnt lgkmcnt(1)
	v_cmp_neq_f32_e32 vcc, 0, v6
	v_cmp_neq_f32_e64 s[2:3], 0, v7
	s_or_b64 vcc, vcc, s[2:3]
	v_cndmask_b32_e32 v6, 1.0, v6, vcc
	s_nor_b64 s[24:25], vcc, s[0:1]
	v_cndmask_b32_e32 v8, 0, v7, vcc
	s_and_saveexec_b64 s[2:3], s[24:25]
	s_cbranch_execz .LBB44_55
; %bb.52:                               ;   in Loop: Header=BB44_18 Depth=1
	v_mbcnt_lo_u32_b32 v1, exec_lo, 0
	v_mbcnt_hi_u32_b32 v1, exec_hi, v1
	v_cmp_eq_u32_e32 vcc, 0, v1
	s_and_saveexec_b64 s[24:25], vcc
	s_cbranch_execz .LBB44_54
; %bb.53:                               ;   in Loop: Header=BB44_18 Depth=1
	v_mov_b32_e32 v1, s23
	global_atomic_smin v0, v1, s[10:11]
.LBB44_54:                              ;   in Loop: Header=BB44_18 Depth=1
	s_or_b64 exec, exec, s[24:25]
	v_mov_b32_e32 v8, 0
	v_mov_b32_e32 v6, 1.0
.LBB44_55:                              ;   in Loop: Header=BB44_18 Depth=1
	s_or_b64 exec, exec, s[2:3]
	v_mul_f32_e32 v1, v8, v8
	v_fmac_f32_e32 v1, v6, v6
	v_div_scale_f32 v7, s[2:3], v1, v1, 1.0
	v_rcp_f32_e32 v9, v7
	v_div_scale_f32 v25, vcc, 1.0, v1, 1.0
	v_fma_f32 v26, -v7, v9, 1.0
	v_fmac_f32_e32 v9, v26, v9
	v_mul_f32_e32 v36, v25, v9
	v_fma_f32 v26, -v7, v36, v25
	v_fmac_f32_e32 v36, v26, v9
	ds_read_b128 v[26:29], v0 offset:96
	ds_read_b128 v[30:33], v19
	ds_read_b64 v[34:35], v22 offset:16
	v_fma_f32 v7, -v7, v36, v25
	v_div_fmas_f32 v7, v7, v9, v36
	v_div_fixup_f32 v36, v7, v1, 1.0
	s_waitcnt lgkmcnt(0)
	v_pk_fma_f32 v[34:35], v[26:27], v[30:31], v[34:35] op_sel_hi:[1,0,1]
	s_nop 0
	v_pk_fma_f32 v[26:27], v[26:27], v[30:31], v[34:35] op_sel:[0,1,1] op_sel_hi:[1,1,0] neg_lo:[0,1,0]
	v_mov_b32_e32 v30, v33
	v_pk_fma_f32 v[26:27], v[28:29], v[32:33], v[26:27] op_sel:[1,0,0] op_sel_hi:[0,0,1]
	v_pk_fma_f32 v[26:27], v[28:29], v[30:31], v[26:27] op_sel_hi:[1,0,1] neg_lo:[0,1,0]
	v_mov_b32_e32 v28, v11
	v_mov_b32_e32 v29, v10
	v_pk_add_f32 v[10:11], v[28:29], v[26:27] neg_lo:[0,1] neg_hi:[0,1]
	s_nop 0
	v_xor_b32_e32 v26, 0x80000000, v11
	v_mov_b32_e32 v27, v10
	v_pk_mul_f32 v[8:9], v[8:9], v[26:27] op_sel_hi:[0,1]
	v_pk_fma_f32 v[6:7], v[10:11], v[6:7], v[8:9] op_sel_hi:[1,0,1]
	s_nop 0
	v_pk_mul_f32 v[6:7], v[36:37], v[6:7] op_sel_hi:[0,1]
	v_pk_mov_b32 v[8:9], v[6:7], v[6:7] op_sel:[1,0]
	ds_write_b64 v19, v[8:9] offset:16
	s_waitcnt lgkmcnt(0)
	ds_read_b64 v[8:9], v24 offset:16
	ds_read_b64 v[10:11], v15
	s_waitcnt lgkmcnt(0)
	v_pk_fma_f32 v[10:11], v[6:7], v[8:9], v[10:11] op_sel:[1,0,0] op_sel_hi:[0,0,1]
	v_pk_fma_f32 v[6:7], v[6:7], v[8:9], v[10:11] op_sel:[0,1,0] neg_hi:[0,1,0]
	ds_write_b64 v15, v[6:7]
	s_waitcnt lgkmcnt(0)
	ds_read_b64 v[6:7], v0 offset:168
	ds_read_b64 v[10:11], v19 offset:24
	s_waitcnt lgkmcnt(1)
	v_cmp_neq_f32_e32 vcc, 0, v6
	v_cmp_neq_f32_e64 s[2:3], 0, v7
	s_or_b64 vcc, vcc, s[2:3]
	v_cndmask_b32_e32 v6, 1.0, v6, vcc
	s_nor_b64 s[24:25], vcc, s[0:1]
	v_cndmask_b32_e32 v8, 0, v7, vcc
	s_and_saveexec_b64 s[2:3], s[24:25]
	s_cbranch_execz .LBB44_59
; %bb.56:                               ;   in Loop: Header=BB44_18 Depth=1
	v_mbcnt_lo_u32_b32 v1, exec_lo, 0
	v_mbcnt_hi_u32_b32 v1, exec_hi, v1
	v_cmp_eq_u32_e32 vcc, 0, v1
	s_and_saveexec_b64 s[24:25], vcc
	s_cbranch_execz .LBB44_58
; %bb.57:                               ;   in Loop: Header=BB44_18 Depth=1
	v_mov_b32_e32 v1, s23
	global_atomic_smin v0, v1, s[10:11]
.LBB44_58:                              ;   in Loop: Header=BB44_18 Depth=1
	s_or_b64 exec, exec, s[24:25]
	v_mov_b32_e32 v8, 0
	v_mov_b32_e32 v6, 1.0
.LBB44_59:                              ;   in Loop: Header=BB44_18 Depth=1
	s_or_b64 exec, exec, s[2:3]
	v_mul_f32_e32 v1, v8, v8
	v_fmac_f32_e32 v1, v6, v6
	v_div_scale_f32 v7, s[2:3], v1, v1, 1.0
	v_rcp_f32_e32 v9, v7
	ds_read_b128 v[26:29], v19
	ds_read_b64 v[34:35], v19 offset:16
	v_fma_f32 v25, -v7, v9, 1.0
	v_fmac_f32_e32 v9, v25, v9
	v_div_scale_f32 v25, vcc, 1.0, v1, 1.0
	v_mul_f32_e32 v38, v25, v9
	v_fma_f32 v30, -v7, v38, v25
	v_fmac_f32_e32 v38, v30, v9
	ds_read_b128 v[30:33], v0 offset:144
	ds_read_b64 v[36:37], v22 offset:24
	ds_read_b64 v[40:41], v0 offset:160
	v_fma_f32 v7, -v7, v38, v25
	v_div_fmas_f32 v7, v7, v9, v38
	v_div_fixup_f32 v38, v7, v1, 1.0
	s_waitcnt lgkmcnt(1)
	v_pk_fma_f32 v[36:37], v[30:31], v[26:27], v[36:37] op_sel_hi:[1,0,1]
	s_nop 0
	v_pk_fma_f32 v[26:27], v[30:31], v[26:27], v[36:37] op_sel:[0,1,1] op_sel_hi:[1,1,0] neg_lo:[0,1,0]
	s_nop 0
	v_pk_fma_f32 v[26:27], v[32:33], v[28:29], v[26:27] op_sel:[1,0,0] op_sel_hi:[0,0,1]
	v_mov_b32_e32 v28, v29
	v_pk_fma_f32 v[26:27], v[32:33], v[28:29], v[26:27] op_sel_hi:[1,0,1] neg_lo:[0,1,0]
	v_mov_b32_e32 v28, v11
	s_waitcnt lgkmcnt(0)
	v_pk_fma_f32 v[26:27], v[40:41], v[34:35], v[26:27] op_sel:[1,0,0] op_sel_hi:[0,0,1]
	v_pk_fma_f32 v[26:27], v[40:41], v[34:35], v[26:27] op_sel:[0,1,0] neg_lo:[0,1,0]
	v_mov_b32_e32 v29, v10
	v_pk_add_f32 v[10:11], v[28:29], v[26:27] neg_lo:[0,1] neg_hi:[0,1]
	s_nop 0
	v_xor_b32_e32 v26, 0x80000000, v11
	v_mov_b32_e32 v27, v10
	v_pk_mul_f32 v[8:9], v[8:9], v[26:27] op_sel_hi:[0,1]
	v_pk_fma_f32 v[6:7], v[10:11], v[6:7], v[8:9] op_sel_hi:[1,0,1]
	s_nop 0
	v_pk_mul_f32 v[6:7], v[38:39], v[6:7] op_sel_hi:[0,1]
	v_pk_mov_b32 v[8:9], v[6:7], v[6:7] op_sel:[1,0]
	ds_write_b64 v19, v[8:9] offset:24
	s_waitcnt lgkmcnt(0)
	ds_read_b64 v[8:9], v24 offset:24
	ds_read_b64 v[10:11], v15
	s_waitcnt lgkmcnt(0)
	v_pk_fma_f32 v[10:11], v[6:7], v[8:9], v[10:11] op_sel:[1,0,0] op_sel_hi:[0,0,1]
	v_pk_fma_f32 v[6:7], v[6:7], v[8:9], v[10:11] op_sel:[0,1,0] neg_hi:[0,1,0]
	ds_write_b64 v15, v[6:7]
	s_waitcnt lgkmcnt(0)
	ds_read_b64 v[6:7], v0 offset:224
	ds_read_b64 v[10:11], v19 offset:32
	s_waitcnt lgkmcnt(1)
	v_cmp_neq_f32_e32 vcc, 0, v6
	v_cmp_neq_f32_e64 s[2:3], 0, v7
	s_or_b64 vcc, vcc, s[2:3]
	v_cndmask_b32_e32 v6, 1.0, v6, vcc
	s_nor_b64 s[24:25], vcc, s[0:1]
	v_cndmask_b32_e32 v8, 0, v7, vcc
	s_and_saveexec_b64 s[2:3], s[24:25]
	s_cbranch_execz .LBB44_17
; %bb.60:                               ;   in Loop: Header=BB44_18 Depth=1
	v_mbcnt_lo_u32_b32 v1, exec_lo, 0
	v_mbcnt_hi_u32_b32 v1, exec_hi, v1
	v_cmp_eq_u32_e32 vcc, 0, v1
	s_and_saveexec_b64 s[24:25], vcc
	s_cbranch_execz .LBB44_16
; %bb.61:                               ;   in Loop: Header=BB44_18 Depth=1
	v_mov_b32_e32 v1, s23
	global_atomic_smin v0, v1, s[10:11]
	s_branch .LBB44_16
.LBB44_62:
	s_cmp_lg_u32 s33, 0
	s_cselect_b64 s[12:13], -1, 0
	s_cmp_eq_u32 s33, 0
	v_mov_b32_e32 v0, v14
	s_cbranch_scc1 .LBB44_64
; %bb.63:
	v_mad_u32_u24 v0, v12, 5, v13
.LBB44_64:
	s_mul_i32 s30, s30, 25
	v_add_u32_e32 v0, s30, v0
	v_ashrrev_i32_e32 v1, 31, v0
	v_lshl_add_u64 v[0:1], v[0:1], 3, s[18:19]
	global_load_dwordx2 v[6:7], v[0:1], off
	v_mov_b32_e32 v0, 0x1e0
	v_mad_u32_u24 v4, v13, 48, v0
	v_cmp_ne_u32_e64 s[2:3], 0, v13
	v_lshl_add_u32 v1, v12, 3, v4
	v_cmp_eq_u32_e32 vcc, 0, v13
	s_waitcnt vmcnt(0)
	ds_write_b64 v1, v[6:7]
	s_waitcnt lgkmcnt(0)
	s_and_saveexec_b64 s[4:5], vcc
	s_cbranch_execz .LBB44_74
; %bb.65:
	v_mov_b32_e32 v5, 0
	ds_read2_b64 v[6:9], v5 offset0:60 offset1:90
	s_waitcnt lgkmcnt(0)
	v_sub_f32_e32 v0, v6, v8
	v_sub_f32_e32 v6, v7, v9
	v_cmp_gt_f32_e32 vcc, 0, v0
	s_nop 1
	v_cndmask_b32_e64 v0, v0, -v0, vcc
	v_cmp_gt_f32_e32 vcc, 0, v6
	s_nop 1
	v_cndmask_b32_e64 v2, v6, -v6, vcc
	v_cmp_ngt_f32_e32 vcc, v0, v2
	s_cbranch_vccz .LBB44_71
; %bb.66:
	v_cmp_eq_f32_e32 vcc, 0, v6
	s_cbranch_vccnz .LBB44_68
; %bb.67:
	v_div_scale_f32 v5, s[0:1], v2, v2, v0
	v_rcp_f32_e32 v6, v5
	v_div_scale_f32 v7, vcc, v0, v2, v0
	s_mov_b32 s0, 0xf800000
	v_fma_f32 v8, -v5, v6, 1.0
	v_fmac_f32_e32 v6, v8, v6
	v_mul_f32_e32 v8, v7, v6
	v_fma_f32 v9, -v5, v8, v7
	v_fmac_f32_e32 v8, v9, v6
	v_fma_f32 v5, -v5, v8, v7
	v_div_fmas_f32 v5, v5, v6, v8
	v_div_fixup_f32 v5, v5, v2, v0
	v_fma_f32 v5, v5, v5, 1.0
	v_mul_f32_e32 v6, 0x4f800000, v5
	v_cmp_gt_f32_e32 vcc, s0, v5
	s_nop 1
	v_cndmask_b32_e32 v5, v5, v6, vcc
	v_sqrt_f32_e32 v6, v5
	s_nop 0
	v_add_u32_e32 v7, -1, v6
	v_fma_f32 v8, -v7, v6, v5
	v_cmp_ge_f32_e64 s[0:1], 0, v8
	v_add_u32_e32 v8, 1, v6
	s_nop 0
	v_cndmask_b32_e64 v7, v6, v7, s[0:1]
	v_fma_f32 v6, -v8, v6, v5
	v_cmp_lt_f32_e64 s[0:1], 0, v6
	s_nop 1
	v_cndmask_b32_e64 v6, v7, v8, s[0:1]
	v_mul_f32_e32 v7, 0x37800000, v6
	v_cndmask_b32_e32 v6, v6, v7, vcc
	v_mov_b32_e32 v7, 0x260
	v_cmp_class_f32_e32 vcc, v5, v7
	s_nop 1
	v_cndmask_b32_e32 v5, v6, v5, vcc
	v_mul_f32_e32 v5, v2, v5
.LBB44_68:
	s_cbranch_execz .LBB44_72
	s_branch .LBB44_73
.LBB44_69:
	s_cbranch_execnz .LBB44_139
.LBB44_70:
	s_endpgm
.LBB44_71:
                                        ; implicit-def: $vgpr5
.LBB44_72:
	v_div_scale_f32 v5, s[0:1], v0, v0, v2
	v_rcp_f32_e32 v6, v5
	v_div_scale_f32 v7, vcc, v2, v0, v2
	s_mov_b32 s0, 0xf800000
	v_fma_f32 v8, -v5, v6, 1.0
	v_fmac_f32_e32 v6, v8, v6
	v_mul_f32_e32 v8, v7, v6
	v_fma_f32 v9, -v5, v8, v7
	v_fmac_f32_e32 v8, v9, v6
	v_fma_f32 v5, -v5, v8, v7
	v_div_fmas_f32 v5, v5, v6, v8
	v_div_fixup_f32 v2, v5, v0, v2
	v_fma_f32 v2, v2, v2, 1.0
	v_mul_f32_e32 v5, 0x4f800000, v2
	v_cmp_gt_f32_e32 vcc, s0, v2
	s_nop 1
	v_cndmask_b32_e32 v2, v2, v5, vcc
	v_sqrt_f32_e32 v5, v2
	s_nop 0
	v_add_u32_e32 v6, -1, v5
	v_fma_f32 v7, -v6, v5, v2
	v_cmp_ge_f32_e64 s[0:1], 0, v7
	v_add_u32_e32 v7, 1, v5
	s_nop 0
	v_cndmask_b32_e64 v6, v5, v6, s[0:1]
	v_fma_f32 v5, -v7, v5, v2
	v_cmp_lt_f32_e64 s[0:1], 0, v5
	s_nop 1
	v_cndmask_b32_e64 v5, v6, v7, s[0:1]
	v_mul_f32_e32 v6, 0x37800000, v5
	v_cndmask_b32_e32 v5, v5, v6, vcc
	v_mov_b32_e32 v6, 0x260
	v_cmp_class_f32_e32 vcc, v2, v6
	s_nop 1
	v_cndmask_b32_e32 v2, v5, v2, vcc
	v_mul_f32_e32 v5, v0, v2
.LBB44_73:
	s_mov_b32 s0, 0xf800000
	v_mul_f32_e32 v0, 0x4f800000, v5
	v_cmp_gt_f32_e32 vcc, s0, v5
	v_mov_b32_e32 v7, 0
	s_nop 0
	v_cndmask_b32_e32 v0, v5, v0, vcc
	v_sqrt_f32_e32 v2, v0
	s_nop 0
	v_add_u32_e32 v5, -1, v2
	v_fma_f32 v6, -v5, v2, v0
	v_cmp_ge_f32_e64 s[0:1], 0, v6
	v_add_u32_e32 v6, 1, v2
	s_nop 0
	v_cndmask_b32_e64 v5, v2, v5, s[0:1]
	v_fma_f32 v2, -v6, v2, v0
	v_cmp_lt_f32_e64 s[0:1], 0, v2
	s_nop 1
	v_cndmask_b32_e64 v2, v5, v6, s[0:1]
	v_mul_f32_e32 v5, 0x37800000, v2
	v_cndmask_b32_e32 v2, v2, v5, vcc
	v_mov_b32_e32 v5, 0x260
	v_cmp_class_f32_e32 vcc, v0, v5
	s_nop 1
	v_cndmask_b32_e32 v6, v2, v0, vcc
	ds_write_b64 v7, v[6:7] offset:480
.LBB44_74:
	s_or_b64 exec, exec, s[4:5]
	v_mov_b32_e32 v0, 0
	s_waitcnt lgkmcnt(0)
	ds_read_b64 v[6:7], v0 offset:480
	v_or_b32_e32 v5, v12, v13
	v_cmp_ne_u32_e64 s[0:1], 0, v5
	s_add_i32 s20, s16, s17
	s_waitcnt lgkmcnt(0)
	v_cmp_neq_f32_e32 vcc, 0, v6
	v_cmp_neq_f32_e64 s[4:5], 0, v7
	s_or_b64 vcc, vcc, s[4:5]
	v_cndmask_b32_e32 v0, 1.0, v6, vcc
	s_nor_b64 s[14:15], vcc, s[0:1]
	v_cndmask_b32_e32 v2, 0, v7, vcc
	s_and_saveexec_b64 s[4:5], s[14:15]
	s_cbranch_execz .LBB44_78
; %bb.75:
	v_mbcnt_lo_u32_b32 v0, exec_lo, 0
	v_mbcnt_hi_u32_b32 v0, exec_hi, v0
	v_cmp_eq_u32_e32 vcc, 0, v0
	s_and_saveexec_b64 s[14:15], vcc
	s_cbranch_execz .LBB44_77
; %bb.76:
	v_mov_b32_e32 v0, 0
	v_mov_b32_e32 v2, s20
	global_atomic_smin v0, v2, s[10:11]
.LBB44_77:
	s_or_b64 exec, exec, s[14:15]
	v_mov_b32_e32 v2, 0
	v_mov_b32_e32 v0, 1.0
.LBB44_78:
	s_or_b64 exec, exec, s[4:5]
	v_mov_b32_e32 v6, 0x1e0
	v_mad_u32_u24 v6, v12, 48, v6
	s_and_saveexec_b64 s[4:5], s[2:3]
	s_cbranch_execz .LBB44_80
; %bb.79:
	v_mul_f32_e32 v7, v2, v2
	v_fmac_f32_e32 v7, v0, v0
	v_div_scale_f32 v17, s[2:3], v7, v7, 1.0
	v_rcp_f32_e32 v18, v17
	v_div_scale_f32 v19, vcc, 1.0, v7, 1.0
	v_fma_f32 v8, -v17, v18, 1.0
	v_fmac_f32_e32 v18, v8, v18
	v_mul_f32_e32 v20, v19, v18
	v_fma_f32 v8, -v17, v20, v19
	v_fmac_f32_e32 v20, v8, v18
	ds_read_b64 v[8:9], v4
	ds_read_b64 v[10:11], v16
	v_fma_f32 v17, -v17, v20, v19
	v_div_fmas_f32 v17, v17, v18, v20
	v_div_fixup_f32 v18, v17, v7, 1.0
	s_waitcnt lgkmcnt(0)
	v_pk_add_f32 v[8:9], v[8:9], v[10:11] op_sel:[1,1] op_sel_hi:[0,0] neg_lo:[0,1] neg_hi:[0,1]
	v_xor_b32_e32 v10, 0x80000000, v9
	v_mov_b32_e32 v11, v8
	v_pk_mul_f32 v[10:11], v[2:3], v[10:11] op_sel_hi:[0,1]
	v_pk_fma_f32 v[8:9], v[8:9], v[0:1], v[10:11] op_sel_hi:[1,0,1]
	s_nop 0
	v_pk_mul_f32 v[8:9], v[18:19], v[8:9] op_sel_hi:[0,1]
	v_pk_mov_b32 v[10:11], v[8:9], v[8:9] op_sel:[1,0]
	ds_write_b64 v4, v[10:11]
	s_waitcnt lgkmcnt(0)
	ds_read_b64 v[10:11], v6
	ds_read_b64 v[18:19], v15
	s_waitcnt lgkmcnt(0)
	v_pk_fma_f32 v[18:19], v[8:9], v[10:11], v[18:19] op_sel:[1,0,0] op_sel_hi:[0,0,1]
	v_pk_fma_f32 v[8:9], v[8:9], v[10:11], v[18:19] op_sel:[0,1,0] neg_hi:[0,1,0]
	ds_write_b64 v15, v[8:9]
.LBB44_80:
	s_or_b64 exec, exec, s[4:5]
	v_cmp_eq_u32_e32 vcc, 1, v13
	s_waitcnt lgkmcnt(0)
	s_and_saveexec_b64 s[4:5], vcc
	s_cbranch_execz .LBB44_88
; %bb.81:
	v_mov_b32_e32 v7, 0
	ds_read2_b64 v[8:11], v7 offset0:67 offset1:97
	s_waitcnt lgkmcnt(0)
	v_sub_f32_e32 v0, v8, v10
	v_sub_f32_e32 v8, v9, v11
	v_cmp_gt_f32_e32 vcc, 0, v0
	s_nop 1
	v_cndmask_b32_e64 v0, v0, -v0, vcc
	v_cmp_gt_f32_e32 vcc, 0, v8
	s_nop 1
	v_cndmask_b32_e64 v2, v8, -v8, vcc
	v_cmp_gt_f32_e32 vcc, v0, v2
	s_cbranch_vccnz .LBB44_85
; %bb.82:
	v_cmp_eq_f32_e32 vcc, 0, v8
	s_cbranch_vccnz .LBB44_84
; %bb.83:
	v_div_scale_f32 v7, s[2:3], v2, v2, v0
	v_rcp_f32_e32 v8, v7
	v_div_scale_f32 v9, vcc, v0, v2, v0
	s_mov_b32 s2, 0xf800000
	v_fma_f32 v10, -v7, v8, 1.0
	v_fmac_f32_e32 v8, v10, v8
	v_mul_f32_e32 v10, v9, v8
	v_fma_f32 v11, -v7, v10, v9
	v_fmac_f32_e32 v10, v11, v8
	v_fma_f32 v7, -v7, v10, v9
	v_div_fmas_f32 v7, v7, v8, v10
	v_div_fixup_f32 v7, v7, v2, v0
	v_fma_f32 v7, v7, v7, 1.0
	v_mul_f32_e32 v8, 0x4f800000, v7
	v_cmp_gt_f32_e32 vcc, s2, v7
	s_nop 1
	v_cndmask_b32_e32 v7, v7, v8, vcc
	v_sqrt_f32_e32 v8, v7
	s_nop 0
	v_add_u32_e32 v9, -1, v8
	v_fma_f32 v10, -v9, v8, v7
	v_cmp_ge_f32_e64 s[2:3], 0, v10
	v_add_u32_e32 v10, 1, v8
	s_nop 0
	v_cndmask_b32_e64 v9, v8, v9, s[2:3]
	v_fma_f32 v8, -v10, v8, v7
	v_cmp_lt_f32_e64 s[2:3], 0, v8
	s_nop 1
	v_cndmask_b32_e64 v8, v9, v10, s[2:3]
	v_mul_f32_e32 v9, 0x37800000, v8
	v_cndmask_b32_e32 v8, v8, v9, vcc
	v_mov_b32_e32 v9, 0x260
	v_cmp_class_f32_e32 vcc, v7, v9
	s_nop 1
	v_cndmask_b32_e32 v7, v8, v7, vcc
	v_mul_f32_e32 v7, v2, v7
.LBB44_84:
	s_cbranch_execz .LBB44_86
	s_branch .LBB44_87
.LBB44_85:
                                        ; implicit-def: $vgpr7
.LBB44_86:
	v_div_scale_f32 v7, s[2:3], v0, v0, v2
	v_rcp_f32_e32 v8, v7
	v_div_scale_f32 v9, vcc, v2, v0, v2
	s_mov_b32 s2, 0xf800000
	v_fma_f32 v10, -v7, v8, 1.0
	v_fmac_f32_e32 v8, v10, v8
	v_mul_f32_e32 v10, v9, v8
	v_fma_f32 v11, -v7, v10, v9
	v_fmac_f32_e32 v10, v11, v8
	v_fma_f32 v7, -v7, v10, v9
	v_div_fmas_f32 v7, v7, v8, v10
	v_div_fixup_f32 v2, v7, v0, v2
	v_fma_f32 v2, v2, v2, 1.0
	v_mul_f32_e32 v7, 0x4f800000, v2
	v_cmp_gt_f32_e32 vcc, s2, v2
	s_nop 1
	v_cndmask_b32_e32 v2, v2, v7, vcc
	v_sqrt_f32_e32 v7, v2
	s_nop 0
	v_add_u32_e32 v8, -1, v7
	v_fma_f32 v9, -v8, v7, v2
	v_cmp_ge_f32_e64 s[2:3], 0, v9
	v_add_u32_e32 v9, 1, v7
	s_nop 0
	v_cndmask_b32_e64 v8, v7, v8, s[2:3]
	v_fma_f32 v7, -v9, v7, v2
	v_cmp_lt_f32_e64 s[2:3], 0, v7
	s_nop 1
	v_cndmask_b32_e64 v7, v8, v9, s[2:3]
	v_mul_f32_e32 v8, 0x37800000, v7
	v_cndmask_b32_e32 v7, v7, v8, vcc
	v_mov_b32_e32 v8, 0x260
	v_cmp_class_f32_e32 vcc, v2, v8
	s_nop 1
	v_cndmask_b32_e32 v2, v7, v2, vcc
	v_mul_f32_e32 v7, v0, v2
.LBB44_87:
	s_mov_b32 s2, 0xf800000
	v_mul_f32_e32 v0, 0x4f800000, v7
	v_cmp_gt_f32_e32 vcc, s2, v7
	v_mov_b32_e32 v9, 0
	s_nop 0
	v_cndmask_b32_e32 v0, v7, v0, vcc
	v_sqrt_f32_e32 v2, v0
	s_nop 0
	v_add_u32_e32 v7, -1, v2
	v_fma_f32 v8, -v7, v2, v0
	v_cmp_ge_f32_e64 s[2:3], 0, v8
	v_add_u32_e32 v8, 1, v2
	s_nop 0
	v_cndmask_b32_e64 v7, v2, v7, s[2:3]
	v_fma_f32 v2, -v8, v2, v0
	v_cmp_lt_f32_e64 s[2:3], 0, v2
	s_nop 1
	v_cndmask_b32_e64 v2, v7, v8, s[2:3]
	v_mul_f32_e32 v7, 0x37800000, v2
	v_cndmask_b32_e32 v2, v2, v7, vcc
	v_mov_b32_e32 v7, 0x260
	v_cmp_class_f32_e32 vcc, v0, v7
	s_nop 1
	v_cndmask_b32_e32 v8, v2, v0, vcc
	ds_write_b64 v9, v[8:9] offset:536
.LBB44_88:
	s_or_b64 exec, exec, s[4:5]
	v_mov_b32_e32 v0, 0
	s_waitcnt lgkmcnt(0)
	ds_read_b64 v[8:9], v0 offset:536
	s_waitcnt lgkmcnt(0)
	v_cmp_neq_f32_e32 vcc, 0, v8
	v_cmp_neq_f32_e64 s[2:3], 0, v9
	s_or_b64 vcc, vcc, s[2:3]
	v_cndmask_b32_e32 v0, 1.0, v8, vcc
	s_nor_b64 s[4:5], vcc, s[0:1]
	v_cndmask_b32_e32 v2, 0, v9, vcc
	s_and_saveexec_b64 s[2:3], s[4:5]
	s_cbranch_execz .LBB44_92
; %bb.89:
	v_mbcnt_lo_u32_b32 v0, exec_lo, 0
	v_mbcnt_hi_u32_b32 v0, exec_hi, v0
	v_cmp_eq_u32_e32 vcc, 0, v0
	s_and_saveexec_b64 s[4:5], vcc
	s_cbranch_execz .LBB44_91
; %bb.90:
	v_mov_b32_e32 v0, 0
	v_mov_b32_e32 v2, s20
	global_atomic_smin v0, v2, s[10:11]
.LBB44_91:
	s_or_b64 exec, exec, s[4:5]
	v_mov_b32_e32 v2, 0
	v_mov_b32_e32 v0, 1.0
.LBB44_92:
	s_or_b64 exec, exec, s[2:3]
	v_cmp_lt_u32_e32 vcc, 1, v13
	s_and_saveexec_b64 s[2:3], vcc
	s_cbranch_execz .LBB44_94
; %bb.93:
	v_mul_f32_e32 v7, v2, v2
	v_fmac_f32_e32 v7, v0, v0
	v_div_scale_f32 v17, s[4:5], v7, v7, 1.0
	v_rcp_f32_e32 v18, v17
	v_div_scale_f32 v19, vcc, 1.0, v7, 1.0
	v_fma_f32 v8, -v17, v18, 1.0
	v_fmac_f32_e32 v18, v8, v18
	v_mul_f32_e32 v20, v19, v18
	v_fma_f32 v8, -v17, v20, v19
	v_fmac_f32_e32 v20, v8, v18
	ds_read_b64 v[8:9], v4 offset:8
	ds_read_b64 v[10:11], v16 offset:8
	v_fma_f32 v17, -v17, v20, v19
	v_div_fmas_f32 v17, v17, v18, v20
	v_div_fixup_f32 v18, v17, v7, 1.0
	s_waitcnt lgkmcnt(0)
	v_pk_add_f32 v[8:9], v[8:9], v[10:11] op_sel:[1,1] op_sel_hi:[0,0] neg_lo:[0,1] neg_hi:[0,1]
	v_xor_b32_e32 v10, 0x80000000, v9
	v_mov_b32_e32 v11, v8
	v_pk_mul_f32 v[10:11], v[2:3], v[10:11] op_sel_hi:[0,1]
	v_pk_fma_f32 v[8:9], v[8:9], v[0:1], v[10:11] op_sel_hi:[1,0,1]
	s_nop 0
	v_pk_mul_f32 v[8:9], v[18:19], v[8:9] op_sel_hi:[0,1]
	v_pk_mov_b32 v[10:11], v[8:9], v[8:9] op_sel:[1,0]
	ds_write_b64 v4, v[10:11] offset:8
	s_waitcnt lgkmcnt(0)
	ds_read_b64 v[10:11], v6 offset:8
	ds_read_b64 v[18:19], v15
	s_waitcnt lgkmcnt(0)
	v_pk_fma_f32 v[18:19], v[8:9], v[10:11], v[18:19] op_sel:[1,0,0] op_sel_hi:[0,0,1]
	v_pk_fma_f32 v[8:9], v[8:9], v[10:11], v[18:19] op_sel:[0,1,0] neg_hi:[0,1,0]
	ds_write_b64 v15, v[8:9]
.LBB44_94:
	s_or_b64 exec, exec, s[2:3]
	v_cmp_eq_u32_e32 vcc, 2, v13
	s_waitcnt lgkmcnt(0)
	s_and_saveexec_b64 s[4:5], vcc
	s_cbranch_execz .LBB44_102
; %bb.95:
	v_mov_b32_e32 v7, 0
	ds_read2_b64 v[8:11], v7 offset0:74 offset1:104
	s_waitcnt lgkmcnt(0)
	v_sub_f32_e32 v0, v8, v10
	v_sub_f32_e32 v8, v9, v11
	v_cmp_gt_f32_e32 vcc, 0, v0
	s_nop 1
	v_cndmask_b32_e64 v0, v0, -v0, vcc
	v_cmp_gt_f32_e32 vcc, 0, v8
	s_nop 1
	v_cndmask_b32_e64 v2, v8, -v8, vcc
	v_cmp_gt_f32_e32 vcc, v0, v2
	s_cbranch_vccnz .LBB44_99
; %bb.96:
	v_cmp_eq_f32_e32 vcc, 0, v8
	s_cbranch_vccnz .LBB44_98
; %bb.97:
	v_div_scale_f32 v7, s[2:3], v2, v2, v0
	v_rcp_f32_e32 v8, v7
	v_div_scale_f32 v9, vcc, v0, v2, v0
	s_mov_b32 s2, 0xf800000
	v_fma_f32 v10, -v7, v8, 1.0
	v_fmac_f32_e32 v8, v10, v8
	v_mul_f32_e32 v10, v9, v8
	v_fma_f32 v11, -v7, v10, v9
	v_fmac_f32_e32 v10, v11, v8
	v_fma_f32 v7, -v7, v10, v9
	v_div_fmas_f32 v7, v7, v8, v10
	v_div_fixup_f32 v7, v7, v2, v0
	v_fma_f32 v7, v7, v7, 1.0
	v_mul_f32_e32 v8, 0x4f800000, v7
	v_cmp_gt_f32_e32 vcc, s2, v7
	s_nop 1
	v_cndmask_b32_e32 v7, v7, v8, vcc
	v_sqrt_f32_e32 v8, v7
	s_nop 0
	v_add_u32_e32 v9, -1, v8
	v_fma_f32 v10, -v9, v8, v7
	v_cmp_ge_f32_e64 s[2:3], 0, v10
	v_add_u32_e32 v10, 1, v8
	s_nop 0
	v_cndmask_b32_e64 v9, v8, v9, s[2:3]
	v_fma_f32 v8, -v10, v8, v7
	v_cmp_lt_f32_e64 s[2:3], 0, v8
	s_nop 1
	v_cndmask_b32_e64 v8, v9, v10, s[2:3]
	v_mul_f32_e32 v9, 0x37800000, v8
	v_cndmask_b32_e32 v8, v8, v9, vcc
	v_mov_b32_e32 v9, 0x260
	v_cmp_class_f32_e32 vcc, v7, v9
	s_nop 1
	v_cndmask_b32_e32 v7, v8, v7, vcc
	v_mul_f32_e32 v7, v2, v7
.LBB44_98:
	s_cbranch_execz .LBB44_100
	s_branch .LBB44_101
.LBB44_99:
                                        ; implicit-def: $vgpr7
.LBB44_100:
	v_div_scale_f32 v7, s[2:3], v0, v0, v2
	v_rcp_f32_e32 v8, v7
	v_div_scale_f32 v9, vcc, v2, v0, v2
	s_mov_b32 s2, 0xf800000
	v_fma_f32 v10, -v7, v8, 1.0
	v_fmac_f32_e32 v8, v10, v8
	v_mul_f32_e32 v10, v9, v8
	v_fma_f32 v11, -v7, v10, v9
	v_fmac_f32_e32 v10, v11, v8
	v_fma_f32 v7, -v7, v10, v9
	v_div_fmas_f32 v7, v7, v8, v10
	v_div_fixup_f32 v2, v7, v0, v2
	v_fma_f32 v2, v2, v2, 1.0
	v_mul_f32_e32 v7, 0x4f800000, v2
	v_cmp_gt_f32_e32 vcc, s2, v2
	s_nop 1
	v_cndmask_b32_e32 v2, v2, v7, vcc
	v_sqrt_f32_e32 v7, v2
	s_nop 0
	v_add_u32_e32 v8, -1, v7
	v_fma_f32 v9, -v8, v7, v2
	v_cmp_ge_f32_e64 s[2:3], 0, v9
	v_add_u32_e32 v9, 1, v7
	s_nop 0
	v_cndmask_b32_e64 v8, v7, v8, s[2:3]
	v_fma_f32 v7, -v9, v7, v2
	v_cmp_lt_f32_e64 s[2:3], 0, v7
	s_nop 1
	v_cndmask_b32_e64 v7, v8, v9, s[2:3]
	v_mul_f32_e32 v8, 0x37800000, v7
	v_cndmask_b32_e32 v7, v7, v8, vcc
	v_mov_b32_e32 v8, 0x260
	v_cmp_class_f32_e32 vcc, v2, v8
	s_nop 1
	v_cndmask_b32_e32 v2, v7, v2, vcc
	v_mul_f32_e32 v7, v0, v2
.LBB44_101:
	s_mov_b32 s2, 0xf800000
	v_mul_f32_e32 v0, 0x4f800000, v7
	v_cmp_gt_f32_e32 vcc, s2, v7
	v_mov_b32_e32 v9, 0
	s_nop 0
	v_cndmask_b32_e32 v0, v7, v0, vcc
	v_sqrt_f32_e32 v2, v0
	s_nop 0
	v_add_u32_e32 v7, -1, v2
	v_fma_f32 v8, -v7, v2, v0
	v_cmp_ge_f32_e64 s[2:3], 0, v8
	v_add_u32_e32 v8, 1, v2
	s_nop 0
	v_cndmask_b32_e64 v7, v2, v7, s[2:3]
	v_fma_f32 v2, -v8, v2, v0
	v_cmp_lt_f32_e64 s[2:3], 0, v2
	s_nop 1
	v_cndmask_b32_e64 v2, v7, v8, s[2:3]
	v_mul_f32_e32 v7, 0x37800000, v2
	v_cndmask_b32_e32 v2, v2, v7, vcc
	v_mov_b32_e32 v7, 0x260
	v_cmp_class_f32_e32 vcc, v0, v7
	s_nop 1
	v_cndmask_b32_e32 v8, v2, v0, vcc
	ds_write_b64 v9, v[8:9] offset:592
.LBB44_102:
	s_or_b64 exec, exec, s[4:5]
	v_mov_b32_e32 v0, 0
	s_waitcnt lgkmcnt(0)
	ds_read_b64 v[8:9], v0 offset:592
	s_waitcnt lgkmcnt(0)
	v_cmp_neq_f32_e32 vcc, 0, v8
	v_cmp_neq_f32_e64 s[2:3], 0, v9
	s_or_b64 vcc, vcc, s[2:3]
	v_cndmask_b32_e32 v0, 1.0, v8, vcc
	s_nor_b64 s[4:5], vcc, s[0:1]
	v_cndmask_b32_e32 v2, 0, v9, vcc
	s_and_saveexec_b64 s[2:3], s[4:5]
	s_cbranch_execz .LBB44_106
; %bb.103:
	v_mbcnt_lo_u32_b32 v0, exec_lo, 0
	v_mbcnt_hi_u32_b32 v0, exec_hi, v0
	v_cmp_eq_u32_e32 vcc, 0, v0
	s_and_saveexec_b64 s[4:5], vcc
	s_cbranch_execz .LBB44_105
; %bb.104:
	v_mov_b32_e32 v0, 0
	v_mov_b32_e32 v2, s20
	global_atomic_smin v0, v2, s[10:11]
.LBB44_105:
	s_or_b64 exec, exec, s[4:5]
	v_mov_b32_e32 v2, 0
	v_mov_b32_e32 v0, 1.0
.LBB44_106:
	s_or_b64 exec, exec, s[2:3]
	v_cmp_lt_u32_e32 vcc, 2, v13
	s_and_saveexec_b64 s[2:3], vcc
	s_cbranch_execz .LBB44_108
; %bb.107:
	v_mul_f32_e32 v7, v2, v2
	v_fmac_f32_e32 v7, v0, v0
	v_div_scale_f32 v17, s[4:5], v7, v7, 1.0
	v_rcp_f32_e32 v18, v17
	v_div_scale_f32 v19, vcc, 1.0, v7, 1.0
	v_fma_f32 v8, -v17, v18, 1.0
	v_fmac_f32_e32 v18, v8, v18
	v_mul_f32_e32 v20, v19, v18
	v_fma_f32 v8, -v17, v20, v19
	v_fmac_f32_e32 v20, v8, v18
	ds_read_b64 v[8:9], v4 offset:16
	ds_read_b64 v[10:11], v16 offset:16
	v_fma_f32 v17, -v17, v20, v19
	v_div_fmas_f32 v17, v17, v18, v20
	v_div_fixup_f32 v18, v17, v7, 1.0
	s_waitcnt lgkmcnt(0)
	v_pk_add_f32 v[8:9], v[8:9], v[10:11] op_sel:[1,1] op_sel_hi:[0,0] neg_lo:[0,1] neg_hi:[0,1]
	v_xor_b32_e32 v10, 0x80000000, v9
	v_mov_b32_e32 v11, v8
	v_pk_mul_f32 v[10:11], v[2:3], v[10:11] op_sel_hi:[0,1]
	v_pk_fma_f32 v[8:9], v[8:9], v[0:1], v[10:11] op_sel_hi:[1,0,1]
	s_nop 0
	v_pk_mul_f32 v[8:9], v[18:19], v[8:9] op_sel_hi:[0,1]
	v_pk_mov_b32 v[10:11], v[8:9], v[8:9] op_sel:[1,0]
	ds_write_b64 v4, v[10:11] offset:16
	s_waitcnt lgkmcnt(0)
	ds_read_b64 v[10:11], v6 offset:16
	ds_read_b64 v[18:19], v15
	s_waitcnt lgkmcnt(0)
	v_pk_fma_f32 v[18:19], v[8:9], v[10:11], v[18:19] op_sel:[1,0,0] op_sel_hi:[0,0,1]
	v_pk_fma_f32 v[8:9], v[8:9], v[10:11], v[18:19] op_sel:[0,1,0] neg_hi:[0,1,0]
	ds_write_b64 v15, v[8:9]
.LBB44_108:
	s_or_b64 exec, exec, s[2:3]
	v_cmp_eq_u32_e32 vcc, 3, v13
	s_waitcnt lgkmcnt(0)
	s_and_saveexec_b64 s[4:5], vcc
	s_cbranch_execz .LBB44_116
; %bb.109:
	v_mov_b32_e32 v7, 0
	ds_read2_b64 v[8:11], v7 offset0:81 offset1:111
	s_waitcnt lgkmcnt(0)
	v_sub_f32_e32 v0, v8, v10
	v_sub_f32_e32 v8, v9, v11
	v_cmp_gt_f32_e32 vcc, 0, v0
	s_nop 1
	v_cndmask_b32_e64 v0, v0, -v0, vcc
	v_cmp_gt_f32_e32 vcc, 0, v8
	s_nop 1
	v_cndmask_b32_e64 v2, v8, -v8, vcc
	v_cmp_gt_f32_e32 vcc, v0, v2
	s_cbranch_vccnz .LBB44_113
; %bb.110:
	v_cmp_eq_f32_e32 vcc, 0, v8
	s_cbranch_vccnz .LBB44_112
; %bb.111:
	v_div_scale_f32 v7, s[2:3], v2, v2, v0
	v_rcp_f32_e32 v8, v7
	v_div_scale_f32 v9, vcc, v0, v2, v0
	s_mov_b32 s2, 0xf800000
	v_fma_f32 v10, -v7, v8, 1.0
	v_fmac_f32_e32 v8, v10, v8
	v_mul_f32_e32 v10, v9, v8
	v_fma_f32 v11, -v7, v10, v9
	v_fmac_f32_e32 v10, v11, v8
	v_fma_f32 v7, -v7, v10, v9
	v_div_fmas_f32 v7, v7, v8, v10
	v_div_fixup_f32 v7, v7, v2, v0
	v_fma_f32 v7, v7, v7, 1.0
	v_mul_f32_e32 v8, 0x4f800000, v7
	v_cmp_gt_f32_e32 vcc, s2, v7
	s_nop 1
	v_cndmask_b32_e32 v7, v7, v8, vcc
	v_sqrt_f32_e32 v8, v7
	s_nop 0
	v_add_u32_e32 v9, -1, v8
	v_fma_f32 v10, -v9, v8, v7
	v_cmp_ge_f32_e64 s[2:3], 0, v10
	v_add_u32_e32 v10, 1, v8
	s_nop 0
	v_cndmask_b32_e64 v9, v8, v9, s[2:3]
	v_fma_f32 v8, -v10, v8, v7
	v_cmp_lt_f32_e64 s[2:3], 0, v8
	s_nop 1
	v_cndmask_b32_e64 v8, v9, v10, s[2:3]
	v_mul_f32_e32 v9, 0x37800000, v8
	v_cndmask_b32_e32 v8, v8, v9, vcc
	v_mov_b32_e32 v9, 0x260
	v_cmp_class_f32_e32 vcc, v7, v9
	s_nop 1
	v_cndmask_b32_e32 v7, v8, v7, vcc
	v_mul_f32_e32 v7, v2, v7
.LBB44_112:
	s_cbranch_execz .LBB44_114
	s_branch .LBB44_115
.LBB44_113:
                                        ; implicit-def: $vgpr7
.LBB44_114:
	v_div_scale_f32 v7, s[2:3], v0, v0, v2
	v_rcp_f32_e32 v8, v7
	v_div_scale_f32 v9, vcc, v2, v0, v2
	s_mov_b32 s2, 0xf800000
	v_fma_f32 v10, -v7, v8, 1.0
	v_fmac_f32_e32 v8, v10, v8
	v_mul_f32_e32 v10, v9, v8
	v_fma_f32 v11, -v7, v10, v9
	v_fmac_f32_e32 v10, v11, v8
	v_fma_f32 v7, -v7, v10, v9
	v_div_fmas_f32 v7, v7, v8, v10
	v_div_fixup_f32 v2, v7, v0, v2
	v_fma_f32 v2, v2, v2, 1.0
	v_mul_f32_e32 v7, 0x4f800000, v2
	v_cmp_gt_f32_e32 vcc, s2, v2
	s_nop 1
	v_cndmask_b32_e32 v2, v2, v7, vcc
	v_sqrt_f32_e32 v7, v2
	s_nop 0
	v_add_u32_e32 v8, -1, v7
	v_fma_f32 v9, -v8, v7, v2
	v_cmp_ge_f32_e64 s[2:3], 0, v9
	v_add_u32_e32 v9, 1, v7
	s_nop 0
	v_cndmask_b32_e64 v8, v7, v8, s[2:3]
	v_fma_f32 v7, -v9, v7, v2
	v_cmp_lt_f32_e64 s[2:3], 0, v7
	s_nop 1
	v_cndmask_b32_e64 v7, v8, v9, s[2:3]
	v_mul_f32_e32 v8, 0x37800000, v7
	v_cndmask_b32_e32 v7, v7, v8, vcc
	v_mov_b32_e32 v8, 0x260
	v_cmp_class_f32_e32 vcc, v2, v8
	s_nop 1
	v_cndmask_b32_e32 v2, v7, v2, vcc
	v_mul_f32_e32 v7, v0, v2
.LBB44_115:
	s_mov_b32 s2, 0xf800000
	v_mul_f32_e32 v0, 0x4f800000, v7
	v_cmp_gt_f32_e32 vcc, s2, v7
	v_mov_b32_e32 v9, 0
	s_nop 0
	v_cndmask_b32_e32 v0, v7, v0, vcc
	v_sqrt_f32_e32 v2, v0
	s_nop 0
	v_add_u32_e32 v7, -1, v2
	v_fma_f32 v8, -v7, v2, v0
	v_cmp_ge_f32_e64 s[2:3], 0, v8
	v_add_u32_e32 v8, 1, v2
	s_nop 0
	v_cndmask_b32_e64 v7, v2, v7, s[2:3]
	v_fma_f32 v2, -v8, v2, v0
	v_cmp_lt_f32_e64 s[2:3], 0, v2
	s_nop 1
	v_cndmask_b32_e64 v2, v7, v8, s[2:3]
	v_mul_f32_e32 v7, 0x37800000, v2
	v_cndmask_b32_e32 v2, v2, v7, vcc
	v_mov_b32_e32 v7, 0x260
	v_cmp_class_f32_e32 vcc, v0, v7
	s_nop 1
	v_cndmask_b32_e32 v8, v2, v0, vcc
	ds_write_b64 v9, v[8:9] offset:648
.LBB44_116:
	s_or_b64 exec, exec, s[4:5]
	v_mov_b32_e32 v0, 0
	s_waitcnt lgkmcnt(0)
	ds_read_b64 v[8:9], v0 offset:648
	s_waitcnt lgkmcnt(0)
	v_cmp_neq_f32_e32 vcc, 0, v8
	v_cmp_neq_f32_e64 s[2:3], 0, v9
	s_or_b64 vcc, vcc, s[2:3]
	v_cndmask_b32_e32 v0, 1.0, v8, vcc
	s_nor_b64 s[4:5], vcc, s[0:1]
	v_cndmask_b32_e32 v2, 0, v9, vcc
	s_and_saveexec_b64 s[2:3], s[4:5]
	s_cbranch_execz .LBB44_120
; %bb.117:
	v_mbcnt_lo_u32_b32 v0, exec_lo, 0
	v_mbcnt_hi_u32_b32 v0, exec_hi, v0
	v_cmp_eq_u32_e32 vcc, 0, v0
	s_and_saveexec_b64 s[4:5], vcc
	s_cbranch_execz .LBB44_119
; %bb.118:
	v_mov_b32_e32 v0, 0
	v_mov_b32_e32 v2, s20
	global_atomic_smin v0, v2, s[10:11]
.LBB44_119:
	s_or_b64 exec, exec, s[4:5]
	v_mov_b32_e32 v2, 0
	v_mov_b32_e32 v0, 1.0
.LBB44_120:
	s_or_b64 exec, exec, s[2:3]
	v_cmp_lt_u32_e32 vcc, 3, v13
	s_and_saveexec_b64 s[2:3], vcc
	s_cbranch_execz .LBB44_122
; %bb.121:
	v_mul_f32_e32 v7, v2, v2
	v_fmac_f32_e32 v7, v0, v0
	v_div_scale_f32 v17, s[4:5], v7, v7, 1.0
	v_rcp_f32_e32 v18, v17
	v_div_scale_f32 v19, vcc, 1.0, v7, 1.0
	v_fma_f32 v8, -v17, v18, 1.0
	v_fmac_f32_e32 v18, v8, v18
	v_mul_f32_e32 v20, v19, v18
	v_fma_f32 v8, -v17, v20, v19
	v_fmac_f32_e32 v20, v8, v18
	ds_read_b64 v[8:9], v4 offset:24
	ds_read_b64 v[10:11], v16 offset:24
	v_fma_f32 v17, -v17, v20, v19
	v_div_fmas_f32 v17, v17, v18, v20
	v_div_fixup_f32 v18, v17, v7, 1.0
	s_waitcnt lgkmcnt(0)
	v_pk_add_f32 v[8:9], v[8:9], v[10:11] op_sel:[1,1] op_sel_hi:[0,0] neg_lo:[0,1] neg_hi:[0,1]
	v_xor_b32_e32 v10, 0x80000000, v9
	v_mov_b32_e32 v11, v8
	v_pk_mul_f32 v[10:11], v[2:3], v[10:11] op_sel_hi:[0,1]
	v_pk_fma_f32 v[8:9], v[8:9], v[0:1], v[10:11] op_sel_hi:[1,0,1]
	s_nop 0
	v_pk_mul_f32 v[8:9], v[18:19], v[8:9] op_sel_hi:[0,1]
	v_pk_mov_b32 v[10:11], v[8:9], v[8:9] op_sel:[1,0]
	ds_write_b64 v4, v[10:11] offset:24
	s_waitcnt lgkmcnt(0)
	ds_read_b64 v[10:11], v6 offset:24
	ds_read_b64 v[18:19], v15
	s_waitcnt lgkmcnt(0)
	v_pk_fma_f32 v[18:19], v[8:9], v[10:11], v[18:19] op_sel:[1,0,0] op_sel_hi:[0,0,1]
	v_pk_fma_f32 v[8:9], v[8:9], v[10:11], v[18:19] op_sel:[0,1,0] neg_hi:[0,1,0]
	ds_write_b64 v15, v[8:9]
.LBB44_122:
	s_or_b64 exec, exec, s[2:3]
	v_cmp_eq_u32_e32 vcc, 4, v13
	s_waitcnt lgkmcnt(0)
	s_and_saveexec_b64 s[4:5], vcc
	s_cbranch_execz .LBB44_130
; %bb.123:
	v_mov_b32_e32 v7, 0
	ds_read2_b64 v[8:11], v7 offset0:88 offset1:118
	s_waitcnt lgkmcnt(0)
	v_sub_f32_e32 v0, v8, v10
	v_sub_f32_e32 v8, v9, v11
	v_cmp_gt_f32_e32 vcc, 0, v0
	s_nop 1
	v_cndmask_b32_e64 v0, v0, -v0, vcc
	v_cmp_gt_f32_e32 vcc, 0, v8
	s_nop 1
	v_cndmask_b32_e64 v2, v8, -v8, vcc
	v_cmp_gt_f32_e32 vcc, v0, v2
	s_cbranch_vccnz .LBB44_127
; %bb.124:
	v_cmp_eq_f32_e32 vcc, 0, v8
	s_cbranch_vccnz .LBB44_126
; %bb.125:
	v_div_scale_f32 v7, s[2:3], v2, v2, v0
	v_rcp_f32_e32 v8, v7
	v_div_scale_f32 v9, vcc, v0, v2, v0
	s_mov_b32 s2, 0xf800000
	v_fma_f32 v10, -v7, v8, 1.0
	v_fmac_f32_e32 v8, v10, v8
	v_mul_f32_e32 v10, v9, v8
	v_fma_f32 v11, -v7, v10, v9
	v_fmac_f32_e32 v10, v11, v8
	v_fma_f32 v7, -v7, v10, v9
	v_div_fmas_f32 v7, v7, v8, v10
	v_div_fixup_f32 v7, v7, v2, v0
	v_fma_f32 v7, v7, v7, 1.0
	v_mul_f32_e32 v8, 0x4f800000, v7
	v_cmp_gt_f32_e32 vcc, s2, v7
	s_nop 1
	v_cndmask_b32_e32 v7, v7, v8, vcc
	v_sqrt_f32_e32 v8, v7
	s_nop 0
	v_add_u32_e32 v9, -1, v8
	v_fma_f32 v10, -v9, v8, v7
	v_cmp_ge_f32_e64 s[2:3], 0, v10
	v_add_u32_e32 v10, 1, v8
	s_nop 0
	v_cndmask_b32_e64 v9, v8, v9, s[2:3]
	v_fma_f32 v8, -v10, v8, v7
	v_cmp_lt_f32_e64 s[2:3], 0, v8
	s_nop 1
	v_cndmask_b32_e64 v8, v9, v10, s[2:3]
	v_mul_f32_e32 v9, 0x37800000, v8
	v_cndmask_b32_e32 v8, v8, v9, vcc
	v_mov_b32_e32 v9, 0x260
	v_cmp_class_f32_e32 vcc, v7, v9
	s_nop 1
	v_cndmask_b32_e32 v7, v8, v7, vcc
	v_mul_f32_e32 v7, v2, v7
.LBB44_126:
	s_cbranch_execz .LBB44_128
	s_branch .LBB44_129
.LBB44_127:
                                        ; implicit-def: $vgpr7
.LBB44_128:
	v_div_scale_f32 v7, s[2:3], v0, v0, v2
	v_rcp_f32_e32 v8, v7
	v_div_scale_f32 v9, vcc, v2, v0, v2
	s_mov_b32 s2, 0xf800000
	v_fma_f32 v10, -v7, v8, 1.0
	v_fmac_f32_e32 v8, v10, v8
	v_mul_f32_e32 v10, v9, v8
	v_fma_f32 v11, -v7, v10, v9
	v_fmac_f32_e32 v10, v11, v8
	v_fma_f32 v7, -v7, v10, v9
	v_div_fmas_f32 v7, v7, v8, v10
	v_div_fixup_f32 v2, v7, v0, v2
	v_fma_f32 v2, v2, v2, 1.0
	v_mul_f32_e32 v7, 0x4f800000, v2
	v_cmp_gt_f32_e32 vcc, s2, v2
	s_nop 1
	v_cndmask_b32_e32 v2, v2, v7, vcc
	v_sqrt_f32_e32 v7, v2
	s_nop 0
	v_add_u32_e32 v8, -1, v7
	v_fma_f32 v9, -v8, v7, v2
	v_cmp_ge_f32_e64 s[2:3], 0, v9
	v_add_u32_e32 v9, 1, v7
	s_nop 0
	v_cndmask_b32_e64 v8, v7, v8, s[2:3]
	v_fma_f32 v7, -v9, v7, v2
	v_cmp_lt_f32_e64 s[2:3], 0, v7
	s_nop 1
	v_cndmask_b32_e64 v7, v8, v9, s[2:3]
	v_mul_f32_e32 v8, 0x37800000, v7
	v_cndmask_b32_e32 v7, v7, v8, vcc
	v_mov_b32_e32 v8, 0x260
	v_cmp_class_f32_e32 vcc, v2, v8
	s_nop 1
	v_cndmask_b32_e32 v2, v7, v2, vcc
	v_mul_f32_e32 v7, v0, v2
.LBB44_129:
	s_mov_b32 s2, 0xf800000
	v_mul_f32_e32 v0, 0x4f800000, v7
	v_cmp_gt_f32_e32 vcc, s2, v7
	v_mov_b32_e32 v9, 0
	s_nop 0
	v_cndmask_b32_e32 v0, v7, v0, vcc
	v_sqrt_f32_e32 v2, v0
	s_nop 0
	v_add_u32_e32 v7, -1, v2
	v_fma_f32 v8, -v7, v2, v0
	v_cmp_ge_f32_e64 s[2:3], 0, v8
	v_add_u32_e32 v8, 1, v2
	s_nop 0
	v_cndmask_b32_e64 v7, v2, v7, s[2:3]
	v_fma_f32 v2, -v8, v2, v0
	v_cmp_lt_f32_e64 s[2:3], 0, v2
	s_nop 1
	v_cndmask_b32_e64 v2, v7, v8, s[2:3]
	v_mul_f32_e32 v7, 0x37800000, v2
	v_cndmask_b32_e32 v2, v2, v7, vcc
	v_mov_b32_e32 v7, 0x260
	v_cmp_class_f32_e32 vcc, v0, v7
	s_nop 1
	v_cndmask_b32_e32 v8, v2, v0, vcc
	ds_write_b64 v9, v[8:9] offset:704
.LBB44_130:
	s_or_b64 exec, exec, s[4:5]
	v_mov_b32_e32 v0, 0
	s_waitcnt lgkmcnt(0)
	ds_read_b64 v[8:9], v0 offset:704
	s_waitcnt lgkmcnt(0)
	v_cmp_neq_f32_e32 vcc, 0, v8
	v_cmp_neq_f32_e64 s[2:3], 0, v9
	s_or_b64 vcc, vcc, s[2:3]
	v_cndmask_b32_e32 v0, 1.0, v8, vcc
	s_nor_b64 s[2:3], vcc, s[0:1]
	v_cndmask_b32_e32 v2, 0, v9, vcc
	s_and_saveexec_b64 s[0:1], s[2:3]
	s_cbranch_execz .LBB44_143
; %bb.131:
	v_mbcnt_lo_u32_b32 v0, exec_lo, 0
	v_mbcnt_hi_u32_b32 v0, exec_hi, v0
	v_cmp_eq_u32_e32 vcc, 0, v0
	s_and_saveexec_b64 s[2:3], vcc
	s_cbranch_execz .LBB44_133
; %bb.132:
	v_mov_b32_e32 v0, 0
	v_mov_b32_e32 v2, s20
	global_atomic_smin v0, v2, s[10:11]
.LBB44_133:
	s_or_b64 exec, exec, s[2:3]
	v_mov_b32_e32 v2, 0
	v_mov_b32_e32 v0, 1.0
	s_or_b64 exec, exec, s[0:1]
	v_cmp_lt_u32_e32 vcc, 4, v13
	s_and_saveexec_b64 s[0:1], vcc
	s_cbranch_execnz .LBB44_144
.LBB44_134:
	s_or_b64 exec, exec, s[0:1]
	s_andn2_b64 vcc, exec, s[12:13]
	s_cbranch_vccnz .LBB44_136
.LBB44_135:
	v_mov_b32_e32 v14, v3
.LBB44_136:
	ds_read_b64 v[0:1], v1
	v_add_u32_e32 v2, s30, v14
	v_ashrrev_i32_e32 v3, 31, v2
	v_lshl_add_u64 v[2:3], v[2:3], 3, s[18:19]
	v_cmp_eq_u32_e32 vcc, 0, v5
	s_waitcnt lgkmcnt(0)
	global_store_dwordx2 v[2:3], v[0:1], off
	s_and_saveexec_b64 s[0:1], vcc
	s_cbranch_execz .LBB44_138
; %bb.137:
	s_add_u32 s2, s6, s8
	s_addc_u32 s3, s7, s9
	v_mov_b32_e32 v0, 0
	v_mov_b32_e32 v1, 1
	buffer_wbl2 sc1
	s_waitcnt vmcnt(0)
	global_store_dword v0, v1, s[2:3] sc1
.LBB44_138:
	s_or_b64 exec, exec, s[0:1]
	s_branch .LBB44_70
.LBB44_139:
	v_or_b32_e32 v0, v12, v13
	v_cmp_eq_u32_e32 vcc, 0, v0
	s_and_saveexec_b64 s[0:1], vcc
	s_cbranch_execz .LBB44_70
; %bb.140:
	v_mbcnt_lo_u32_b32 v0, exec_lo, 0
	v_mbcnt_hi_u32_b32 v0, exec_hi, v0
	v_cmp_eq_u32_e32 vcc, 0, v0
	s_and_saveexec_b64 s[0:1], vcc
	s_cbranch_execz .LBB44_142
; %bb.141:
	s_add_i32 s2, s16, s17
	v_mov_b32_e32 v0, 0
	v_mov_b32_e32 v1, s2
	global_atomic_smin v0, v1, s[10:11]
.LBB44_142:
	s_or_b64 exec, exec, s[0:1]
	s_add_u32 s0, s6, s8
	s_addc_u32 s1, s7, s9
	v_mov_b32_e32 v0, 0
	v_mov_b32_e32 v1, 1
	buffer_wbl2 sc1
	s_waitcnt vmcnt(0)
	global_store_dword v0, v1, s[0:1] sc1
	s_endpgm
.LBB44_143:
	s_or_b64 exec, exec, s[0:1]
	v_cmp_lt_u32_e32 vcc, 4, v13
	s_and_saveexec_b64 s[0:1], vcc
	s_cbranch_execz .LBB44_134
.LBB44_144:
	v_mul_f32_e32 v7, v2, v2
	v_fmac_f32_e32 v7, v0, v0
	v_div_scale_f32 v17, s[2:3], v7, v7, 1.0
	v_rcp_f32_e32 v18, v17
	v_div_scale_f32 v19, vcc, 1.0, v7, 1.0
	v_fma_f32 v8, -v17, v18, 1.0
	v_fmac_f32_e32 v18, v8, v18
	v_mul_f32_e32 v20, v19, v18
	v_fma_f32 v8, -v17, v20, v19
	v_fmac_f32_e32 v20, v8, v18
	ds_read_b64 v[8:9], v4 offset:32
	ds_read_b64 v[10:11], v16 offset:32
	v_fma_f32 v16, -v17, v20, v19
	v_div_fmas_f32 v16, v16, v18, v20
	v_div_fixup_f32 v16, v16, v7, 1.0
	s_waitcnt lgkmcnt(0)
	v_pk_add_f32 v[8:9], v[8:9], v[10:11] op_sel:[1,1] op_sel_hi:[0,0] neg_lo:[0,1] neg_hi:[0,1]
	v_xor_b32_e32 v10, 0x80000000, v9
	v_mov_b32_e32 v11, v8
	v_pk_mul_f32 v[10:11], v[2:3], v[10:11] op_sel_hi:[0,1]
	v_pk_fma_f32 v[8:9], v[8:9], v[0:1], v[10:11] op_sel_hi:[1,0,1]
	s_nop 0
	v_pk_mul_f32 v[8:9], v[16:17], v[8:9] op_sel_hi:[0,1]
	v_pk_mov_b32 v[10:11], v[8:9], v[8:9] op_sel:[1,0]
	ds_write_b64 v4, v[10:11] offset:32
	s_waitcnt lgkmcnt(0)
	ds_read_b64 v[6:7], v6 offset:32
	ds_read_b64 v[10:11], v15
	s_waitcnt lgkmcnt(0)
	v_pk_fma_f32 v[10:11], v[8:9], v[6:7], v[10:11] op_sel:[1,0,0] op_sel_hi:[0,0,1]
	v_pk_fma_f32 v[6:7], v[8:9], v[6:7], v[10:11] op_sel:[0,1,0] neg_hi:[0,1,0]
	ds_write_b64 v15, v[6:7]
	s_or_b64 exec, exec, s[0:1]
	s_andn2_b64 vcc, exec, s[12:13]
	s_waitcnt lgkmcnt(0)
	s_cbranch_vccz .LBB44_135
	s_branch .LBB44_136
	.section	.rodata,"a",@progbits
	.p2align	6, 0x0
	.amdhsa_kernel _ZN9rocsparseL26bsric0_2_8_unrolled_kernelILi25ELi32ELi5E21rocsparse_complex_numIfEEEv20rocsparse_direction_iiPKiS5_PT2_S5_PiS5_S8_21rocsparse_index_base_
		.amdhsa_group_segment_fixed_size 1344
		.amdhsa_private_segment_fixed_size 0
		.amdhsa_kernarg_size 76
		.amdhsa_user_sgpr_count 2
		.amdhsa_user_sgpr_dispatch_ptr 0
		.amdhsa_user_sgpr_queue_ptr 0
		.amdhsa_user_sgpr_kernarg_segment_ptr 1
		.amdhsa_user_sgpr_dispatch_id 0
		.amdhsa_user_sgpr_kernarg_preload_length 0
		.amdhsa_user_sgpr_kernarg_preload_offset 0
		.amdhsa_user_sgpr_private_segment_size 0
		.amdhsa_uses_dynamic_stack 0
		.amdhsa_enable_private_segment 0
		.amdhsa_system_sgpr_workgroup_id_x 1
		.amdhsa_system_sgpr_workgroup_id_y 0
		.amdhsa_system_sgpr_workgroup_id_z 0
		.amdhsa_system_sgpr_workgroup_info 0
		.amdhsa_system_vgpr_workitem_id 1
		.amdhsa_next_free_vgpr 68
		.amdhsa_next_free_sgpr 40
		.amdhsa_accum_offset 68
		.amdhsa_reserve_vcc 1
		.amdhsa_float_round_mode_32 0
		.amdhsa_float_round_mode_16_64 0
		.amdhsa_float_denorm_mode_32 3
		.amdhsa_float_denorm_mode_16_64 3
		.amdhsa_dx10_clamp 1
		.amdhsa_ieee_mode 1
		.amdhsa_fp16_overflow 0
		.amdhsa_tg_split 0
		.amdhsa_exception_fp_ieee_invalid_op 0
		.amdhsa_exception_fp_denorm_src 0
		.amdhsa_exception_fp_ieee_div_zero 0
		.amdhsa_exception_fp_ieee_overflow 0
		.amdhsa_exception_fp_ieee_underflow 0
		.amdhsa_exception_fp_ieee_inexact 0
		.amdhsa_exception_int_div_zero 0
	.end_amdhsa_kernel
	.section	.text._ZN9rocsparseL26bsric0_2_8_unrolled_kernelILi25ELi32ELi5E21rocsparse_complex_numIfEEEv20rocsparse_direction_iiPKiS5_PT2_S5_PiS5_S8_21rocsparse_index_base_,"axG",@progbits,_ZN9rocsparseL26bsric0_2_8_unrolled_kernelILi25ELi32ELi5E21rocsparse_complex_numIfEEEv20rocsparse_direction_iiPKiS5_PT2_S5_PiS5_S8_21rocsparse_index_base_,comdat
.Lfunc_end44:
	.size	_ZN9rocsparseL26bsric0_2_8_unrolled_kernelILi25ELi32ELi5E21rocsparse_complex_numIfEEEv20rocsparse_direction_iiPKiS5_PT2_S5_PiS5_S8_21rocsparse_index_base_, .Lfunc_end44-_ZN9rocsparseL26bsric0_2_8_unrolled_kernelILi25ELi32ELi5E21rocsparse_complex_numIfEEEv20rocsparse_direction_iiPKiS5_PT2_S5_PiS5_S8_21rocsparse_index_base_
                                        ; -- End function
	.set _ZN9rocsparseL26bsric0_2_8_unrolled_kernelILi25ELi32ELi5E21rocsparse_complex_numIfEEEv20rocsparse_direction_iiPKiS5_PT2_S5_PiS5_S8_21rocsparse_index_base_.num_vgpr, 68
	.set _ZN9rocsparseL26bsric0_2_8_unrolled_kernelILi25ELi32ELi5E21rocsparse_complex_numIfEEEv20rocsparse_direction_iiPKiS5_PT2_S5_PiS5_S8_21rocsparse_index_base_.num_agpr, 0
	.set _ZN9rocsparseL26bsric0_2_8_unrolled_kernelILi25ELi32ELi5E21rocsparse_complex_numIfEEEv20rocsparse_direction_iiPKiS5_PT2_S5_PiS5_S8_21rocsparse_index_base_.numbered_sgpr, 40
	.set _ZN9rocsparseL26bsric0_2_8_unrolled_kernelILi25ELi32ELi5E21rocsparse_complex_numIfEEEv20rocsparse_direction_iiPKiS5_PT2_S5_PiS5_S8_21rocsparse_index_base_.num_named_barrier, 0
	.set _ZN9rocsparseL26bsric0_2_8_unrolled_kernelILi25ELi32ELi5E21rocsparse_complex_numIfEEEv20rocsparse_direction_iiPKiS5_PT2_S5_PiS5_S8_21rocsparse_index_base_.private_seg_size, 0
	.set _ZN9rocsparseL26bsric0_2_8_unrolled_kernelILi25ELi32ELi5E21rocsparse_complex_numIfEEEv20rocsparse_direction_iiPKiS5_PT2_S5_PiS5_S8_21rocsparse_index_base_.uses_vcc, 1
	.set _ZN9rocsparseL26bsric0_2_8_unrolled_kernelILi25ELi32ELi5E21rocsparse_complex_numIfEEEv20rocsparse_direction_iiPKiS5_PT2_S5_PiS5_S8_21rocsparse_index_base_.uses_flat_scratch, 0
	.set _ZN9rocsparseL26bsric0_2_8_unrolled_kernelILi25ELi32ELi5E21rocsparse_complex_numIfEEEv20rocsparse_direction_iiPKiS5_PT2_S5_PiS5_S8_21rocsparse_index_base_.has_dyn_sized_stack, 0
	.set _ZN9rocsparseL26bsric0_2_8_unrolled_kernelILi25ELi32ELi5E21rocsparse_complex_numIfEEEv20rocsparse_direction_iiPKiS5_PT2_S5_PiS5_S8_21rocsparse_index_base_.has_recursion, 0
	.set _ZN9rocsparseL26bsric0_2_8_unrolled_kernelILi25ELi32ELi5E21rocsparse_complex_numIfEEEv20rocsparse_direction_iiPKiS5_PT2_S5_PiS5_S8_21rocsparse_index_base_.has_indirect_call, 0
	.section	.AMDGPU.csdata,"",@progbits
; Kernel info:
; codeLenInByte = 10320
; TotalNumSgprs: 46
; NumVgprs: 68
; NumAgprs: 0
; TotalNumVgprs: 68
; ScratchSize: 0
; MemoryBound: 0
; FloatMode: 240
; IeeeMode: 1
; LDSByteSize: 1344 bytes/workgroup (compile time only)
; SGPRBlocks: 5
; VGPRBlocks: 8
; NumSGPRsForWavesPerEU: 46
; NumVGPRsForWavesPerEU: 68
; AccumOffset: 68
; Occupancy: 7
; WaveLimiterHint : 1
; COMPUTE_PGM_RSRC2:SCRATCH_EN: 0
; COMPUTE_PGM_RSRC2:USER_SGPR: 2
; COMPUTE_PGM_RSRC2:TRAP_HANDLER: 0
; COMPUTE_PGM_RSRC2:TGID_X_EN: 1
; COMPUTE_PGM_RSRC2:TGID_Y_EN: 0
; COMPUTE_PGM_RSRC2:TGID_Z_EN: 0
; COMPUTE_PGM_RSRC2:TIDIG_COMP_CNT: 1
; COMPUTE_PGM_RSRC3_GFX90A:ACCUM_OFFSET: 16
; COMPUTE_PGM_RSRC3_GFX90A:TG_SPLIT: 0
	.section	.text._ZN9rocsparseL26bsric0_2_8_unrolled_kernelILi36ELi32ELi6E21rocsparse_complex_numIfEEEv20rocsparse_direction_iiPKiS5_PT2_S5_PiS5_S8_21rocsparse_index_base_,"axG",@progbits,_ZN9rocsparseL26bsric0_2_8_unrolled_kernelILi36ELi32ELi6E21rocsparse_complex_numIfEEEv20rocsparse_direction_iiPKiS5_PT2_S5_PiS5_S8_21rocsparse_index_base_,comdat
	.globl	_ZN9rocsparseL26bsric0_2_8_unrolled_kernelILi36ELi32ELi6E21rocsparse_complex_numIfEEEv20rocsparse_direction_iiPKiS5_PT2_S5_PiS5_S8_21rocsparse_index_base_ ; -- Begin function _ZN9rocsparseL26bsric0_2_8_unrolled_kernelILi36ELi32ELi6E21rocsparse_complex_numIfEEEv20rocsparse_direction_iiPKiS5_PT2_S5_PiS5_S8_21rocsparse_index_base_
	.p2align	8
	.type	_ZN9rocsparseL26bsric0_2_8_unrolled_kernelILi36ELi32ELi6E21rocsparse_complex_numIfEEEv20rocsparse_direction_iiPKiS5_PT2_S5_PiS5_S8_21rocsparse_index_base_,@function
_ZN9rocsparseL26bsric0_2_8_unrolled_kernelILi36ELi32ELi6E21rocsparse_complex_numIfEEEv20rocsparse_direction_iiPKiS5_PT2_S5_PiS5_S8_21rocsparse_index_base_: ; @_ZN9rocsparseL26bsric0_2_8_unrolled_kernelILi36ELi32ELi6E21rocsparse_complex_numIfEEEv20rocsparse_direction_iiPKiS5_PT2_S5_PiS5_S8_21rocsparse_index_base_
; %bb.0:
	s_load_dwordx8 s[4:11], s[0:1], 0x28
	s_mov_b32 s3, 0
	s_lshl_b64 s[2:3], s[2:3], 2
	v_and_b32_e32 v12, 0x3ff, v0
	v_bfe_u32 v13, v0, 10, 10
	s_waitcnt lgkmcnt(0)
	s_add_u32 s2, s8, s2
	s_addc_u32 s3, s9, s3
	s_load_dword s16, s[2:3], 0x0
	s_waitcnt lgkmcnt(0)
	s_ashr_i32 s17, s16, 31
	s_lshl_b64 s[8:9], s[16:17], 2
	s_add_u32 s2, s4, s8
	s_addc_u32 s3, s5, s9
	s_load_dword s30, s[2:3], 0x0
	s_load_dword s17, s[0:1], 0x48
	s_waitcnt lgkmcnt(0)
	s_cmp_lg_u32 s30, -1
	s_cbranch_scc0 .LBB45_73
; %bb.1:
	s_load_dwordx4 s[12:15], s[0:1], 0x10
	s_load_dwordx2 s[18:19], s[0:1], 0x20
	v_mad_u32_u24 v14, v13, 6, v12
	v_mul_u32_u24_e32 v17, 6, v13
	s_waitcnt lgkmcnt(0)
	s_add_u32 s2, s12, s8
	s_addc_u32 s3, s13, s9
	s_load_dword s26, s[2:3], 0x0
	s_waitcnt lgkmcnt(0)
	s_sub_i32 s31, s26, s17
	v_add_u32_e32 v0, s31, v14
	v_cmp_ge_i32_e32 vcc, s30, v0
	s_and_saveexec_b64 s[2:3], vcc
	s_cbranch_execz .LBB45_14
; %bb.2:
	v_add_u32_e32 v1, s26, v12
	v_add_u32_e32 v2, v1, v17
	v_subrev_u32_e32 v2, s17, v2
	v_add_u32_e32 v2, 36, v2
	s_add_i32 s20, s30, 1
	v_max_i32_e32 v2, s20, v2
	v_add_u32_e32 v2, s17, v2
	v_sub_u32_e32 v1, v2, v1
	v_subrev_u32_e32 v1, 36, v1
	v_cmp_ne_u32_e32 vcc, v1, v17
	s_mov_b32 s20, 0x38e38e39
	s_mov_b64 s[22:23], -1
	v_cndmask_b32_e64 v2, 0, 1, vcc
	v_or_b32_e32 v2, v17, v2
	v_sub_u32_e32 v1, v1, v2
	v_mul_hi_u32 v1, v1, s20
	v_lshrrev_b32_e32 v1, 3, v1
	v_addc_co_u32_e32 v4, vcc, 0, v1, vcc
	v_cmp_ne_u32_e32 vcc, 0, v4
	s_and_saveexec_b64 s[20:21], vcc
	s_cbranch_execz .LBB45_11
; %bb.3:
	v_add_u32_e32 v2, -1, v4
	v_add_u32_e32 v1, 36, v0
	v_lshrrev_b32_e32 v2, 1, v2
	v_add_u32_e32 v5, 1, v2
	v_cmp_lt_u32_e32 vcc, 14, v4
	v_mov_b64_e32 v[2:3], v[0:1]
	s_and_saveexec_b64 s[22:23], vcc
	s_cbranch_execz .LBB45_7
; %bb.4:
	v_and_b32_e32 v6, -8, v5
	s_mov_b64 s[24:25], 0
	v_mov_b64_e32 v[2:3], v[0:1]
.LBB45_5:                               ; =>This Inner Loop Header: Depth=1
	v_ashrrev_i32_e32 v11, 31, v2
	v_mov_b32_e32 v10, v2
	v_ashrrev_i32_e32 v9, 31, v3
	v_mov_b32_e32 v8, v3
	v_add_u32_e32 v18, 0x48, v2
	v_add_u32_e32 v20, 0x48, v3
	v_lshl_add_u64 v[10:11], v[10:11], 2, s[14:15]
	v_add_u32_e32 v22, 0x90, v2
	v_add_u32_e32 v24, 0x90, v3
	;; [unrolled: 1-line block ×12, first 2 shown]
	v_lshl_add_u64 v[8:9], v[8:9], 2, s[14:15]
	v_ashrrev_i32_e32 v21, 31, v20
	v_ashrrev_i32_e32 v19, 31, v18
	global_load_dword v1, v[10:11], off
	global_load_dword v7, v[8:9], off
	v_ashrrev_i32_e32 v25, 31, v24
	v_ashrrev_i32_e32 v23, 31, v22
	;; [unrolled: 1-line block ×12, first 2 shown]
	v_lshl_add_u64 v[8:9], v[18:19], 2, s[14:15]
	v_lshl_add_u64 v[10:11], v[20:21], 2, s[14:15]
	;; [unrolled: 1-line block ×13, first 2 shown]
	global_load_dword v15, v[10:11], off
	v_lshl_add_u64 v[10:11], v[44:45], 2, s[14:15]
	global_load_dword v16, v[8:9], off
	global_load_dword v19, v[48:49], off
	;; [unrolled: 1-line block ×13, first 2 shown]
	v_subrev_u32_e32 v9, s31, v2
	v_add_u32_e32 v6, -8, v6
	v_subrev_u32_e32 v8, s31, v3
	v_lshlrev_b32_e32 v9, 2, v9
	v_subrev_u32_e32 v11, s31, v18
	v_cmp_eq_u32_e32 vcc, 0, v6
	v_add_u32_e32 v3, 0x240, v3
	v_add_u32_e32 v2, 0x240, v2
	v_lshlrev_b32_e32 v8, 2, v8
	v_subrev_u32_e32 v10, s31, v20
	v_subrev_u32_e32 v18, s31, v24
	;; [unrolled: 1-line block ×13, first 2 shown]
	v_lshlrev_b32_e32 v11, 2, v11
	s_or_b64 s[24:25], vcc, s[24:25]
	v_lshlrev_b32_e32 v10, 2, v10
	v_lshlrev_b32_e32 v20, 2, v20
	;; [unrolled: 1-line block ×13, first 2 shown]
	s_waitcnt vmcnt(15)
	v_subrev_u32_e32 v1, s17, v1
	s_waitcnt vmcnt(14)
	v_subrev_u32_e32 v7, s17, v7
	ds_write_b32 v9, v1 offset:1600
	ds_write_b32 v8, v7 offset:1600
	s_waitcnt vmcnt(12)
	v_subrev_u32_e32 v7, s17, v16
	s_waitcnt vmcnt(11)
	v_subrev_u32_e32 v8, s17, v19
	;; [unrolled: 2-line block ×8, first 2 shown]
	v_subrev_u32_e32 v1, s17, v15
	v_subrev_u32_e32 v15, s17, v23
	;; [unrolled: 1-line block ×3, first 2 shown]
	s_waitcnt vmcnt(2)
	v_subrev_u32_e32 v29, s17, v37
	s_waitcnt vmcnt(1)
	v_subrev_u32_e32 v31, s17, v39
	;; [unrolled: 2-line block ×3, first 2 shown]
	ds_write_b32 v11, v7 offset:1600
	ds_write_b32 v10, v1 offset:1600
	ds_write_b32 v20, v9 offset:1600
	ds_write_b32 v18, v8 offset:1600
	ds_write_b32 v24, v16 offset:1600
	ds_write_b32 v22, v15 offset:1600
	ds_write_b32 v28, v21 offset:1600
	ds_write_b32 v26, v19 offset:1600
	ds_write_b32 v32, v25 offset:1600
	ds_write_b32 v30, v23 offset:1600
	ds_write_b32 v36, v29 offset:1600
	ds_write_b32 v34, v27 offset:1600
	ds_write_b32 v40, v33 offset:1600
	ds_write_b32 v38, v31 offset:1600
	s_andn2_b64 exec, exec, s[24:25]
	s_cbranch_execnz .LBB45_5
; %bb.6:
	s_or_b64 exec, exec, s[24:25]
.LBB45_7:
	s_or_b64 exec, exec, s[22:23]
	v_and_b32_e32 v1, 7, v5
	v_cmp_ne_u32_e32 vcc, 0, v1
	s_and_saveexec_b64 s[22:23], vcc
	s_cbranch_execz .LBB45_10
; %bb.8:
	v_sub_u32_e32 v1, 0, v1
	s_mov_b64 s[24:25], 0
.LBB45_9:                               ; =>This Inner Loop Header: Depth=1
	v_ashrrev_i32_e32 v7, 31, v3
	v_mov_b32_e32 v6, v3
	v_ashrrev_i32_e32 v9, 31, v2
	v_mov_b32_e32 v8, v2
	v_lshl_add_u64 v[6:7], v[6:7], 2, s[14:15]
	v_lshl_add_u64 v[8:9], v[8:9], 2, s[14:15]
	global_load_dword v5, v[6:7], off
	global_load_dword v10, v[8:9], off
	v_subrev_u32_e32 v7, s31, v2
	v_add_co_u32_e32 v1, vcc, 1, v1
	v_subrev_u32_e32 v6, s31, v3
	v_add_u32_e32 v3, 0x48, v3
	v_add_u32_e32 v2, 0x48, v2
	v_lshlrev_b32_e32 v7, 2, v7
	s_or_b64 s[24:25], vcc, s[24:25]
	v_lshlrev_b32_e32 v6, 2, v6
	s_waitcnt vmcnt(1)
	v_subrev_u32_e32 v5, s17, v5
	s_waitcnt vmcnt(0)
	v_subrev_u32_e32 v8, s17, v10
	ds_write_b32 v7, v8 offset:1600
	ds_write_b32 v6, v5 offset:1600
	s_andn2_b64 exec, exec, s[24:25]
	s_cbranch_execnz .LBB45_9
.LBB45_10:
	s_or_b64 exec, exec, s[22:23]
	v_add_u32_e32 v2, 1, v4
	v_and_b32_e32 v3, 0x1ffffffe, v2
	v_mad_u64_u32 v[0:1], s[22:23], v3, 36, v[0:1]
	v_cmp_ne_u32_e32 vcc, v2, v3
	s_orn2_b64 s[22:23], vcc, exec
.LBB45_11:
	s_or_b64 exec, exec, s[20:21]
	s_and_b64 exec, exec, s[22:23]
	s_cbranch_execz .LBB45_14
; %bb.12:
	v_add_u32_e32 v1, s17, v0
	v_subrev_u32_e32 v1, s26, v1
	v_mov_b32_e32 v2, 0x640
	v_lshl_add_u32 v4, v1, 2, v2
	v_ashrrev_i32_e32 v1, 31, v0
	v_lshl_add_u64 v[2:3], v[0:1], 2, s[14:15]
	s_mov_b64 s[20:21], 0
	s_mov_b64 s[22:23], 0x90
.LBB45_13:                              ; =>This Inner Loop Header: Depth=1
	global_load_dword v1, v[2:3], off
	v_add_u32_e32 v0, 36, v0
	v_cmp_lt_i32_e32 vcc, s30, v0
	v_lshl_add_u64 v[2:3], v[2:3], 0, s[22:23]
	s_or_b64 s[20:21], vcc, s[20:21]
	s_waitcnt vmcnt(0)
	v_subrev_u32_e32 v1, s17, v1
	ds_write_b32 v4, v1
	v_add_u32_e32 v4, 0x90, v4
	s_andn2_b64 exec, exec, s[20:21]
	s_cbranch_execnz .LBB45_13
.LBB45_14:
	s_or_b64 exec, exec, s[2:3]
	s_load_dword s33, s[0:1], 0x0
	v_mov_b32_e32 v0, 0x3f0
	v_mad_u32_u24 v16, v13, 56, v0
	v_mov_b32_e32 v0, 0
	v_lshl_add_u32 v15, v12, 3, v16
	v_mov_b32_e32 v1, v0
	s_cmp_ge_i32 s31, s30
	v_mad_u32_u24 v3, v12, 6, v13
	ds_write_b64 v15, v[0:1]
	s_waitcnt lgkmcnt(0)
	s_cbranch_scc1 .LBB45_66
; %bb.15:
	s_cmp_lg_u32 s33, 0
	s_cselect_b64 s[20:21], -1, 0
	s_cmp_eq_u32 s33, 0
	v_mov_b32_e32 v2, 0x2a0
	v_mov_b32_e32 v5, 0x150
	v_mad_u32_u24 v1, v12, 6, v13
	v_mad_u32_u24 v19, v13, 56, v2
	v_lshlrev_b32_e32 v4, 3, v12
	v_mad_u32_u24 v22, v13, 56, v5
	v_mad_u32_u24 v24, v12, 56, v2
	v_or_b32_e32 v2, v12, v13
	s_cselect_b64 vcc, -1, 0
	v_mul_u32_u24_e32 v18, 6, v12
	v_add_u32_e32 v20, v19, v4
	v_mad_u32_u24 v21, v13, 56, v4
	v_add_u32_e32 v23, v22, v4
	v_cmp_ne_u32_e64 s[0:1], 0, v2
	v_cndmask_b32_e32 v2, v1, v14, vcc
	s_mov_b32 s22, s31
	s_branch .LBB45_18
.LBB45_16:                              ;   in Loop: Header=BB45_18 Depth=1
	s_or_b64 exec, exec, s[24:25]
	v_mov_b32_e32 v8, 0
	v_mov_b32_e32 v6, 1.0
.LBB45_17:                              ;   in Loop: Header=BB45_18 Depth=1
	s_or_b64 exec, exec, s[2:3]
	v_mul_f32_e32 v1, v8, v8
	v_fmac_f32_e32 v1, v6, v6
	v_div_scale_f32 v7, s[2:3], v1, v1, 1.0
	v_rcp_f32_e32 v9, v7
	ds_read2_b64 v[26:29], v19 offset0:2 offset1:3
	ds_read2_b64 v[30:33], v19 offset1:1
	s_add_i32 s22, s22, 1
	s_cmp_ge_i32 s22, s30
	v_fma_f32 v25, -v7, v9, 1.0
	v_fmac_f32_e32 v9, v25, v9
	v_div_scale_f32 v25, vcc, 1.0, v1, 1.0
	v_mul_f32_e32 v46, v25, v9
	v_fma_f32 v34, -v7, v46, v25
	v_fmac_f32_e32 v46, v34, v9
	ds_read2_b64 v[34:37], v0 offset0:37 offset1:38
	ds_read2_b64 v[38:41], v0 offset0:35 offset1:36
	ds_read_b64 v[42:43], v19 offset:32
	ds_read_b64 v[44:45], v22 offset:40
	;; [unrolled: 1-line block ×3, first 2 shown]
	v_fma_f32 v7, -v7, v46, v25
	v_div_fmas_f32 v7, v7, v9, v46
	v_div_fixup_f32 v46, v7, v1, 1.0
	s_waitcnt lgkmcnt(1)
	v_pk_fma_f32 v[44:45], v[38:39], v[30:31], v[44:45] op_sel_hi:[1,0,1]
	s_cselect_b64 s[2:3], -1, 0
	v_pk_fma_f32 v[30:31], v[38:39], v[30:31], v[44:45] op_sel:[1,1,0] op_sel_hi:[0,1,1] neg_hi:[0,1,0]
	v_pk_fma_f32 v[30:31], v[40:41], v[32:33], v[30:31] op_sel_hi:[1,0,1]
	v_mov_b32_e32 v32, v33
	v_pk_fma_f32 v[30:31], v[40:41], v[32:33], v[30:31] op_sel:[0,0,1] op_sel_hi:[1,0,0] neg_lo:[0,1,0]
	s_nop 0
	v_pk_fma_f32 v[30:31], v[34:35], v[26:27], v[30:31] op_sel:[1,0,0] op_sel_hi:[0,0,1]
	v_pk_fma_f32 v[26:27], v[34:35], v[26:27], v[30:31] op_sel:[0,1,0] neg_lo:[0,1,0]
	s_nop 0
	v_pk_fma_f32 v[26:27], v[36:37], v[28:29], v[26:27] op_sel:[1,0,0] op_sel_hi:[0,0,1]
	v_mov_b32_e32 v28, v29
	v_pk_fma_f32 v[26:27], v[36:37], v[28:29], v[26:27] op_sel_hi:[1,0,1] neg_lo:[0,1,0]
	v_mov_b32_e32 v28, v11
	s_waitcnt lgkmcnt(0)
	v_pk_fma_f32 v[26:27], v[48:49], v[42:43], v[26:27] op_sel:[1,0,0] op_sel_hi:[0,0,1]
	v_pk_fma_f32 v[26:27], v[48:49], v[42:43], v[26:27] op_sel:[0,1,0] neg_lo:[0,1,0]
	v_mov_b32_e32 v29, v10
	v_pk_add_f32 v[10:11], v[28:29], v[26:27] neg_lo:[0,1] neg_hi:[0,1]
	s_nop 0
	v_xor_b32_e32 v26, 0x80000000, v11
	v_mov_b32_e32 v27, v10
	v_pk_mul_f32 v[8:9], v[8:9], v[26:27] op_sel_hi:[0,1]
	v_pk_fma_f32 v[6:7], v[10:11], v[6:7], v[8:9] op_sel_hi:[1,0,1]
	s_nop 0
	v_pk_mul_f32 v[6:7], v[46:47], v[6:7] op_sel_hi:[0,1]
	v_pk_mov_b32 v[8:9], v[6:7], v[6:7] op_sel:[1,0]
	ds_write_b64 v19, v[8:9] offset:40
	s_waitcnt lgkmcnt(0)
	ds_read_b64 v[8:9], v24 offset:40
	ds_read_b64 v[10:11], v15
	s_waitcnt lgkmcnt(0)
	v_pk_fma_f32 v[10:11], v[6:7], v[8:9], v[10:11] op_sel:[1,0,0] op_sel_hi:[0,0,1]
	v_pk_fma_f32 v[6:7], v[6:7], v[8:9], v[10:11] op_sel:[0,1,0] neg_hi:[0,1,0]
	ds_write_b64 v15, v[6:7]
	s_waitcnt lgkmcnt(0)
	ds_read_b64 v[6:7], v20
	s_waitcnt lgkmcnt(0)
	global_store_dwordx2 v[4:5], v[6:7], off
	buffer_wbl2 sc1
	s_waitcnt vmcnt(0)
	buffer_inv sc1
	s_and_b64 vcc, exec, s[2:3]
	s_cbranch_vccnz .LBB45_66
.LBB45_18:                              ; =>This Loop Header: Depth=1
                                        ;     Child Loop BB45_21 Depth 2
                                        ;     Child Loop BB45_32 Depth 2
	;; [unrolled: 1-line block ×3, first 2 shown]
	s_ashr_i32 s23, s22, 31
	s_lshl_b64 s[2:3], s[22:23], 2
	s_add_u32 s2, s14, s2
	s_addc_u32 s3, s15, s3
	s_load_dword s23, s[2:3], 0x0
	s_waitcnt lgkmcnt(0)
	s_sub_i32 s24, s23, s17
	s_ashr_i32 s25, s24, 31
	s_lshl_b64 s[2:3], s[24:25], 2
	s_add_u32 s26, s4, s2
	s_addc_u32 s27, s5, s3
	s_load_dword s25, s[26:27], 0x0
	s_waitcnt lgkmcnt(0)
	s_cmp_eq_u32 s25, -1
	s_cbranch_scc1 .LBB45_41
; %bb.19:                               ;   in Loop: Header=BB45_18 Depth=1
	v_mad_u64_u32 v[4:5], s[26:27], s22, 36, v[2:3]
	v_ashrrev_i32_e32 v5, 31, v4
	v_lshl_add_u64 v[4:5], v[4:5], 3, s[18:19]
	global_load_dwordx2 v[6:7], v[4:5], off
	s_add_u32 s26, s12, s2
	s_addc_u32 s27, s13, s3
	s_load_dword s26, s[26:27], 0x0
	ds_read_b32 v1, v0 offset:1600
	s_mov_b32 s27, 0
	s_waitcnt lgkmcnt(0)
	s_sub_i32 s26, s26, s17
	s_cmp_le_i32 s26, s25
	v_cmp_ge_i32_e32 vcc, s24, v1
	s_cselect_b64 s[28:29], -1, 0
	s_and_b64 s[28:29], s[28:29], vcc
	s_andn2_b64 vcc, exec, s[28:29]
	s_waitcnt vmcnt(0)
	ds_write_b64 v20, v[6:7]
	s_cbranch_vccnz .LBB45_31
; %bb.20:                               ;   in Loop: Header=BB45_18 Depth=1
	s_mov_b32 s34, 0
	s_mov_b32 s35, 0
.LBB45_21:                              ;   Parent Loop BB45_18 Depth=1
                                        ; =>  This Inner Loop Header: Depth=2
	s_ashr_i32 s27, s26, 31
	s_lshl_b64 s[28:29], s[26:27], 2
	s_add_u32 s28, s14, s28
	s_addc_u32 s29, s15, s29
	s_load_dword s27, s[28:29], 0x0
	s_lshl_b32 s28, s35, 2
	v_mov_b32_e32 v1, s28
	ds_read_b32 v1, v1 offset:1600
	s_mov_b64 s[28:29], -1
	s_waitcnt lgkmcnt(0)
	s_sub_i32 s39, s27, s17
                                        ; implicit-def: $sgpr27
                                        ; implicit-def: $sgpr38
                                        ; implicit-def: $sgpr37
	v_cmp_ge_i32_e32 vcc, s39, v1
	v_readfirstlane_b32 s36, v1
	s_cbranch_vccz .LBB45_27
; %bb.22:                               ;   in Loop: Header=BB45_21 Depth=2
	s_cmp_le_i32 s39, s36
                                        ; implicit-def: $sgpr27
                                        ; implicit-def: $sgpr38
                                        ; implicit-def: $sgpr37
	s_cbranch_scc0 .LBB45_24
; %bb.23:                               ;   in Loop: Header=BB45_21 Depth=2
	s_add_i32 s27, s35, s31
	s_mul_i32 s27, s27, 36
	s_lshl_b32 s28, s34, 2
	v_mov_b32_e32 v1, s28
	v_mov_b32_e32 v6, s27
	s_mul_i32 s27, s26, 36
	v_mov_b32_e32 v7, s27
	v_add_u32_e32 v1, 0x400, v1
	ds_write2_b32 v1, v7, v6 offset0:80 offset1:112
	s_add_i32 s37, s35, 1
	s_add_i32 s38, s26, 1
	;; [unrolled: 1-line block ×3, first 2 shown]
	s_mov_b64 s[28:29], 0
.LBB45_24:                              ;   in Loop: Header=BB45_21 Depth=2
	s_andn2_b64 vcc, exec, s[28:29]
	s_cbranch_vccnz .LBB45_26
; %bb.25:                               ;   in Loop: Header=BB45_21 Depth=2
	s_add_i32 s37, s35, 1
	s_mov_b32 s27, s34
	s_mov_b32 s38, s26
.LBB45_26:                              ;   in Loop: Header=BB45_21 Depth=2
	s_mov_b64 s[28:29], 0
.LBB45_27:                              ;   in Loop: Header=BB45_21 Depth=2
	s_andn2_b64 vcc, exec, s[28:29]
	s_cbranch_vccnz .LBB45_29
; %bb.28:                               ;   in Loop: Header=BB45_21 Depth=2
	s_add_i32 s38, s26, 1
	s_mov_b32 s37, s35
	s_mov_b32 s27, s34
.LBB45_29:                              ;   in Loop: Header=BB45_21 Depth=2
	s_cmp_le_i32 s38, s25
	s_cselect_b64 s[28:29], -1, 0
	s_cmp_le_i32 s36, s24
	s_cselect_b64 s[34:35], -1, 0
	s_and_b64 s[28:29], s[28:29], s[34:35]
	s_and_b64 vcc, exec, s[28:29]
	s_cbranch_vccz .LBB45_31
; %bb.30:                               ;   in Loop: Header=BB45_21 Depth=2
	s_mov_b32 s34, s27
	s_mov_b32 s26, s38
	s_mov_b32 s35, s37
	s_branch .LBB45_21
.LBB45_31:                              ;   in Loop: Header=BB45_18 Depth=1
	s_add_u32 s2, s6, s2
	s_addc_u32 s3, s7, s3
	s_waitcnt lgkmcnt(0)
.LBB45_32:                              ;   Parent Loop BB45_18 Depth=1
                                        ; =>  This Inner Loop Header: Depth=2
	global_load_dword v1, v0, s[2:3] sc1
	s_waitcnt vmcnt(0)
	v_cmp_eq_u32_e32 vcc, 0, v1
	s_cbranch_vccnz .LBB45_32
; %bb.33:                               ;   in Loop: Header=BB45_18 Depth=1
	v_mad_u64_u32 v[6:7], s[2:3], s25, 36, v[2:3]
	v_ashrrev_i32_e32 v7, 31, v6
	v_lshl_add_u64 v[6:7], v[6:7], 3, s[18:19]
	buffer_inv sc1
	global_load_dwordx2 v[8:9], v[6:7], off
	v_mov_b32_e32 v7, 0
	s_cmp_lt_i32 s27, 2
	v_mov_b32_e32 v6, 0
	s_waitcnt vmcnt(0)
	ds_write_b64 v21, v[8:9]
	s_waitcnt lgkmcnt(0)
	s_cbranch_scc1 .LBB45_43
; %bb.34:                               ;   in Loop: Header=BB45_18 Depth=1
	v_mov_b32_e32 v1, v0
	s_add_i32 s24, s27, -1
	s_movk_i32 s25, 0x540
	v_mov_b64_e32 v[6:7], v[0:1]
.LBB45_35:                              ;   Parent Loop BB45_18 Depth=1
                                        ; =>  This Inner Loop Header: Depth=2
	v_mov_b32_e32 v1, s25
	s_waitcnt lgkmcnt(0)
	ds_read2_b32 v[8:9], v1 offset1:32
	s_mov_b64 s[2:3], -1
	s_and_b64 vcc, exec, s[20:21]
                                        ; implicit-def: $vgpr10_vgpr11
	s_cbranch_vccz .LBB45_38
; %bb.36:                               ;   in Loop: Header=BB45_35 Depth=2
	s_waitcnt lgkmcnt(0)
	v_add_u32_e32 v10, v8, v12
	v_add_u32_e32 v28, v9, v13
	v_ashrrev_i32_e32 v29, 31, v28
	v_add_u32_e32 v32, 6, v10
	v_add_u32_e32 v34, 6, v28
	v_add_u32_e32 v36, 12, v10
	v_add_u32_e32 v38, 12, v28
	v_add_u32_e32 v40, 18, v10
	v_add_u32_e32 v42, 18, v28
	v_ashrrev_i32_e32 v11, 31, v10
	v_lshl_add_u64 v[30:31], v[28:29], 3, s[18:19]
	v_ashrrev_i32_e32 v33, 31, v32
	v_ashrrev_i32_e32 v35, 31, v34
	;; [unrolled: 1-line block ×6, first 2 shown]
	v_lshl_add_u64 v[26:27], v[10:11], 3, s[18:19]
	v_lshl_add_u64 v[32:33], v[32:33], 3, s[18:19]
	;; [unrolled: 1-line block ×7, first 2 shown]
	global_load_dwordx2 v[48:49], v[30:31], off
	global_load_dwordx2 v[50:51], v[34:35], off
	global_load_dwordx2 v[52:53], v[32:33], off
	global_load_dwordx2 v[54:55], v[26:27], off
	global_load_dwordx2 v[56:57], v[38:39], off
	global_load_dwordx2 v[58:59], v[42:43], off
	global_load_dwordx2 v[60:61], v[40:41], off
	global_load_dwordx2 v[62:63], v[36:37], off
	v_add_u32_e32 v46, 24, v28
	v_add_u32_e32 v44, 24, v10
	v_ashrrev_i32_e32 v47, 31, v46
	v_add_u32_e32 v10, 30, v10
	v_ashrrev_i32_e32 v45, 31, v44
	v_lshl_add_u64 v[46:47], v[46:47], 3, s[18:19]
	v_ashrrev_i32_e32 v11, 31, v10
	v_add_u32_e32 v28, 30, v28
	v_lshl_add_u64 v[44:45], v[44:45], 3, s[18:19]
	v_lshl_add_u64 v[10:11], v[10:11], 3, s[18:19]
	v_ashrrev_i32_e32 v29, 31, v28
	global_load_dwordx2 v[26:27], v[46:47], off
	global_load_dwordx2 v[30:31], v[10:11], off
	;; [unrolled: 1-line block ×3, first 2 shown]
	v_lshl_add_u64 v[10:11], v[28:29], 3, s[18:19]
	global_load_dwordx2 v[10:11], v[10:11], off
	s_waitcnt vmcnt(8)
	v_pk_fma_f32 v[28:29], v[54:55], v[48:49], v[6:7] op_sel:[1,0,0] op_sel_hi:[0,0,1]
	v_pk_fma_f32 v[28:29], v[54:55], v[48:49], v[28:29] op_sel:[0,1,0] neg_lo:[0,1,0]
	s_nop 0
	v_pk_fma_f32 v[28:29], v[52:53], v[50:51], v[28:29] op_sel:[1,0,0] op_sel_hi:[0,0,1]
	v_pk_fma_f32 v[28:29], v[52:53], v[50:51], v[28:29] op_sel:[0,1,0] neg_lo:[0,1,0]
	s_waitcnt vmcnt(4)
	v_pk_fma_f32 v[28:29], v[62:63], v[56:57], v[28:29] op_sel:[1,0,0] op_sel_hi:[0,0,1]
	v_pk_fma_f32 v[28:29], v[62:63], v[56:57], v[28:29] op_sel:[0,1,0] neg_lo:[0,1,0]
	s_nop 0
	v_pk_fma_f32 v[28:29], v[60:61], v[58:59], v[28:29] op_sel:[1,0,0] op_sel_hi:[0,0,1]
	v_pk_fma_f32 v[28:29], v[60:61], v[58:59], v[28:29] op_sel:[0,1,0] neg_lo:[0,1,0]
	s_waitcnt vmcnt(1)
	v_pk_fma_f32 v[28:29], v[32:33], v[26:27], v[28:29] op_sel:[1,0,0] op_sel_hi:[0,0,1]
	v_pk_fma_f32 v[26:27], v[32:33], v[26:27], v[28:29] op_sel:[0,1,0] neg_lo:[0,1,0]
	s_waitcnt vmcnt(0)
	v_pk_fma_f32 v[26:27], v[30:31], v[10:11], v[26:27] op_sel:[1,0,0] op_sel_hi:[0,0,1]
	v_pk_fma_f32 v[10:11], v[30:31], v[10:11], v[26:27] op_sel:[0,1,0] neg_lo:[0,1,0]
	s_cbranch_execz .LBB45_39
.LBB45_37:                              ;   in Loop: Header=BB45_35 Depth=2
	s_add_i32 s24, s24, -1
	s_add_i32 s25, s25, 4
	s_cmp_eq_u32 s24, 0
	s_cbranch_scc0 .LBB45_40
	s_branch .LBB45_42
.LBB45_38:                              ;   in Loop: Header=BB45_35 Depth=2
	s_andn2_b64 vcc, exec, s[2:3]
	s_cbranch_vccnz .LBB45_37
.LBB45_39:                              ;   in Loop: Header=BB45_35 Depth=2
	s_waitcnt lgkmcnt(0)
	v_add_u32_e32 v10, v8, v18
	v_add_u32_e32 v8, v9, v17
	v_ashrrev_i32_e32 v9, 31, v8
	v_ashrrev_i32_e32 v11, 31, v10
	v_lshl_add_u64 v[48:49], v[8:9], 3, s[18:19]
	v_lshl_add_u64 v[46:47], v[10:11], 3, s[18:19]
	global_load_dwordx4 v[8:11], v[48:49], off
	global_load_dwordx4 v[26:29], v[46:47], off
	global_load_dwordx4 v[30:33], v[48:49], off offset:16
	global_load_dwordx4 v[34:37], v[46:47], off offset:16
	;; [unrolled: 1-line block ×4, first 2 shown]
	s_waitcnt vmcnt(5)
	v_mov_b32_e32 v46, v11
	s_waitcnt vmcnt(4)
	v_pk_fma_f32 v[6:7], v[26:27], v[8:9], v[6:7] op_sel:[1,0,0] op_sel_hi:[0,0,1]
	v_pk_fma_f32 v[6:7], v[26:27], v[8:9], v[6:7] op_sel:[0,1,0] neg_lo:[0,1,0]
	s_waitcnt vmcnt(3)
	v_mov_b32_e32 v48, v33
	v_pk_fma_f32 v[6:7], v[28:29], v[10:11], v[6:7] op_sel:[1,0,0] op_sel_hi:[0,0,1]
	v_pk_fma_f32 v[6:7], v[28:29], v[46:47], v[6:7] op_sel_hi:[1,0,1] neg_lo:[0,1,0]
	s_waitcnt vmcnt(1)
	v_mov_b32_e32 v8, v41
	v_pk_fma_f32 v[6:7], v[34:35], v[30:31], v[6:7] op_sel:[1,0,0] op_sel_hi:[0,0,1]
	v_pk_fma_f32 v[6:7], v[34:35], v[30:31], v[6:7] op_sel:[0,1,0] neg_lo:[0,1,0]
	s_nop 0
	v_pk_fma_f32 v[6:7], v[36:37], v[32:33], v[6:7] op_sel:[1,0,0] op_sel_hi:[0,0,1]
	v_pk_fma_f32 v[6:7], v[36:37], v[48:49], v[6:7] op_sel_hi:[1,0,1] neg_lo:[0,1,0]
	s_waitcnt vmcnt(0)
	v_pk_fma_f32 v[6:7], v[42:43], v[38:39], v[6:7] op_sel:[1,0,0] op_sel_hi:[0,0,1]
	v_pk_fma_f32 v[6:7], v[42:43], v[38:39], v[6:7] op_sel:[0,1,0] neg_lo:[0,1,0]
	s_nop 0
	v_pk_fma_f32 v[6:7], v[44:45], v[40:41], v[6:7] op_sel:[1,0,0] op_sel_hi:[0,0,1]
	v_pk_fma_f32 v[10:11], v[44:45], v[8:9], v[6:7] op_sel_hi:[1,0,1] neg_lo:[0,1,0]
	s_add_i32 s24, s24, -1
	s_add_i32 s25, s25, 4
	s_cmp_eq_u32 s24, 0
	s_cbranch_scc1 .LBB45_42
.LBB45_40:                              ;   in Loop: Header=BB45_35 Depth=2
	v_mov_b64_e32 v[6:7], v[10:11]
	s_branch .LBB45_35
.LBB45_41:                              ;   in Loop: Header=BB45_18 Depth=1
                                        ; implicit-def: $sgpr22
	s_cbranch_execz .LBB45_18
	s_branch .LBB45_66
.LBB45_42:                              ;   in Loop: Header=BB45_18 Depth=1
	v_mov_b32_e32 v7, v10
	v_mov_b32_e32 v6, v11
.LBB45_43:                              ;   in Loop: Header=BB45_18 Depth=1
	ds_write_b64 v23, v[6:7]
	s_waitcnt lgkmcnt(0)
	ds_read_b64 v[6:7], v0
	ds_read_b64 v[10:11], v19
	s_waitcnt lgkmcnt(1)
	v_cmp_neq_f32_e32 vcc, 0, v6
	v_cmp_neq_f32_e64 s[2:3], 0, v7
	s_or_b64 vcc, vcc, s[2:3]
	v_cndmask_b32_e32 v6, 1.0, v6, vcc
	s_nor_b64 s[24:25], vcc, s[0:1]
	v_cndmask_b32_e32 v8, 0, v7, vcc
	s_and_saveexec_b64 s[2:3], s[24:25]
	s_cbranch_execz .LBB45_47
; %bb.44:                               ;   in Loop: Header=BB45_18 Depth=1
	v_mbcnt_lo_u32_b32 v1, exec_lo, 0
	v_mbcnt_hi_u32_b32 v1, exec_hi, v1
	v_cmp_eq_u32_e32 vcc, 0, v1
	s_and_saveexec_b64 s[24:25], vcc
	s_cbranch_execz .LBB45_46
; %bb.45:                               ;   in Loop: Header=BB45_18 Depth=1
	v_mov_b32_e32 v1, s23
	global_atomic_smin v0, v1, s[10:11]
.LBB45_46:                              ;   in Loop: Header=BB45_18 Depth=1
	s_or_b64 exec, exec, s[24:25]
	v_mov_b32_e32 v8, 0
	v_mov_b32_e32 v6, 1.0
.LBB45_47:                              ;   in Loop: Header=BB45_18 Depth=1
	s_or_b64 exec, exec, s[2:3]
	v_mul_f32_e32 v1, v8, v8
	v_fmac_f32_e32 v1, v6, v6
	v_div_scale_f32 v7, s[2:3], v1, v1, 1.0
	v_rcp_f32_e32 v9, v7
	v_div_scale_f32 v25, vcc, 1.0, v1, 1.0
	s_waitcnt lgkmcnt(0)
	v_mov_b32_e32 v30, v11
	v_fma_f32 v26, -v7, v9, 1.0
	v_fmac_f32_e32 v9, v26, v9
	v_mul_f32_e32 v28, v25, v9
	v_fma_f32 v26, -v7, v28, v25
	v_fmac_f32_e32 v28, v26, v9
	ds_read_b64 v[26:27], v22
	v_mov_b32_e32 v31, v10
	v_fma_f32 v7, -v7, v28, v25
	v_div_fmas_f32 v7, v7, v9, v28
	v_div_fixup_f32 v28, v7, v1, 1.0
	s_waitcnt lgkmcnt(0)
	v_pk_add_f32 v[10:11], v[30:31], v[26:27] op_sel:[0,1] op_sel_hi:[1,0] neg_lo:[0,1] neg_hi:[0,1]
	s_nop 0
	v_xor_b32_e32 v26, 0x80000000, v11
	v_mov_b32_e32 v27, v10
	v_pk_mul_f32 v[8:9], v[8:9], v[26:27] op_sel_hi:[0,1]
	v_pk_fma_f32 v[6:7], v[10:11], v[6:7], v[8:9] op_sel_hi:[1,0,1]
	s_nop 0
	v_pk_mul_f32 v[6:7], v[28:29], v[6:7] op_sel_hi:[0,1]
	v_pk_mov_b32 v[8:9], v[6:7], v[6:7] op_sel:[1,0]
	ds_write_b64 v19, v[8:9]
	s_waitcnt lgkmcnt(0)
	ds_read_b64 v[8:9], v24
	ds_read_b64 v[10:11], v15
	s_waitcnt lgkmcnt(0)
	v_pk_fma_f32 v[10:11], v[6:7], v[8:9], v[10:11] op_sel:[1,0,0] op_sel_hi:[0,0,1]
	v_pk_fma_f32 v[6:7], v[6:7], v[8:9], v[10:11] op_sel:[0,1,0] neg_hi:[0,1,0]
	ds_write_b64 v15, v[6:7]
	s_waitcnt lgkmcnt(0)
	ds_read_b64 v[6:7], v0 offset:64
	ds_read_b64 v[10:11], v19 offset:8
	s_waitcnt lgkmcnt(1)
	v_cmp_neq_f32_e32 vcc, 0, v6
	v_cmp_neq_f32_e64 s[2:3], 0, v7
	s_or_b64 vcc, vcc, s[2:3]
	v_cndmask_b32_e32 v6, 1.0, v6, vcc
	s_nor_b64 s[24:25], vcc, s[0:1]
	v_cndmask_b32_e32 v8, 0, v7, vcc
	s_and_saveexec_b64 s[2:3], s[24:25]
	s_cbranch_execz .LBB45_51
; %bb.48:                               ;   in Loop: Header=BB45_18 Depth=1
	v_mbcnt_lo_u32_b32 v1, exec_lo, 0
	v_mbcnt_hi_u32_b32 v1, exec_hi, v1
	v_cmp_eq_u32_e32 vcc, 0, v1
	s_and_saveexec_b64 s[24:25], vcc
	s_cbranch_execz .LBB45_50
; %bb.49:                               ;   in Loop: Header=BB45_18 Depth=1
	v_mov_b32_e32 v1, s23
	global_atomic_smin v0, v1, s[10:11]
.LBB45_50:                              ;   in Loop: Header=BB45_18 Depth=1
	s_or_b64 exec, exec, s[24:25]
	v_mov_b32_e32 v8, 0
	v_mov_b32_e32 v6, 1.0
.LBB45_51:                              ;   in Loop: Header=BB45_18 Depth=1
	s_or_b64 exec, exec, s[2:3]
	v_mul_f32_e32 v1, v8, v8
	v_fmac_f32_e32 v1, v6, v6
	v_div_scale_f32 v7, s[2:3], v1, v1, 1.0
	v_rcp_f32_e32 v9, v7
	v_div_scale_f32 v25, vcc, 1.0, v1, 1.0
	v_fma_f32 v26, -v7, v9, 1.0
	v_fmac_f32_e32 v9, v26, v9
	v_mul_f32_e32 v32, v25, v9
	v_fma_f32 v26, -v7, v32, v25
	v_fmac_f32_e32 v32, v26, v9
	ds_read_b64 v[26:27], v19
	ds_read_b64 v[28:29], v0 offset:56
	ds_read_b64 v[30:31], v22 offset:8
	v_fma_f32 v7, -v7, v32, v25
	v_div_fmas_f32 v7, v7, v9, v32
	v_div_fixup_f32 v32, v7, v1, 1.0
	s_waitcnt lgkmcnt(0)
	v_pk_fma_f32 v[30:31], v[28:29], v[26:27], v[30:31] op_sel_hi:[1,0,1]
	s_nop 0
	v_pk_fma_f32 v[26:27], v[28:29], v[26:27], v[30:31] op_sel:[0,1,1] op_sel_hi:[1,1,0] neg_lo:[0,1,0]
	v_mov_b32_e32 v28, v11
	v_mov_b32_e32 v29, v10
	v_pk_add_f32 v[10:11], v[28:29], v[26:27] neg_lo:[0,1] neg_hi:[0,1]
	s_nop 0
	v_xor_b32_e32 v26, 0x80000000, v11
	v_mov_b32_e32 v27, v10
	v_pk_mul_f32 v[8:9], v[8:9], v[26:27] op_sel_hi:[0,1]
	v_pk_fma_f32 v[6:7], v[10:11], v[6:7], v[8:9] op_sel_hi:[1,0,1]
	s_nop 0
	v_pk_mul_f32 v[6:7], v[32:33], v[6:7] op_sel_hi:[0,1]
	v_pk_mov_b32 v[8:9], v[6:7], v[6:7] op_sel:[1,0]
	ds_write_b64 v19, v[8:9] offset:8
	s_waitcnt lgkmcnt(0)
	ds_read_b64 v[8:9], v24 offset:8
	ds_read_b64 v[10:11], v15
	s_waitcnt lgkmcnt(0)
	v_pk_fma_f32 v[10:11], v[6:7], v[8:9], v[10:11] op_sel:[1,0,0] op_sel_hi:[0,0,1]
	v_pk_fma_f32 v[6:7], v[6:7], v[8:9], v[10:11] op_sel:[0,1,0] neg_hi:[0,1,0]
	ds_write_b64 v15, v[6:7]
	s_waitcnt lgkmcnt(0)
	ds_read_b64 v[6:7], v0 offset:128
	ds_read_b64 v[10:11], v19 offset:16
	s_waitcnt lgkmcnt(1)
	v_cmp_neq_f32_e32 vcc, 0, v6
	v_cmp_neq_f32_e64 s[2:3], 0, v7
	s_or_b64 vcc, vcc, s[2:3]
	v_cndmask_b32_e32 v6, 1.0, v6, vcc
	s_nor_b64 s[24:25], vcc, s[0:1]
	v_cndmask_b32_e32 v8, 0, v7, vcc
	s_and_saveexec_b64 s[2:3], s[24:25]
	s_cbranch_execz .LBB45_55
; %bb.52:                               ;   in Loop: Header=BB45_18 Depth=1
	v_mbcnt_lo_u32_b32 v1, exec_lo, 0
	v_mbcnt_hi_u32_b32 v1, exec_hi, v1
	v_cmp_eq_u32_e32 vcc, 0, v1
	s_and_saveexec_b64 s[24:25], vcc
	s_cbranch_execz .LBB45_54
; %bb.53:                               ;   in Loop: Header=BB45_18 Depth=1
	v_mov_b32_e32 v1, s23
	global_atomic_smin v0, v1, s[10:11]
.LBB45_54:                              ;   in Loop: Header=BB45_18 Depth=1
	s_or_b64 exec, exec, s[24:25]
	v_mov_b32_e32 v8, 0
	v_mov_b32_e32 v6, 1.0
.LBB45_55:                              ;   in Loop: Header=BB45_18 Depth=1
	s_or_b64 exec, exec, s[2:3]
	v_mul_f32_e32 v1, v8, v8
	v_fmac_f32_e32 v1, v6, v6
	v_div_scale_f32 v7, s[2:3], v1, v1, 1.0
	v_rcp_f32_e32 v9, v7
	v_div_scale_f32 v25, vcc, 1.0, v1, 1.0
	v_fma_f32 v26, -v7, v9, 1.0
	v_fmac_f32_e32 v9, v26, v9
	v_mul_f32_e32 v36, v25, v9
	v_fma_f32 v26, -v7, v36, v25
	v_fmac_f32_e32 v36, v26, v9
	ds_read_b128 v[26:29], v0 offset:112
	ds_read2_b64 v[30:33], v19 offset1:1
	ds_read_b64 v[34:35], v22 offset:16
	v_fma_f32 v7, -v7, v36, v25
	v_div_fmas_f32 v7, v7, v9, v36
	v_div_fixup_f32 v36, v7, v1, 1.0
	s_waitcnt lgkmcnt(0)
	v_pk_fma_f32 v[34:35], v[26:27], v[30:31], v[34:35] op_sel_hi:[1,0,1]
	s_nop 0
	v_pk_fma_f32 v[26:27], v[26:27], v[30:31], v[34:35] op_sel:[0,1,1] op_sel_hi:[1,1,0] neg_lo:[0,1,0]
	v_mov_b32_e32 v30, v33
	v_pk_fma_f32 v[26:27], v[28:29], v[32:33], v[26:27] op_sel:[1,0,0] op_sel_hi:[0,0,1]
	v_pk_fma_f32 v[26:27], v[28:29], v[30:31], v[26:27] op_sel_hi:[1,0,1] neg_lo:[0,1,0]
	v_mov_b32_e32 v28, v11
	v_mov_b32_e32 v29, v10
	v_pk_add_f32 v[10:11], v[28:29], v[26:27] neg_lo:[0,1] neg_hi:[0,1]
	s_nop 0
	v_xor_b32_e32 v26, 0x80000000, v11
	v_mov_b32_e32 v27, v10
	v_pk_mul_f32 v[8:9], v[8:9], v[26:27] op_sel_hi:[0,1]
	v_pk_fma_f32 v[6:7], v[10:11], v[6:7], v[8:9] op_sel_hi:[1,0,1]
	s_nop 0
	v_pk_mul_f32 v[6:7], v[36:37], v[6:7] op_sel_hi:[0,1]
	v_pk_mov_b32 v[8:9], v[6:7], v[6:7] op_sel:[1,0]
	ds_write_b64 v19, v[8:9] offset:16
	s_waitcnt lgkmcnt(0)
	ds_read_b64 v[8:9], v24 offset:16
	ds_read_b64 v[10:11], v15
	s_waitcnt lgkmcnt(0)
	v_pk_fma_f32 v[10:11], v[6:7], v[8:9], v[10:11] op_sel:[1,0,0] op_sel_hi:[0,0,1]
	v_pk_fma_f32 v[6:7], v[6:7], v[8:9], v[10:11] op_sel:[0,1,0] neg_hi:[0,1,0]
	ds_write_b64 v15, v[6:7]
	s_waitcnt lgkmcnt(0)
	ds_read_b64 v[6:7], v0 offset:192
	ds_read_b64 v[10:11], v19 offset:24
	s_waitcnt lgkmcnt(1)
	v_cmp_neq_f32_e32 vcc, 0, v6
	v_cmp_neq_f32_e64 s[2:3], 0, v7
	s_or_b64 vcc, vcc, s[2:3]
	v_cndmask_b32_e32 v6, 1.0, v6, vcc
	s_nor_b64 s[24:25], vcc, s[0:1]
	v_cndmask_b32_e32 v8, 0, v7, vcc
	s_and_saveexec_b64 s[2:3], s[24:25]
	s_cbranch_execz .LBB45_59
; %bb.56:                               ;   in Loop: Header=BB45_18 Depth=1
	v_mbcnt_lo_u32_b32 v1, exec_lo, 0
	v_mbcnt_hi_u32_b32 v1, exec_hi, v1
	v_cmp_eq_u32_e32 vcc, 0, v1
	s_and_saveexec_b64 s[24:25], vcc
	s_cbranch_execz .LBB45_58
; %bb.57:                               ;   in Loop: Header=BB45_18 Depth=1
	v_mov_b32_e32 v1, s23
	global_atomic_smin v0, v1, s[10:11]
.LBB45_58:                              ;   in Loop: Header=BB45_18 Depth=1
	s_or_b64 exec, exec, s[24:25]
	v_mov_b32_e32 v8, 0
	v_mov_b32_e32 v6, 1.0
.LBB45_59:                              ;   in Loop: Header=BB45_18 Depth=1
	s_or_b64 exec, exec, s[2:3]
	v_mul_f32_e32 v1, v8, v8
	v_fmac_f32_e32 v1, v6, v6
	v_div_scale_f32 v7, s[2:3], v1, v1, 1.0
	v_rcp_f32_e32 v9, v7
	ds_read_b64 v[34:35], v19 offset:16
	ds_read2_b64 v[26:29], v19 offset1:1
	v_fma_f32 v25, -v7, v9, 1.0
	v_fmac_f32_e32 v9, v25, v9
	v_div_scale_f32 v25, vcc, 1.0, v1, 1.0
	v_mul_f32_e32 v38, v25, v9
	v_fma_f32 v30, -v7, v38, v25
	v_fmac_f32_e32 v38, v30, v9
	ds_read2_b64 v[30:33], v0 offset0:21 offset1:22
	ds_read_b64 v[36:37], v22 offset:24
	ds_read_b64 v[40:41], v0 offset:184
	v_fma_f32 v7, -v7, v38, v25
	v_div_fmas_f32 v7, v7, v9, v38
	v_div_fixup_f32 v38, v7, v1, 1.0
	s_waitcnt lgkmcnt(1)
	v_pk_fma_f32 v[36:37], v[30:31], v[26:27], v[36:37] op_sel_hi:[1,0,1]
	s_nop 0
	v_pk_fma_f32 v[26:27], v[30:31], v[26:27], v[36:37] op_sel:[0,1,1] op_sel_hi:[1,1,0] neg_lo:[0,1,0]
	s_nop 0
	v_pk_fma_f32 v[26:27], v[32:33], v[28:29], v[26:27] op_sel:[1,0,0] op_sel_hi:[0,0,1]
	v_mov_b32_e32 v28, v29
	v_pk_fma_f32 v[26:27], v[32:33], v[28:29], v[26:27] op_sel_hi:[1,0,1] neg_lo:[0,1,0]
	v_mov_b32_e32 v28, v11
	s_waitcnt lgkmcnt(0)
	v_pk_fma_f32 v[26:27], v[40:41], v[34:35], v[26:27] op_sel:[1,0,0] op_sel_hi:[0,0,1]
	v_pk_fma_f32 v[26:27], v[40:41], v[34:35], v[26:27] op_sel:[0,1,0] neg_lo:[0,1,0]
	v_mov_b32_e32 v29, v10
	v_pk_add_f32 v[10:11], v[28:29], v[26:27] neg_lo:[0,1] neg_hi:[0,1]
	s_nop 0
	v_xor_b32_e32 v26, 0x80000000, v11
	v_mov_b32_e32 v27, v10
	v_pk_mul_f32 v[8:9], v[8:9], v[26:27] op_sel_hi:[0,1]
	v_pk_fma_f32 v[6:7], v[10:11], v[6:7], v[8:9] op_sel_hi:[1,0,1]
	s_nop 0
	v_pk_mul_f32 v[6:7], v[38:39], v[6:7] op_sel_hi:[0,1]
	v_pk_mov_b32 v[8:9], v[6:7], v[6:7] op_sel:[1,0]
	ds_write_b64 v19, v[8:9] offset:24
	s_waitcnt lgkmcnt(0)
	ds_read_b64 v[8:9], v24 offset:24
	ds_read_b64 v[10:11], v15
	s_waitcnt lgkmcnt(0)
	v_pk_fma_f32 v[10:11], v[6:7], v[8:9], v[10:11] op_sel:[1,0,0] op_sel_hi:[0,0,1]
	v_pk_fma_f32 v[6:7], v[6:7], v[8:9], v[10:11] op_sel:[0,1,0] neg_hi:[0,1,0]
	ds_write_b64 v15, v[6:7]
	s_waitcnt lgkmcnt(0)
	ds_read_b64 v[6:7], v0 offset:256
	ds_read_b64 v[10:11], v19 offset:32
	s_waitcnt lgkmcnt(1)
	v_cmp_neq_f32_e32 vcc, 0, v6
	v_cmp_neq_f32_e64 s[2:3], 0, v7
	s_or_b64 vcc, vcc, s[2:3]
	v_cndmask_b32_e32 v6, 1.0, v6, vcc
	s_nor_b64 s[24:25], vcc, s[0:1]
	v_cndmask_b32_e32 v8, 0, v7, vcc
	s_and_saveexec_b64 s[2:3], s[24:25]
	s_cbranch_execz .LBB45_63
; %bb.60:                               ;   in Loop: Header=BB45_18 Depth=1
	v_mbcnt_lo_u32_b32 v1, exec_lo, 0
	v_mbcnt_hi_u32_b32 v1, exec_hi, v1
	v_cmp_eq_u32_e32 vcc, 0, v1
	s_and_saveexec_b64 s[24:25], vcc
	s_cbranch_execz .LBB45_62
; %bb.61:                               ;   in Loop: Header=BB45_18 Depth=1
	v_mov_b32_e32 v1, s23
	global_atomic_smin v0, v1, s[10:11]
.LBB45_62:                              ;   in Loop: Header=BB45_18 Depth=1
	s_or_b64 exec, exec, s[24:25]
	v_mov_b32_e32 v8, 0
	v_mov_b32_e32 v6, 1.0
.LBB45_63:                              ;   in Loop: Header=BB45_18 Depth=1
	s_or_b64 exec, exec, s[2:3]
	v_mul_f32_e32 v1, v8, v8
	v_fmac_f32_e32 v1, v6, v6
	v_div_scale_f32 v7, s[2:3], v1, v1, 1.0
	v_rcp_f32_e32 v9, v7
	ds_read2_b64 v[26:29], v19 offset0:2 offset1:3
	ds_read2_b64 v[30:33], v19 offset1:1
	v_fma_f32 v25, -v7, v9, 1.0
	v_fmac_f32_e32 v9, v25, v9
	v_div_scale_f32 v25, vcc, 1.0, v1, 1.0
	v_mul_f32_e32 v38, v25, v9
	v_fma_f32 v34, -v7, v38, v25
	v_fmac_f32_e32 v38, v34, v9
	ds_read_b128 v[34:37], v0 offset:224
	ds_read_b64 v[42:43], v22 offset:32
	v_fma_f32 v7, -v7, v38, v25
	v_div_fmas_f32 v7, v7, v9, v38
	ds_read_b128 v[38:41], v0 offset:240
	v_div_fixup_f32 v44, v7, v1, 1.0
	s_waitcnt lgkmcnt(1)
	v_pk_fma_f32 v[42:43], v[34:35], v[30:31], v[42:43] op_sel_hi:[1,0,1]
	s_nop 0
	v_pk_fma_f32 v[30:31], v[34:35], v[30:31], v[42:43] op_sel:[0,1,1] op_sel_hi:[1,1,0] neg_lo:[0,1,0]
	s_nop 0
	v_pk_fma_f32 v[30:31], v[36:37], v[32:33], v[30:31] op_sel:[1,0,0] op_sel_hi:[0,0,1]
	v_mov_b32_e32 v32, v33
	v_pk_fma_f32 v[30:31], v[36:37], v[32:33], v[30:31] op_sel_hi:[1,0,1] neg_lo:[0,1,0]
	s_waitcnt lgkmcnt(0)
	v_pk_fma_f32 v[30:31], v[38:39], v[26:27], v[30:31] op_sel:[1,0,0] op_sel_hi:[0,0,1]
	v_pk_fma_f32 v[26:27], v[38:39], v[26:27], v[30:31] op_sel:[0,1,0] neg_lo:[0,1,0]
	s_nop 0
	v_pk_fma_f32 v[26:27], v[40:41], v[28:29], v[26:27] op_sel:[1,0,0] op_sel_hi:[0,0,1]
	v_mov_b32_e32 v28, v29
	v_pk_fma_f32 v[26:27], v[40:41], v[28:29], v[26:27] op_sel_hi:[1,0,1] neg_lo:[0,1,0]
	v_mov_b32_e32 v28, v11
	v_mov_b32_e32 v29, v10
	v_pk_add_f32 v[10:11], v[28:29], v[26:27] neg_lo:[0,1] neg_hi:[0,1]
	s_nop 0
	v_xor_b32_e32 v26, 0x80000000, v11
	v_mov_b32_e32 v27, v10
	v_pk_mul_f32 v[8:9], v[8:9], v[26:27] op_sel_hi:[0,1]
	v_pk_fma_f32 v[6:7], v[10:11], v[6:7], v[8:9] op_sel_hi:[1,0,1]
	s_nop 0
	v_pk_mul_f32 v[6:7], v[44:45], v[6:7] op_sel_hi:[0,1]
	v_pk_mov_b32 v[8:9], v[6:7], v[6:7] op_sel:[1,0]
	ds_write_b64 v19, v[8:9] offset:32
	s_waitcnt lgkmcnt(0)
	ds_read_b64 v[8:9], v24 offset:32
	ds_read_b64 v[10:11], v15
	s_waitcnt lgkmcnt(0)
	v_pk_fma_f32 v[10:11], v[6:7], v[8:9], v[10:11] op_sel:[1,0,0] op_sel_hi:[0,0,1]
	v_pk_fma_f32 v[6:7], v[6:7], v[8:9], v[10:11] op_sel:[0,1,0] neg_hi:[0,1,0]
	ds_write_b64 v15, v[6:7]
	s_waitcnt lgkmcnt(0)
	ds_read_b64 v[6:7], v0 offset:320
	ds_read_b64 v[10:11], v19 offset:40
	s_waitcnt lgkmcnt(1)
	v_cmp_neq_f32_e32 vcc, 0, v6
	v_cmp_neq_f32_e64 s[2:3], 0, v7
	s_or_b64 vcc, vcc, s[2:3]
	v_cndmask_b32_e32 v6, 1.0, v6, vcc
	s_nor_b64 s[24:25], vcc, s[0:1]
	v_cndmask_b32_e32 v8, 0, v7, vcc
	s_and_saveexec_b64 s[2:3], s[24:25]
	s_cbranch_execz .LBB45_17
; %bb.64:                               ;   in Loop: Header=BB45_18 Depth=1
	v_mbcnt_lo_u32_b32 v1, exec_lo, 0
	v_mbcnt_hi_u32_b32 v1, exec_hi, v1
	v_cmp_eq_u32_e32 vcc, 0, v1
	s_and_saveexec_b64 s[24:25], vcc
	s_cbranch_execz .LBB45_16
; %bb.65:                               ;   in Loop: Header=BB45_18 Depth=1
	v_mov_b32_e32 v1, s23
	global_atomic_smin v0, v1, s[10:11]
	s_branch .LBB45_16
.LBB45_66:
	s_cmp_lg_u32 s33, 0
	s_cselect_b64 s[12:13], -1, 0
	s_cmp_eq_u32 s33, 0
	v_mov_b32_e32 v0, v14
	s_cbranch_scc1 .LBB45_68
; %bb.67:
	v_mad_u32_u24 v0, v12, 6, v13
.LBB45_68:
	s_mul_i32 s30, s30, 36
	v_add_u32_e32 v0, s30, v0
	v_ashrrev_i32_e32 v1, 31, v0
	v_lshl_add_u64 v[0:1], v[0:1], 3, s[18:19]
	global_load_dwordx2 v[6:7], v[0:1], off
	v_mov_b32_e32 v0, 0x2a0
	v_mad_u32_u24 v4, v13, 56, v0
	v_cmp_ne_u32_e64 s[2:3], 0, v13
	v_lshl_add_u32 v1, v12, 3, v4
	v_cmp_eq_u32_e32 vcc, 0, v13
	s_waitcnt vmcnt(0)
	ds_write_b64 v1, v[6:7]
	s_waitcnt lgkmcnt(0)
	s_and_saveexec_b64 s[4:5], vcc
	s_cbranch_execz .LBB45_78
; %bb.69:
	v_mov_b32_e32 v5, 0
	ds_read2_b64 v[6:9], v5 offset0:84 offset1:126
	s_waitcnt lgkmcnt(0)
	v_sub_f32_e32 v0, v6, v8
	v_sub_f32_e32 v6, v7, v9
	v_cmp_gt_f32_e32 vcc, 0, v0
	s_nop 1
	v_cndmask_b32_e64 v0, v0, -v0, vcc
	v_cmp_gt_f32_e32 vcc, 0, v6
	s_nop 1
	v_cndmask_b32_e64 v2, v6, -v6, vcc
	v_cmp_ngt_f32_e32 vcc, v0, v2
	s_cbranch_vccz .LBB45_75
; %bb.70:
	v_cmp_eq_f32_e32 vcc, 0, v6
	s_cbranch_vccnz .LBB45_72
; %bb.71:
	v_div_scale_f32 v5, s[0:1], v2, v2, v0
	v_rcp_f32_e32 v6, v5
	v_div_scale_f32 v7, vcc, v0, v2, v0
	s_mov_b32 s0, 0xf800000
	v_fma_f32 v8, -v5, v6, 1.0
	v_fmac_f32_e32 v6, v8, v6
	v_mul_f32_e32 v8, v7, v6
	v_fma_f32 v9, -v5, v8, v7
	v_fmac_f32_e32 v8, v9, v6
	v_fma_f32 v5, -v5, v8, v7
	v_div_fmas_f32 v5, v5, v6, v8
	v_div_fixup_f32 v5, v5, v2, v0
	v_fma_f32 v5, v5, v5, 1.0
	v_mul_f32_e32 v6, 0x4f800000, v5
	v_cmp_gt_f32_e32 vcc, s0, v5
	s_nop 1
	v_cndmask_b32_e32 v5, v5, v6, vcc
	v_sqrt_f32_e32 v6, v5
	s_nop 0
	v_add_u32_e32 v7, -1, v6
	v_fma_f32 v8, -v7, v6, v5
	v_cmp_ge_f32_e64 s[0:1], 0, v8
	v_add_u32_e32 v8, 1, v6
	s_nop 0
	v_cndmask_b32_e64 v7, v6, v7, s[0:1]
	v_fma_f32 v6, -v8, v6, v5
	v_cmp_lt_f32_e64 s[0:1], 0, v6
	s_nop 1
	v_cndmask_b32_e64 v6, v7, v8, s[0:1]
	v_mul_f32_e32 v7, 0x37800000, v6
	v_cndmask_b32_e32 v6, v6, v7, vcc
	v_mov_b32_e32 v7, 0x260
	v_cmp_class_f32_e32 vcc, v5, v7
	s_nop 1
	v_cndmask_b32_e32 v5, v6, v5, vcc
	v_mul_f32_e32 v5, v2, v5
.LBB45_72:
	s_cbranch_execz .LBB45_76
	s_branch .LBB45_77
.LBB45_73:
	s_cbranch_execnz .LBB45_157
.LBB45_74:
	s_endpgm
.LBB45_75:
                                        ; implicit-def: $vgpr5
.LBB45_76:
	v_div_scale_f32 v5, s[0:1], v0, v0, v2
	v_rcp_f32_e32 v6, v5
	v_div_scale_f32 v7, vcc, v2, v0, v2
	s_mov_b32 s0, 0xf800000
	v_fma_f32 v8, -v5, v6, 1.0
	v_fmac_f32_e32 v6, v8, v6
	v_mul_f32_e32 v8, v7, v6
	v_fma_f32 v9, -v5, v8, v7
	v_fmac_f32_e32 v8, v9, v6
	v_fma_f32 v5, -v5, v8, v7
	v_div_fmas_f32 v5, v5, v6, v8
	v_div_fixup_f32 v2, v5, v0, v2
	v_fma_f32 v2, v2, v2, 1.0
	v_mul_f32_e32 v5, 0x4f800000, v2
	v_cmp_gt_f32_e32 vcc, s0, v2
	s_nop 1
	v_cndmask_b32_e32 v2, v2, v5, vcc
	v_sqrt_f32_e32 v5, v2
	s_nop 0
	v_add_u32_e32 v6, -1, v5
	v_fma_f32 v7, -v6, v5, v2
	v_cmp_ge_f32_e64 s[0:1], 0, v7
	v_add_u32_e32 v7, 1, v5
	s_nop 0
	v_cndmask_b32_e64 v6, v5, v6, s[0:1]
	v_fma_f32 v5, -v7, v5, v2
	v_cmp_lt_f32_e64 s[0:1], 0, v5
	s_nop 1
	v_cndmask_b32_e64 v5, v6, v7, s[0:1]
	v_mul_f32_e32 v6, 0x37800000, v5
	v_cndmask_b32_e32 v5, v5, v6, vcc
	v_mov_b32_e32 v6, 0x260
	v_cmp_class_f32_e32 vcc, v2, v6
	s_nop 1
	v_cndmask_b32_e32 v2, v5, v2, vcc
	v_mul_f32_e32 v5, v0, v2
.LBB45_77:
	s_mov_b32 s0, 0xf800000
	v_mul_f32_e32 v0, 0x4f800000, v5
	v_cmp_gt_f32_e32 vcc, s0, v5
	v_mov_b32_e32 v7, 0
	s_nop 0
	v_cndmask_b32_e32 v0, v5, v0, vcc
	v_sqrt_f32_e32 v2, v0
	s_nop 0
	v_add_u32_e32 v5, -1, v2
	v_fma_f32 v6, -v5, v2, v0
	v_cmp_ge_f32_e64 s[0:1], 0, v6
	v_add_u32_e32 v6, 1, v2
	s_nop 0
	v_cndmask_b32_e64 v5, v2, v5, s[0:1]
	v_fma_f32 v2, -v6, v2, v0
	v_cmp_lt_f32_e64 s[0:1], 0, v2
	s_nop 1
	v_cndmask_b32_e64 v2, v5, v6, s[0:1]
	v_mul_f32_e32 v5, 0x37800000, v2
	v_cndmask_b32_e32 v2, v2, v5, vcc
	v_mov_b32_e32 v5, 0x260
	v_cmp_class_f32_e32 vcc, v0, v5
	s_nop 1
	v_cndmask_b32_e32 v6, v2, v0, vcc
	ds_write_b64 v7, v[6:7] offset:672
.LBB45_78:
	s_or_b64 exec, exec, s[4:5]
	v_mov_b32_e32 v0, 0
	s_waitcnt lgkmcnt(0)
	ds_read_b64 v[6:7], v0 offset:672
	v_or_b32_e32 v5, v12, v13
	v_cmp_ne_u32_e64 s[0:1], 0, v5
	s_add_i32 s20, s16, s17
	s_waitcnt lgkmcnt(0)
	v_cmp_neq_f32_e32 vcc, 0, v6
	v_cmp_neq_f32_e64 s[4:5], 0, v7
	s_or_b64 vcc, vcc, s[4:5]
	v_cndmask_b32_e32 v0, 1.0, v6, vcc
	s_nor_b64 s[14:15], vcc, s[0:1]
	v_cndmask_b32_e32 v2, 0, v7, vcc
	s_and_saveexec_b64 s[4:5], s[14:15]
	s_cbranch_execz .LBB45_82
; %bb.79:
	v_mbcnt_lo_u32_b32 v0, exec_lo, 0
	v_mbcnt_hi_u32_b32 v0, exec_hi, v0
	v_cmp_eq_u32_e32 vcc, 0, v0
	s_and_saveexec_b64 s[14:15], vcc
	s_cbranch_execz .LBB45_81
; %bb.80:
	v_mov_b32_e32 v0, 0
	v_mov_b32_e32 v2, s20
	global_atomic_smin v0, v2, s[10:11]
.LBB45_81:
	s_or_b64 exec, exec, s[14:15]
	v_mov_b32_e32 v2, 0
	v_mov_b32_e32 v0, 1.0
.LBB45_82:
	s_or_b64 exec, exec, s[4:5]
	v_mov_b32_e32 v6, 0x2a0
	v_mad_u32_u24 v6, v12, 56, v6
	s_and_saveexec_b64 s[4:5], s[2:3]
	s_cbranch_execz .LBB45_84
; %bb.83:
	v_mul_f32_e32 v7, v2, v2
	v_fmac_f32_e32 v7, v0, v0
	v_div_scale_f32 v17, s[2:3], v7, v7, 1.0
	v_rcp_f32_e32 v18, v17
	v_div_scale_f32 v19, vcc, 1.0, v7, 1.0
	v_fma_f32 v8, -v17, v18, 1.0
	v_fmac_f32_e32 v18, v8, v18
	v_mul_f32_e32 v20, v19, v18
	v_fma_f32 v8, -v17, v20, v19
	v_fmac_f32_e32 v20, v8, v18
	ds_read_b64 v[8:9], v4
	ds_read_b64 v[10:11], v16
	v_fma_f32 v17, -v17, v20, v19
	v_div_fmas_f32 v17, v17, v18, v20
	v_div_fixup_f32 v18, v17, v7, 1.0
	s_waitcnt lgkmcnt(0)
	v_pk_add_f32 v[8:9], v[8:9], v[10:11] op_sel:[1,1] op_sel_hi:[0,0] neg_lo:[0,1] neg_hi:[0,1]
	v_xor_b32_e32 v10, 0x80000000, v9
	v_mov_b32_e32 v11, v8
	v_pk_mul_f32 v[10:11], v[2:3], v[10:11] op_sel_hi:[0,1]
	v_pk_fma_f32 v[8:9], v[8:9], v[0:1], v[10:11] op_sel_hi:[1,0,1]
	s_nop 0
	v_pk_mul_f32 v[8:9], v[18:19], v[8:9] op_sel_hi:[0,1]
	v_pk_mov_b32 v[10:11], v[8:9], v[8:9] op_sel:[1,0]
	ds_write_b64 v4, v[10:11]
	s_waitcnt lgkmcnt(0)
	ds_read_b64 v[10:11], v6
	ds_read_b64 v[18:19], v15
	s_waitcnt lgkmcnt(0)
	v_pk_fma_f32 v[18:19], v[8:9], v[10:11], v[18:19] op_sel:[1,0,0] op_sel_hi:[0,0,1]
	v_pk_fma_f32 v[8:9], v[8:9], v[10:11], v[18:19] op_sel:[0,1,0] neg_hi:[0,1,0]
	ds_write_b64 v15, v[8:9]
.LBB45_84:
	s_or_b64 exec, exec, s[4:5]
	v_cmp_eq_u32_e32 vcc, 1, v13
	s_waitcnt lgkmcnt(0)
	s_and_saveexec_b64 s[4:5], vcc
	s_cbranch_execz .LBB45_92
; %bb.85:
	v_mov_b32_e32 v7, 0
	ds_read2_b64 v[8:11], v7 offset0:92 offset1:134
	s_waitcnt lgkmcnt(0)
	v_sub_f32_e32 v0, v8, v10
	v_sub_f32_e32 v8, v9, v11
	v_cmp_gt_f32_e32 vcc, 0, v0
	s_nop 1
	v_cndmask_b32_e64 v0, v0, -v0, vcc
	v_cmp_gt_f32_e32 vcc, 0, v8
	s_nop 1
	v_cndmask_b32_e64 v2, v8, -v8, vcc
	v_cmp_gt_f32_e32 vcc, v0, v2
	s_cbranch_vccnz .LBB45_89
; %bb.86:
	v_cmp_eq_f32_e32 vcc, 0, v8
	s_cbranch_vccnz .LBB45_88
; %bb.87:
	v_div_scale_f32 v7, s[2:3], v2, v2, v0
	v_rcp_f32_e32 v8, v7
	v_div_scale_f32 v9, vcc, v0, v2, v0
	s_mov_b32 s2, 0xf800000
	v_fma_f32 v10, -v7, v8, 1.0
	v_fmac_f32_e32 v8, v10, v8
	v_mul_f32_e32 v10, v9, v8
	v_fma_f32 v11, -v7, v10, v9
	v_fmac_f32_e32 v10, v11, v8
	v_fma_f32 v7, -v7, v10, v9
	v_div_fmas_f32 v7, v7, v8, v10
	v_div_fixup_f32 v7, v7, v2, v0
	v_fma_f32 v7, v7, v7, 1.0
	v_mul_f32_e32 v8, 0x4f800000, v7
	v_cmp_gt_f32_e32 vcc, s2, v7
	s_nop 1
	v_cndmask_b32_e32 v7, v7, v8, vcc
	v_sqrt_f32_e32 v8, v7
	s_nop 0
	v_add_u32_e32 v9, -1, v8
	v_fma_f32 v10, -v9, v8, v7
	v_cmp_ge_f32_e64 s[2:3], 0, v10
	v_add_u32_e32 v10, 1, v8
	s_nop 0
	v_cndmask_b32_e64 v9, v8, v9, s[2:3]
	v_fma_f32 v8, -v10, v8, v7
	v_cmp_lt_f32_e64 s[2:3], 0, v8
	s_nop 1
	v_cndmask_b32_e64 v8, v9, v10, s[2:3]
	v_mul_f32_e32 v9, 0x37800000, v8
	v_cndmask_b32_e32 v8, v8, v9, vcc
	v_mov_b32_e32 v9, 0x260
	v_cmp_class_f32_e32 vcc, v7, v9
	s_nop 1
	v_cndmask_b32_e32 v7, v8, v7, vcc
	v_mul_f32_e32 v7, v2, v7
.LBB45_88:
	s_cbranch_execz .LBB45_90
	s_branch .LBB45_91
.LBB45_89:
                                        ; implicit-def: $vgpr7
.LBB45_90:
	v_div_scale_f32 v7, s[2:3], v0, v0, v2
	v_rcp_f32_e32 v8, v7
	v_div_scale_f32 v9, vcc, v2, v0, v2
	s_mov_b32 s2, 0xf800000
	v_fma_f32 v10, -v7, v8, 1.0
	v_fmac_f32_e32 v8, v10, v8
	v_mul_f32_e32 v10, v9, v8
	v_fma_f32 v11, -v7, v10, v9
	v_fmac_f32_e32 v10, v11, v8
	v_fma_f32 v7, -v7, v10, v9
	v_div_fmas_f32 v7, v7, v8, v10
	v_div_fixup_f32 v2, v7, v0, v2
	v_fma_f32 v2, v2, v2, 1.0
	v_mul_f32_e32 v7, 0x4f800000, v2
	v_cmp_gt_f32_e32 vcc, s2, v2
	s_nop 1
	v_cndmask_b32_e32 v2, v2, v7, vcc
	v_sqrt_f32_e32 v7, v2
	s_nop 0
	v_add_u32_e32 v8, -1, v7
	v_fma_f32 v9, -v8, v7, v2
	v_cmp_ge_f32_e64 s[2:3], 0, v9
	v_add_u32_e32 v9, 1, v7
	s_nop 0
	v_cndmask_b32_e64 v8, v7, v8, s[2:3]
	v_fma_f32 v7, -v9, v7, v2
	v_cmp_lt_f32_e64 s[2:3], 0, v7
	s_nop 1
	v_cndmask_b32_e64 v7, v8, v9, s[2:3]
	v_mul_f32_e32 v8, 0x37800000, v7
	v_cndmask_b32_e32 v7, v7, v8, vcc
	v_mov_b32_e32 v8, 0x260
	v_cmp_class_f32_e32 vcc, v2, v8
	s_nop 1
	v_cndmask_b32_e32 v2, v7, v2, vcc
	v_mul_f32_e32 v7, v0, v2
.LBB45_91:
	s_mov_b32 s2, 0xf800000
	v_mul_f32_e32 v0, 0x4f800000, v7
	v_cmp_gt_f32_e32 vcc, s2, v7
	v_mov_b32_e32 v9, 0
	s_nop 0
	v_cndmask_b32_e32 v0, v7, v0, vcc
	v_sqrt_f32_e32 v2, v0
	s_nop 0
	v_add_u32_e32 v7, -1, v2
	v_fma_f32 v8, -v7, v2, v0
	v_cmp_ge_f32_e64 s[2:3], 0, v8
	v_add_u32_e32 v8, 1, v2
	s_nop 0
	v_cndmask_b32_e64 v7, v2, v7, s[2:3]
	v_fma_f32 v2, -v8, v2, v0
	v_cmp_lt_f32_e64 s[2:3], 0, v2
	s_nop 1
	v_cndmask_b32_e64 v2, v7, v8, s[2:3]
	v_mul_f32_e32 v7, 0x37800000, v2
	v_cndmask_b32_e32 v2, v2, v7, vcc
	v_mov_b32_e32 v7, 0x260
	v_cmp_class_f32_e32 vcc, v0, v7
	s_nop 1
	v_cndmask_b32_e32 v8, v2, v0, vcc
	ds_write_b64 v9, v[8:9] offset:736
.LBB45_92:
	s_or_b64 exec, exec, s[4:5]
	v_mov_b32_e32 v0, 0
	s_waitcnt lgkmcnt(0)
	ds_read_b64 v[8:9], v0 offset:736
	s_waitcnt lgkmcnt(0)
	v_cmp_neq_f32_e32 vcc, 0, v8
	v_cmp_neq_f32_e64 s[2:3], 0, v9
	s_or_b64 vcc, vcc, s[2:3]
	v_cndmask_b32_e32 v0, 1.0, v8, vcc
	s_nor_b64 s[4:5], vcc, s[0:1]
	v_cndmask_b32_e32 v2, 0, v9, vcc
	s_and_saveexec_b64 s[2:3], s[4:5]
	s_cbranch_execz .LBB45_96
; %bb.93:
	v_mbcnt_lo_u32_b32 v0, exec_lo, 0
	v_mbcnt_hi_u32_b32 v0, exec_hi, v0
	v_cmp_eq_u32_e32 vcc, 0, v0
	s_and_saveexec_b64 s[4:5], vcc
	s_cbranch_execz .LBB45_95
; %bb.94:
	v_mov_b32_e32 v0, 0
	v_mov_b32_e32 v2, s20
	global_atomic_smin v0, v2, s[10:11]
.LBB45_95:
	s_or_b64 exec, exec, s[4:5]
	v_mov_b32_e32 v2, 0
	v_mov_b32_e32 v0, 1.0
.LBB45_96:
	s_or_b64 exec, exec, s[2:3]
	v_cmp_lt_u32_e32 vcc, 1, v13
	s_and_saveexec_b64 s[2:3], vcc
	s_cbranch_execz .LBB45_98
; %bb.97:
	v_mul_f32_e32 v7, v2, v2
	v_fmac_f32_e32 v7, v0, v0
	v_div_scale_f32 v17, s[4:5], v7, v7, 1.0
	v_rcp_f32_e32 v18, v17
	v_div_scale_f32 v19, vcc, 1.0, v7, 1.0
	v_fma_f32 v8, -v17, v18, 1.0
	v_fmac_f32_e32 v18, v8, v18
	v_mul_f32_e32 v20, v19, v18
	v_fma_f32 v8, -v17, v20, v19
	v_fmac_f32_e32 v20, v8, v18
	ds_read_b64 v[8:9], v4 offset:8
	ds_read_b64 v[10:11], v16 offset:8
	v_fma_f32 v17, -v17, v20, v19
	v_div_fmas_f32 v17, v17, v18, v20
	v_div_fixup_f32 v18, v17, v7, 1.0
	s_waitcnt lgkmcnt(0)
	v_pk_add_f32 v[8:9], v[8:9], v[10:11] op_sel:[1,1] op_sel_hi:[0,0] neg_lo:[0,1] neg_hi:[0,1]
	v_xor_b32_e32 v10, 0x80000000, v9
	v_mov_b32_e32 v11, v8
	v_pk_mul_f32 v[10:11], v[2:3], v[10:11] op_sel_hi:[0,1]
	v_pk_fma_f32 v[8:9], v[8:9], v[0:1], v[10:11] op_sel_hi:[1,0,1]
	s_nop 0
	v_pk_mul_f32 v[8:9], v[18:19], v[8:9] op_sel_hi:[0,1]
	v_pk_mov_b32 v[10:11], v[8:9], v[8:9] op_sel:[1,0]
	ds_write_b64 v4, v[10:11] offset:8
	s_waitcnt lgkmcnt(0)
	ds_read_b64 v[10:11], v6 offset:8
	ds_read_b64 v[18:19], v15
	s_waitcnt lgkmcnt(0)
	v_pk_fma_f32 v[18:19], v[8:9], v[10:11], v[18:19] op_sel:[1,0,0] op_sel_hi:[0,0,1]
	v_pk_fma_f32 v[8:9], v[8:9], v[10:11], v[18:19] op_sel:[0,1,0] neg_hi:[0,1,0]
	ds_write_b64 v15, v[8:9]
.LBB45_98:
	s_or_b64 exec, exec, s[2:3]
	v_cmp_eq_u32_e32 vcc, 2, v13
	s_waitcnt lgkmcnt(0)
	s_and_saveexec_b64 s[4:5], vcc
	s_cbranch_execz .LBB45_106
; %bb.99:
	v_mov_b32_e32 v7, 0
	ds_read2_b64 v[8:11], v7 offset0:100 offset1:142
	s_waitcnt lgkmcnt(0)
	v_sub_f32_e32 v0, v8, v10
	v_sub_f32_e32 v8, v9, v11
	v_cmp_gt_f32_e32 vcc, 0, v0
	s_nop 1
	v_cndmask_b32_e64 v0, v0, -v0, vcc
	v_cmp_gt_f32_e32 vcc, 0, v8
	s_nop 1
	v_cndmask_b32_e64 v2, v8, -v8, vcc
	v_cmp_gt_f32_e32 vcc, v0, v2
	s_cbranch_vccnz .LBB45_103
; %bb.100:
	v_cmp_eq_f32_e32 vcc, 0, v8
	s_cbranch_vccnz .LBB45_102
; %bb.101:
	v_div_scale_f32 v7, s[2:3], v2, v2, v0
	v_rcp_f32_e32 v8, v7
	v_div_scale_f32 v9, vcc, v0, v2, v0
	s_mov_b32 s2, 0xf800000
	v_fma_f32 v10, -v7, v8, 1.0
	v_fmac_f32_e32 v8, v10, v8
	v_mul_f32_e32 v10, v9, v8
	v_fma_f32 v11, -v7, v10, v9
	v_fmac_f32_e32 v10, v11, v8
	v_fma_f32 v7, -v7, v10, v9
	v_div_fmas_f32 v7, v7, v8, v10
	v_div_fixup_f32 v7, v7, v2, v0
	v_fma_f32 v7, v7, v7, 1.0
	v_mul_f32_e32 v8, 0x4f800000, v7
	v_cmp_gt_f32_e32 vcc, s2, v7
	s_nop 1
	v_cndmask_b32_e32 v7, v7, v8, vcc
	v_sqrt_f32_e32 v8, v7
	s_nop 0
	v_add_u32_e32 v9, -1, v8
	v_fma_f32 v10, -v9, v8, v7
	v_cmp_ge_f32_e64 s[2:3], 0, v10
	v_add_u32_e32 v10, 1, v8
	s_nop 0
	v_cndmask_b32_e64 v9, v8, v9, s[2:3]
	v_fma_f32 v8, -v10, v8, v7
	v_cmp_lt_f32_e64 s[2:3], 0, v8
	s_nop 1
	v_cndmask_b32_e64 v8, v9, v10, s[2:3]
	v_mul_f32_e32 v9, 0x37800000, v8
	v_cndmask_b32_e32 v8, v8, v9, vcc
	v_mov_b32_e32 v9, 0x260
	v_cmp_class_f32_e32 vcc, v7, v9
	s_nop 1
	v_cndmask_b32_e32 v7, v8, v7, vcc
	v_mul_f32_e32 v7, v2, v7
.LBB45_102:
	s_cbranch_execz .LBB45_104
	s_branch .LBB45_105
.LBB45_103:
                                        ; implicit-def: $vgpr7
.LBB45_104:
	v_div_scale_f32 v7, s[2:3], v0, v0, v2
	v_rcp_f32_e32 v8, v7
	v_div_scale_f32 v9, vcc, v2, v0, v2
	s_mov_b32 s2, 0xf800000
	v_fma_f32 v10, -v7, v8, 1.0
	v_fmac_f32_e32 v8, v10, v8
	v_mul_f32_e32 v10, v9, v8
	v_fma_f32 v11, -v7, v10, v9
	v_fmac_f32_e32 v10, v11, v8
	v_fma_f32 v7, -v7, v10, v9
	v_div_fmas_f32 v7, v7, v8, v10
	v_div_fixup_f32 v2, v7, v0, v2
	v_fma_f32 v2, v2, v2, 1.0
	v_mul_f32_e32 v7, 0x4f800000, v2
	v_cmp_gt_f32_e32 vcc, s2, v2
	s_nop 1
	v_cndmask_b32_e32 v2, v2, v7, vcc
	v_sqrt_f32_e32 v7, v2
	s_nop 0
	v_add_u32_e32 v8, -1, v7
	v_fma_f32 v9, -v8, v7, v2
	v_cmp_ge_f32_e64 s[2:3], 0, v9
	v_add_u32_e32 v9, 1, v7
	s_nop 0
	v_cndmask_b32_e64 v8, v7, v8, s[2:3]
	v_fma_f32 v7, -v9, v7, v2
	v_cmp_lt_f32_e64 s[2:3], 0, v7
	s_nop 1
	v_cndmask_b32_e64 v7, v8, v9, s[2:3]
	v_mul_f32_e32 v8, 0x37800000, v7
	v_cndmask_b32_e32 v7, v7, v8, vcc
	v_mov_b32_e32 v8, 0x260
	v_cmp_class_f32_e32 vcc, v2, v8
	s_nop 1
	v_cndmask_b32_e32 v2, v7, v2, vcc
	v_mul_f32_e32 v7, v0, v2
.LBB45_105:
	s_mov_b32 s2, 0xf800000
	v_mul_f32_e32 v0, 0x4f800000, v7
	v_cmp_gt_f32_e32 vcc, s2, v7
	v_mov_b32_e32 v9, 0
	s_nop 0
	v_cndmask_b32_e32 v0, v7, v0, vcc
	v_sqrt_f32_e32 v2, v0
	s_nop 0
	v_add_u32_e32 v7, -1, v2
	v_fma_f32 v8, -v7, v2, v0
	v_cmp_ge_f32_e64 s[2:3], 0, v8
	v_add_u32_e32 v8, 1, v2
	s_nop 0
	v_cndmask_b32_e64 v7, v2, v7, s[2:3]
	v_fma_f32 v2, -v8, v2, v0
	v_cmp_lt_f32_e64 s[2:3], 0, v2
	s_nop 1
	v_cndmask_b32_e64 v2, v7, v8, s[2:3]
	v_mul_f32_e32 v7, 0x37800000, v2
	v_cndmask_b32_e32 v2, v2, v7, vcc
	v_mov_b32_e32 v7, 0x260
	v_cmp_class_f32_e32 vcc, v0, v7
	s_nop 1
	v_cndmask_b32_e32 v8, v2, v0, vcc
	ds_write_b64 v9, v[8:9] offset:800
.LBB45_106:
	s_or_b64 exec, exec, s[4:5]
	v_mov_b32_e32 v0, 0
	s_waitcnt lgkmcnt(0)
	ds_read_b64 v[8:9], v0 offset:800
	s_waitcnt lgkmcnt(0)
	v_cmp_neq_f32_e32 vcc, 0, v8
	v_cmp_neq_f32_e64 s[2:3], 0, v9
	s_or_b64 vcc, vcc, s[2:3]
	v_cndmask_b32_e32 v0, 1.0, v8, vcc
	s_nor_b64 s[4:5], vcc, s[0:1]
	v_cndmask_b32_e32 v2, 0, v9, vcc
	s_and_saveexec_b64 s[2:3], s[4:5]
	s_cbranch_execz .LBB45_110
; %bb.107:
	v_mbcnt_lo_u32_b32 v0, exec_lo, 0
	v_mbcnt_hi_u32_b32 v0, exec_hi, v0
	v_cmp_eq_u32_e32 vcc, 0, v0
	s_and_saveexec_b64 s[4:5], vcc
	s_cbranch_execz .LBB45_109
; %bb.108:
	v_mov_b32_e32 v0, 0
	v_mov_b32_e32 v2, s20
	global_atomic_smin v0, v2, s[10:11]
.LBB45_109:
	s_or_b64 exec, exec, s[4:5]
	v_mov_b32_e32 v2, 0
	v_mov_b32_e32 v0, 1.0
.LBB45_110:
	s_or_b64 exec, exec, s[2:3]
	v_cmp_lt_u32_e32 vcc, 2, v13
	s_and_saveexec_b64 s[2:3], vcc
	s_cbranch_execz .LBB45_112
; %bb.111:
	v_mul_f32_e32 v7, v2, v2
	v_fmac_f32_e32 v7, v0, v0
	v_div_scale_f32 v17, s[4:5], v7, v7, 1.0
	v_rcp_f32_e32 v18, v17
	v_div_scale_f32 v19, vcc, 1.0, v7, 1.0
	v_fma_f32 v8, -v17, v18, 1.0
	v_fmac_f32_e32 v18, v8, v18
	v_mul_f32_e32 v20, v19, v18
	v_fma_f32 v8, -v17, v20, v19
	v_fmac_f32_e32 v20, v8, v18
	ds_read_b64 v[8:9], v4 offset:16
	ds_read_b64 v[10:11], v16 offset:16
	v_fma_f32 v17, -v17, v20, v19
	v_div_fmas_f32 v17, v17, v18, v20
	v_div_fixup_f32 v18, v17, v7, 1.0
	s_waitcnt lgkmcnt(0)
	v_pk_add_f32 v[8:9], v[8:9], v[10:11] op_sel:[1,1] op_sel_hi:[0,0] neg_lo:[0,1] neg_hi:[0,1]
	v_xor_b32_e32 v10, 0x80000000, v9
	v_mov_b32_e32 v11, v8
	v_pk_mul_f32 v[10:11], v[2:3], v[10:11] op_sel_hi:[0,1]
	v_pk_fma_f32 v[8:9], v[8:9], v[0:1], v[10:11] op_sel_hi:[1,0,1]
	s_nop 0
	v_pk_mul_f32 v[8:9], v[18:19], v[8:9] op_sel_hi:[0,1]
	v_pk_mov_b32 v[10:11], v[8:9], v[8:9] op_sel:[1,0]
	ds_write_b64 v4, v[10:11] offset:16
	s_waitcnt lgkmcnt(0)
	ds_read_b64 v[10:11], v6 offset:16
	ds_read_b64 v[18:19], v15
	s_waitcnt lgkmcnt(0)
	v_pk_fma_f32 v[18:19], v[8:9], v[10:11], v[18:19] op_sel:[1,0,0] op_sel_hi:[0,0,1]
	v_pk_fma_f32 v[8:9], v[8:9], v[10:11], v[18:19] op_sel:[0,1,0] neg_hi:[0,1,0]
	ds_write_b64 v15, v[8:9]
.LBB45_112:
	s_or_b64 exec, exec, s[2:3]
	v_cmp_eq_u32_e32 vcc, 3, v13
	s_waitcnt lgkmcnt(0)
	s_and_saveexec_b64 s[4:5], vcc
	s_cbranch_execz .LBB45_120
; %bb.113:
	v_mov_b32_e32 v7, 0
	ds_read2_b64 v[8:11], v7 offset0:108 offset1:150
	s_waitcnt lgkmcnt(0)
	v_sub_f32_e32 v0, v8, v10
	v_sub_f32_e32 v8, v9, v11
	v_cmp_gt_f32_e32 vcc, 0, v0
	s_nop 1
	v_cndmask_b32_e64 v0, v0, -v0, vcc
	v_cmp_gt_f32_e32 vcc, 0, v8
	s_nop 1
	v_cndmask_b32_e64 v2, v8, -v8, vcc
	v_cmp_gt_f32_e32 vcc, v0, v2
	s_cbranch_vccnz .LBB45_117
; %bb.114:
	v_cmp_eq_f32_e32 vcc, 0, v8
	s_cbranch_vccnz .LBB45_116
; %bb.115:
	v_div_scale_f32 v7, s[2:3], v2, v2, v0
	v_rcp_f32_e32 v8, v7
	v_div_scale_f32 v9, vcc, v0, v2, v0
	s_mov_b32 s2, 0xf800000
	v_fma_f32 v10, -v7, v8, 1.0
	v_fmac_f32_e32 v8, v10, v8
	v_mul_f32_e32 v10, v9, v8
	v_fma_f32 v11, -v7, v10, v9
	v_fmac_f32_e32 v10, v11, v8
	v_fma_f32 v7, -v7, v10, v9
	v_div_fmas_f32 v7, v7, v8, v10
	v_div_fixup_f32 v7, v7, v2, v0
	v_fma_f32 v7, v7, v7, 1.0
	v_mul_f32_e32 v8, 0x4f800000, v7
	v_cmp_gt_f32_e32 vcc, s2, v7
	s_nop 1
	v_cndmask_b32_e32 v7, v7, v8, vcc
	v_sqrt_f32_e32 v8, v7
	s_nop 0
	v_add_u32_e32 v9, -1, v8
	v_fma_f32 v10, -v9, v8, v7
	v_cmp_ge_f32_e64 s[2:3], 0, v10
	v_add_u32_e32 v10, 1, v8
	s_nop 0
	v_cndmask_b32_e64 v9, v8, v9, s[2:3]
	v_fma_f32 v8, -v10, v8, v7
	v_cmp_lt_f32_e64 s[2:3], 0, v8
	s_nop 1
	v_cndmask_b32_e64 v8, v9, v10, s[2:3]
	v_mul_f32_e32 v9, 0x37800000, v8
	v_cndmask_b32_e32 v8, v8, v9, vcc
	v_mov_b32_e32 v9, 0x260
	v_cmp_class_f32_e32 vcc, v7, v9
	s_nop 1
	v_cndmask_b32_e32 v7, v8, v7, vcc
	v_mul_f32_e32 v7, v2, v7
.LBB45_116:
	s_cbranch_execz .LBB45_118
	s_branch .LBB45_119
.LBB45_117:
                                        ; implicit-def: $vgpr7
.LBB45_118:
	v_div_scale_f32 v7, s[2:3], v0, v0, v2
	v_rcp_f32_e32 v8, v7
	v_div_scale_f32 v9, vcc, v2, v0, v2
	s_mov_b32 s2, 0xf800000
	v_fma_f32 v10, -v7, v8, 1.0
	v_fmac_f32_e32 v8, v10, v8
	v_mul_f32_e32 v10, v9, v8
	v_fma_f32 v11, -v7, v10, v9
	v_fmac_f32_e32 v10, v11, v8
	v_fma_f32 v7, -v7, v10, v9
	v_div_fmas_f32 v7, v7, v8, v10
	v_div_fixup_f32 v2, v7, v0, v2
	v_fma_f32 v2, v2, v2, 1.0
	v_mul_f32_e32 v7, 0x4f800000, v2
	v_cmp_gt_f32_e32 vcc, s2, v2
	s_nop 1
	v_cndmask_b32_e32 v2, v2, v7, vcc
	v_sqrt_f32_e32 v7, v2
	s_nop 0
	v_add_u32_e32 v8, -1, v7
	v_fma_f32 v9, -v8, v7, v2
	v_cmp_ge_f32_e64 s[2:3], 0, v9
	v_add_u32_e32 v9, 1, v7
	s_nop 0
	v_cndmask_b32_e64 v8, v7, v8, s[2:3]
	v_fma_f32 v7, -v9, v7, v2
	v_cmp_lt_f32_e64 s[2:3], 0, v7
	s_nop 1
	v_cndmask_b32_e64 v7, v8, v9, s[2:3]
	v_mul_f32_e32 v8, 0x37800000, v7
	v_cndmask_b32_e32 v7, v7, v8, vcc
	v_mov_b32_e32 v8, 0x260
	v_cmp_class_f32_e32 vcc, v2, v8
	s_nop 1
	v_cndmask_b32_e32 v2, v7, v2, vcc
	v_mul_f32_e32 v7, v0, v2
.LBB45_119:
	s_mov_b32 s2, 0xf800000
	v_mul_f32_e32 v0, 0x4f800000, v7
	v_cmp_gt_f32_e32 vcc, s2, v7
	v_mov_b32_e32 v9, 0
	s_nop 0
	v_cndmask_b32_e32 v0, v7, v0, vcc
	v_sqrt_f32_e32 v2, v0
	s_nop 0
	v_add_u32_e32 v7, -1, v2
	v_fma_f32 v8, -v7, v2, v0
	v_cmp_ge_f32_e64 s[2:3], 0, v8
	v_add_u32_e32 v8, 1, v2
	s_nop 0
	v_cndmask_b32_e64 v7, v2, v7, s[2:3]
	v_fma_f32 v2, -v8, v2, v0
	v_cmp_lt_f32_e64 s[2:3], 0, v2
	s_nop 1
	v_cndmask_b32_e64 v2, v7, v8, s[2:3]
	v_mul_f32_e32 v7, 0x37800000, v2
	v_cndmask_b32_e32 v2, v2, v7, vcc
	v_mov_b32_e32 v7, 0x260
	v_cmp_class_f32_e32 vcc, v0, v7
	s_nop 1
	v_cndmask_b32_e32 v8, v2, v0, vcc
	ds_write_b64 v9, v[8:9] offset:864
.LBB45_120:
	s_or_b64 exec, exec, s[4:5]
	v_mov_b32_e32 v0, 0
	s_waitcnt lgkmcnt(0)
	ds_read_b64 v[8:9], v0 offset:864
	s_waitcnt lgkmcnt(0)
	v_cmp_neq_f32_e32 vcc, 0, v8
	v_cmp_neq_f32_e64 s[2:3], 0, v9
	s_or_b64 vcc, vcc, s[2:3]
	v_cndmask_b32_e32 v0, 1.0, v8, vcc
	s_nor_b64 s[4:5], vcc, s[0:1]
	v_cndmask_b32_e32 v2, 0, v9, vcc
	s_and_saveexec_b64 s[2:3], s[4:5]
	s_cbranch_execz .LBB45_124
; %bb.121:
	v_mbcnt_lo_u32_b32 v0, exec_lo, 0
	v_mbcnt_hi_u32_b32 v0, exec_hi, v0
	v_cmp_eq_u32_e32 vcc, 0, v0
	s_and_saveexec_b64 s[4:5], vcc
	s_cbranch_execz .LBB45_123
; %bb.122:
	v_mov_b32_e32 v0, 0
	v_mov_b32_e32 v2, s20
	global_atomic_smin v0, v2, s[10:11]
.LBB45_123:
	s_or_b64 exec, exec, s[4:5]
	v_mov_b32_e32 v2, 0
	v_mov_b32_e32 v0, 1.0
.LBB45_124:
	s_or_b64 exec, exec, s[2:3]
	v_cmp_lt_u32_e32 vcc, 3, v13
	s_and_saveexec_b64 s[2:3], vcc
	s_cbranch_execz .LBB45_126
; %bb.125:
	v_mul_f32_e32 v7, v2, v2
	v_fmac_f32_e32 v7, v0, v0
	v_div_scale_f32 v17, s[4:5], v7, v7, 1.0
	v_rcp_f32_e32 v18, v17
	v_div_scale_f32 v19, vcc, 1.0, v7, 1.0
	v_fma_f32 v8, -v17, v18, 1.0
	v_fmac_f32_e32 v18, v8, v18
	v_mul_f32_e32 v20, v19, v18
	v_fma_f32 v8, -v17, v20, v19
	v_fmac_f32_e32 v20, v8, v18
	ds_read_b64 v[8:9], v4 offset:24
	ds_read_b64 v[10:11], v16 offset:24
	v_fma_f32 v17, -v17, v20, v19
	v_div_fmas_f32 v17, v17, v18, v20
	v_div_fixup_f32 v18, v17, v7, 1.0
	s_waitcnt lgkmcnt(0)
	v_pk_add_f32 v[8:9], v[8:9], v[10:11] op_sel:[1,1] op_sel_hi:[0,0] neg_lo:[0,1] neg_hi:[0,1]
	v_xor_b32_e32 v10, 0x80000000, v9
	v_mov_b32_e32 v11, v8
	v_pk_mul_f32 v[10:11], v[2:3], v[10:11] op_sel_hi:[0,1]
	v_pk_fma_f32 v[8:9], v[8:9], v[0:1], v[10:11] op_sel_hi:[1,0,1]
	s_nop 0
	v_pk_mul_f32 v[8:9], v[18:19], v[8:9] op_sel_hi:[0,1]
	v_pk_mov_b32 v[10:11], v[8:9], v[8:9] op_sel:[1,0]
	ds_write_b64 v4, v[10:11] offset:24
	s_waitcnt lgkmcnt(0)
	ds_read_b64 v[10:11], v6 offset:24
	ds_read_b64 v[18:19], v15
	s_waitcnt lgkmcnt(0)
	v_pk_fma_f32 v[18:19], v[8:9], v[10:11], v[18:19] op_sel:[1,0,0] op_sel_hi:[0,0,1]
	v_pk_fma_f32 v[8:9], v[8:9], v[10:11], v[18:19] op_sel:[0,1,0] neg_hi:[0,1,0]
	ds_write_b64 v15, v[8:9]
.LBB45_126:
	s_or_b64 exec, exec, s[2:3]
	v_cmp_eq_u32_e32 vcc, 4, v13
	s_waitcnt lgkmcnt(0)
	s_and_saveexec_b64 s[4:5], vcc
	s_cbranch_execz .LBB45_134
; %bb.127:
	v_mov_b32_e32 v7, 0
	ds_read2_b64 v[8:11], v7 offset0:116 offset1:158
	s_waitcnt lgkmcnt(0)
	v_sub_f32_e32 v0, v8, v10
	v_sub_f32_e32 v8, v9, v11
	v_cmp_gt_f32_e32 vcc, 0, v0
	s_nop 1
	v_cndmask_b32_e64 v0, v0, -v0, vcc
	v_cmp_gt_f32_e32 vcc, 0, v8
	s_nop 1
	v_cndmask_b32_e64 v2, v8, -v8, vcc
	v_cmp_gt_f32_e32 vcc, v0, v2
	s_cbranch_vccnz .LBB45_131
; %bb.128:
	v_cmp_eq_f32_e32 vcc, 0, v8
	s_cbranch_vccnz .LBB45_130
; %bb.129:
	v_div_scale_f32 v7, s[2:3], v2, v2, v0
	v_rcp_f32_e32 v8, v7
	v_div_scale_f32 v9, vcc, v0, v2, v0
	s_mov_b32 s2, 0xf800000
	v_fma_f32 v10, -v7, v8, 1.0
	v_fmac_f32_e32 v8, v10, v8
	v_mul_f32_e32 v10, v9, v8
	v_fma_f32 v11, -v7, v10, v9
	v_fmac_f32_e32 v10, v11, v8
	v_fma_f32 v7, -v7, v10, v9
	v_div_fmas_f32 v7, v7, v8, v10
	v_div_fixup_f32 v7, v7, v2, v0
	v_fma_f32 v7, v7, v7, 1.0
	v_mul_f32_e32 v8, 0x4f800000, v7
	v_cmp_gt_f32_e32 vcc, s2, v7
	s_nop 1
	v_cndmask_b32_e32 v7, v7, v8, vcc
	v_sqrt_f32_e32 v8, v7
	s_nop 0
	v_add_u32_e32 v9, -1, v8
	v_fma_f32 v10, -v9, v8, v7
	v_cmp_ge_f32_e64 s[2:3], 0, v10
	v_add_u32_e32 v10, 1, v8
	s_nop 0
	v_cndmask_b32_e64 v9, v8, v9, s[2:3]
	v_fma_f32 v8, -v10, v8, v7
	v_cmp_lt_f32_e64 s[2:3], 0, v8
	s_nop 1
	v_cndmask_b32_e64 v8, v9, v10, s[2:3]
	v_mul_f32_e32 v9, 0x37800000, v8
	v_cndmask_b32_e32 v8, v8, v9, vcc
	v_mov_b32_e32 v9, 0x260
	v_cmp_class_f32_e32 vcc, v7, v9
	s_nop 1
	v_cndmask_b32_e32 v7, v8, v7, vcc
	v_mul_f32_e32 v7, v2, v7
.LBB45_130:
	s_cbranch_execz .LBB45_132
	s_branch .LBB45_133
.LBB45_131:
                                        ; implicit-def: $vgpr7
.LBB45_132:
	v_div_scale_f32 v7, s[2:3], v0, v0, v2
	v_rcp_f32_e32 v8, v7
	v_div_scale_f32 v9, vcc, v2, v0, v2
	s_mov_b32 s2, 0xf800000
	v_fma_f32 v10, -v7, v8, 1.0
	v_fmac_f32_e32 v8, v10, v8
	v_mul_f32_e32 v10, v9, v8
	v_fma_f32 v11, -v7, v10, v9
	v_fmac_f32_e32 v10, v11, v8
	v_fma_f32 v7, -v7, v10, v9
	v_div_fmas_f32 v7, v7, v8, v10
	v_div_fixup_f32 v2, v7, v0, v2
	v_fma_f32 v2, v2, v2, 1.0
	v_mul_f32_e32 v7, 0x4f800000, v2
	v_cmp_gt_f32_e32 vcc, s2, v2
	s_nop 1
	v_cndmask_b32_e32 v2, v2, v7, vcc
	v_sqrt_f32_e32 v7, v2
	s_nop 0
	v_add_u32_e32 v8, -1, v7
	v_fma_f32 v9, -v8, v7, v2
	v_cmp_ge_f32_e64 s[2:3], 0, v9
	v_add_u32_e32 v9, 1, v7
	s_nop 0
	v_cndmask_b32_e64 v8, v7, v8, s[2:3]
	v_fma_f32 v7, -v9, v7, v2
	v_cmp_lt_f32_e64 s[2:3], 0, v7
	s_nop 1
	v_cndmask_b32_e64 v7, v8, v9, s[2:3]
	v_mul_f32_e32 v8, 0x37800000, v7
	v_cndmask_b32_e32 v7, v7, v8, vcc
	v_mov_b32_e32 v8, 0x260
	v_cmp_class_f32_e32 vcc, v2, v8
	s_nop 1
	v_cndmask_b32_e32 v2, v7, v2, vcc
	v_mul_f32_e32 v7, v0, v2
.LBB45_133:
	s_mov_b32 s2, 0xf800000
	v_mul_f32_e32 v0, 0x4f800000, v7
	v_cmp_gt_f32_e32 vcc, s2, v7
	v_mov_b32_e32 v9, 0
	s_nop 0
	v_cndmask_b32_e32 v0, v7, v0, vcc
	v_sqrt_f32_e32 v2, v0
	s_nop 0
	v_add_u32_e32 v7, -1, v2
	v_fma_f32 v8, -v7, v2, v0
	v_cmp_ge_f32_e64 s[2:3], 0, v8
	v_add_u32_e32 v8, 1, v2
	s_nop 0
	v_cndmask_b32_e64 v7, v2, v7, s[2:3]
	v_fma_f32 v2, -v8, v2, v0
	v_cmp_lt_f32_e64 s[2:3], 0, v2
	s_nop 1
	v_cndmask_b32_e64 v2, v7, v8, s[2:3]
	v_mul_f32_e32 v7, 0x37800000, v2
	v_cndmask_b32_e32 v2, v2, v7, vcc
	v_mov_b32_e32 v7, 0x260
	v_cmp_class_f32_e32 vcc, v0, v7
	s_nop 1
	v_cndmask_b32_e32 v8, v2, v0, vcc
	ds_write_b64 v9, v[8:9] offset:928
.LBB45_134:
	s_or_b64 exec, exec, s[4:5]
	v_mov_b32_e32 v0, 0
	s_waitcnt lgkmcnt(0)
	ds_read_b64 v[8:9], v0 offset:928
	s_waitcnt lgkmcnt(0)
	v_cmp_neq_f32_e32 vcc, 0, v8
	v_cmp_neq_f32_e64 s[2:3], 0, v9
	s_or_b64 vcc, vcc, s[2:3]
	v_cndmask_b32_e32 v0, 1.0, v8, vcc
	s_nor_b64 s[4:5], vcc, s[0:1]
	v_cndmask_b32_e32 v2, 0, v9, vcc
	s_and_saveexec_b64 s[2:3], s[4:5]
	s_cbranch_execz .LBB45_138
; %bb.135:
	v_mbcnt_lo_u32_b32 v0, exec_lo, 0
	v_mbcnt_hi_u32_b32 v0, exec_hi, v0
	v_cmp_eq_u32_e32 vcc, 0, v0
	s_and_saveexec_b64 s[4:5], vcc
	s_cbranch_execz .LBB45_137
; %bb.136:
	v_mov_b32_e32 v0, 0
	v_mov_b32_e32 v2, s20
	global_atomic_smin v0, v2, s[10:11]
.LBB45_137:
	s_or_b64 exec, exec, s[4:5]
	v_mov_b32_e32 v2, 0
	v_mov_b32_e32 v0, 1.0
.LBB45_138:
	s_or_b64 exec, exec, s[2:3]
	v_cmp_lt_u32_e32 vcc, 4, v13
	s_and_saveexec_b64 s[2:3], vcc
	s_cbranch_execz .LBB45_140
; %bb.139:
	v_mul_f32_e32 v7, v2, v2
	v_fmac_f32_e32 v7, v0, v0
	v_div_scale_f32 v17, s[4:5], v7, v7, 1.0
	v_rcp_f32_e32 v18, v17
	v_div_scale_f32 v19, vcc, 1.0, v7, 1.0
	v_fma_f32 v8, -v17, v18, 1.0
	v_fmac_f32_e32 v18, v8, v18
	v_mul_f32_e32 v20, v19, v18
	v_fma_f32 v8, -v17, v20, v19
	v_fmac_f32_e32 v20, v8, v18
	ds_read_b64 v[8:9], v4 offset:32
	ds_read_b64 v[10:11], v16 offset:32
	v_fma_f32 v17, -v17, v20, v19
	v_div_fmas_f32 v17, v17, v18, v20
	v_div_fixup_f32 v18, v17, v7, 1.0
	s_waitcnt lgkmcnt(0)
	v_pk_add_f32 v[8:9], v[8:9], v[10:11] op_sel:[1,1] op_sel_hi:[0,0] neg_lo:[0,1] neg_hi:[0,1]
	v_xor_b32_e32 v10, 0x80000000, v9
	v_mov_b32_e32 v11, v8
	v_pk_mul_f32 v[10:11], v[2:3], v[10:11] op_sel_hi:[0,1]
	v_pk_fma_f32 v[8:9], v[8:9], v[0:1], v[10:11] op_sel_hi:[1,0,1]
	s_nop 0
	v_pk_mul_f32 v[8:9], v[18:19], v[8:9] op_sel_hi:[0,1]
	v_pk_mov_b32 v[10:11], v[8:9], v[8:9] op_sel:[1,0]
	ds_write_b64 v4, v[10:11] offset:32
	s_waitcnt lgkmcnt(0)
	ds_read_b64 v[10:11], v6 offset:32
	ds_read_b64 v[18:19], v15
	s_waitcnt lgkmcnt(0)
	v_pk_fma_f32 v[18:19], v[8:9], v[10:11], v[18:19] op_sel:[1,0,0] op_sel_hi:[0,0,1]
	v_pk_fma_f32 v[8:9], v[8:9], v[10:11], v[18:19] op_sel:[0,1,0] neg_hi:[0,1,0]
	ds_write_b64 v15, v[8:9]
.LBB45_140:
	s_or_b64 exec, exec, s[2:3]
	v_cmp_eq_u32_e32 vcc, 5, v13
	s_waitcnt lgkmcnt(0)
	s_and_saveexec_b64 s[4:5], vcc
	s_cbranch_execz .LBB45_148
; %bb.141:
	v_mov_b32_e32 v7, 0
	ds_read2_b64 v[8:11], v7 offset0:124 offset1:166
	s_waitcnt lgkmcnt(0)
	v_sub_f32_e32 v0, v8, v10
	v_sub_f32_e32 v8, v9, v11
	v_cmp_gt_f32_e32 vcc, 0, v0
	s_nop 1
	v_cndmask_b32_e64 v0, v0, -v0, vcc
	v_cmp_gt_f32_e32 vcc, 0, v8
	s_nop 1
	v_cndmask_b32_e64 v2, v8, -v8, vcc
	v_cmp_gt_f32_e32 vcc, v0, v2
	s_cbranch_vccnz .LBB45_145
; %bb.142:
	v_cmp_eq_f32_e32 vcc, 0, v8
	s_cbranch_vccnz .LBB45_144
; %bb.143:
	v_div_scale_f32 v7, s[2:3], v2, v2, v0
	v_rcp_f32_e32 v8, v7
	v_div_scale_f32 v9, vcc, v0, v2, v0
	s_mov_b32 s2, 0xf800000
	v_fma_f32 v10, -v7, v8, 1.0
	v_fmac_f32_e32 v8, v10, v8
	v_mul_f32_e32 v10, v9, v8
	v_fma_f32 v11, -v7, v10, v9
	v_fmac_f32_e32 v10, v11, v8
	v_fma_f32 v7, -v7, v10, v9
	v_div_fmas_f32 v7, v7, v8, v10
	v_div_fixup_f32 v7, v7, v2, v0
	v_fma_f32 v7, v7, v7, 1.0
	v_mul_f32_e32 v8, 0x4f800000, v7
	v_cmp_gt_f32_e32 vcc, s2, v7
	s_nop 1
	v_cndmask_b32_e32 v7, v7, v8, vcc
	v_sqrt_f32_e32 v8, v7
	s_nop 0
	v_add_u32_e32 v9, -1, v8
	v_fma_f32 v10, -v9, v8, v7
	v_cmp_ge_f32_e64 s[2:3], 0, v10
	v_add_u32_e32 v10, 1, v8
	s_nop 0
	v_cndmask_b32_e64 v9, v8, v9, s[2:3]
	v_fma_f32 v8, -v10, v8, v7
	v_cmp_lt_f32_e64 s[2:3], 0, v8
	s_nop 1
	v_cndmask_b32_e64 v8, v9, v10, s[2:3]
	v_mul_f32_e32 v9, 0x37800000, v8
	v_cndmask_b32_e32 v8, v8, v9, vcc
	v_mov_b32_e32 v9, 0x260
	v_cmp_class_f32_e32 vcc, v7, v9
	s_nop 1
	v_cndmask_b32_e32 v7, v8, v7, vcc
	v_mul_f32_e32 v7, v2, v7
.LBB45_144:
	s_cbranch_execz .LBB45_146
	s_branch .LBB45_147
.LBB45_145:
                                        ; implicit-def: $vgpr7
.LBB45_146:
	v_div_scale_f32 v7, s[2:3], v0, v0, v2
	v_rcp_f32_e32 v8, v7
	v_div_scale_f32 v9, vcc, v2, v0, v2
	s_mov_b32 s2, 0xf800000
	v_fma_f32 v10, -v7, v8, 1.0
	v_fmac_f32_e32 v8, v10, v8
	v_mul_f32_e32 v10, v9, v8
	v_fma_f32 v11, -v7, v10, v9
	v_fmac_f32_e32 v10, v11, v8
	v_fma_f32 v7, -v7, v10, v9
	v_div_fmas_f32 v7, v7, v8, v10
	v_div_fixup_f32 v2, v7, v0, v2
	v_fma_f32 v2, v2, v2, 1.0
	v_mul_f32_e32 v7, 0x4f800000, v2
	v_cmp_gt_f32_e32 vcc, s2, v2
	s_nop 1
	v_cndmask_b32_e32 v2, v2, v7, vcc
	v_sqrt_f32_e32 v7, v2
	s_nop 0
	v_add_u32_e32 v8, -1, v7
	v_fma_f32 v9, -v8, v7, v2
	v_cmp_ge_f32_e64 s[2:3], 0, v9
	v_add_u32_e32 v9, 1, v7
	s_nop 0
	v_cndmask_b32_e64 v8, v7, v8, s[2:3]
	v_fma_f32 v7, -v9, v7, v2
	v_cmp_lt_f32_e64 s[2:3], 0, v7
	s_nop 1
	v_cndmask_b32_e64 v7, v8, v9, s[2:3]
	v_mul_f32_e32 v8, 0x37800000, v7
	v_cndmask_b32_e32 v7, v7, v8, vcc
	v_mov_b32_e32 v8, 0x260
	v_cmp_class_f32_e32 vcc, v2, v8
	s_nop 1
	v_cndmask_b32_e32 v2, v7, v2, vcc
	v_mul_f32_e32 v7, v0, v2
.LBB45_147:
	s_mov_b32 s2, 0xf800000
	v_mul_f32_e32 v0, 0x4f800000, v7
	v_cmp_gt_f32_e32 vcc, s2, v7
	v_mov_b32_e32 v9, 0
	s_nop 0
	v_cndmask_b32_e32 v0, v7, v0, vcc
	v_sqrt_f32_e32 v2, v0
	s_nop 0
	v_add_u32_e32 v7, -1, v2
	v_fma_f32 v8, -v7, v2, v0
	v_cmp_ge_f32_e64 s[2:3], 0, v8
	v_add_u32_e32 v8, 1, v2
	s_nop 0
	v_cndmask_b32_e64 v7, v2, v7, s[2:3]
	v_fma_f32 v2, -v8, v2, v0
	v_cmp_lt_f32_e64 s[2:3], 0, v2
	s_nop 1
	v_cndmask_b32_e64 v2, v7, v8, s[2:3]
	v_mul_f32_e32 v7, 0x37800000, v2
	v_cndmask_b32_e32 v2, v2, v7, vcc
	v_mov_b32_e32 v7, 0x260
	v_cmp_class_f32_e32 vcc, v0, v7
	s_nop 1
	v_cndmask_b32_e32 v8, v2, v0, vcc
	ds_write_b64 v9, v[8:9] offset:992
.LBB45_148:
	s_or_b64 exec, exec, s[4:5]
	v_mov_b32_e32 v0, 0
	s_waitcnt lgkmcnt(0)
	ds_read_b64 v[8:9], v0 offset:992
	s_waitcnt lgkmcnt(0)
	v_cmp_neq_f32_e32 vcc, 0, v8
	v_cmp_neq_f32_e64 s[2:3], 0, v9
	s_or_b64 vcc, vcc, s[2:3]
	v_cndmask_b32_e32 v0, 1.0, v8, vcc
	s_nor_b64 s[2:3], vcc, s[0:1]
	v_cndmask_b32_e32 v2, 0, v9, vcc
	s_and_saveexec_b64 s[0:1], s[2:3]
	s_cbranch_execz .LBB45_161
; %bb.149:
	v_mbcnt_lo_u32_b32 v0, exec_lo, 0
	v_mbcnt_hi_u32_b32 v0, exec_hi, v0
	v_cmp_eq_u32_e32 vcc, 0, v0
	s_and_saveexec_b64 s[2:3], vcc
	s_cbranch_execz .LBB45_151
; %bb.150:
	v_mov_b32_e32 v0, 0
	v_mov_b32_e32 v2, s20
	global_atomic_smin v0, v2, s[10:11]
.LBB45_151:
	s_or_b64 exec, exec, s[2:3]
	v_mov_b32_e32 v2, 0
	v_mov_b32_e32 v0, 1.0
	s_or_b64 exec, exec, s[0:1]
	v_cmp_lt_u32_e32 vcc, 5, v13
	s_and_saveexec_b64 s[0:1], vcc
	s_cbranch_execnz .LBB45_162
.LBB45_152:
	s_or_b64 exec, exec, s[0:1]
	s_andn2_b64 vcc, exec, s[12:13]
	s_cbranch_vccnz .LBB45_154
.LBB45_153:
	v_mov_b32_e32 v14, v3
.LBB45_154:
	ds_read_b64 v[0:1], v1
	v_add_u32_e32 v2, s30, v14
	v_ashrrev_i32_e32 v3, 31, v2
	v_lshl_add_u64 v[2:3], v[2:3], 3, s[18:19]
	v_cmp_eq_u32_e32 vcc, 0, v5
	s_waitcnt lgkmcnt(0)
	global_store_dwordx2 v[2:3], v[0:1], off
	s_and_saveexec_b64 s[0:1], vcc
	s_cbranch_execz .LBB45_156
; %bb.155:
	s_add_u32 s2, s6, s8
	s_addc_u32 s3, s7, s9
	v_mov_b32_e32 v0, 0
	v_mov_b32_e32 v1, 1
	buffer_wbl2 sc1
	s_waitcnt vmcnt(0)
	global_store_dword v0, v1, s[2:3] sc1
.LBB45_156:
	s_or_b64 exec, exec, s[0:1]
	s_branch .LBB45_74
.LBB45_157:
	v_or_b32_e32 v0, v12, v13
	v_cmp_eq_u32_e32 vcc, 0, v0
	s_and_saveexec_b64 s[0:1], vcc
	s_cbranch_execz .LBB45_74
; %bb.158:
	v_mbcnt_lo_u32_b32 v0, exec_lo, 0
	v_mbcnt_hi_u32_b32 v0, exec_hi, v0
	v_cmp_eq_u32_e32 vcc, 0, v0
	s_and_saveexec_b64 s[0:1], vcc
	s_cbranch_execz .LBB45_160
; %bb.159:
	s_add_i32 s2, s16, s17
	v_mov_b32_e32 v0, 0
	v_mov_b32_e32 v1, s2
	global_atomic_smin v0, v1, s[10:11]
.LBB45_160:
	s_or_b64 exec, exec, s[0:1]
	s_add_u32 s0, s6, s8
	s_addc_u32 s1, s7, s9
	v_mov_b32_e32 v0, 0
	v_mov_b32_e32 v1, 1
	buffer_wbl2 sc1
	s_waitcnt vmcnt(0)
	global_store_dword v0, v1, s[0:1] sc1
	s_endpgm
.LBB45_161:
	s_or_b64 exec, exec, s[0:1]
	v_cmp_lt_u32_e32 vcc, 5, v13
	s_and_saveexec_b64 s[0:1], vcc
	s_cbranch_execz .LBB45_152
.LBB45_162:
	v_mul_f32_e32 v7, v2, v2
	v_fmac_f32_e32 v7, v0, v0
	v_div_scale_f32 v17, s[2:3], v7, v7, 1.0
	v_rcp_f32_e32 v18, v17
	v_div_scale_f32 v19, vcc, 1.0, v7, 1.0
	v_fma_f32 v8, -v17, v18, 1.0
	v_fmac_f32_e32 v18, v8, v18
	v_mul_f32_e32 v20, v19, v18
	v_fma_f32 v8, -v17, v20, v19
	v_fmac_f32_e32 v20, v8, v18
	ds_read_b64 v[8:9], v4 offset:40
	ds_read_b64 v[10:11], v16 offset:40
	v_fma_f32 v16, -v17, v20, v19
	v_div_fmas_f32 v16, v16, v18, v20
	v_div_fixup_f32 v16, v16, v7, 1.0
	s_waitcnt lgkmcnt(0)
	v_pk_add_f32 v[8:9], v[8:9], v[10:11] op_sel:[1,1] op_sel_hi:[0,0] neg_lo:[0,1] neg_hi:[0,1]
	v_xor_b32_e32 v10, 0x80000000, v9
	v_mov_b32_e32 v11, v8
	v_pk_mul_f32 v[10:11], v[2:3], v[10:11] op_sel_hi:[0,1]
	v_pk_fma_f32 v[8:9], v[8:9], v[0:1], v[10:11] op_sel_hi:[1,0,1]
	s_nop 0
	v_pk_mul_f32 v[8:9], v[16:17], v[8:9] op_sel_hi:[0,1]
	v_pk_mov_b32 v[10:11], v[8:9], v[8:9] op_sel:[1,0]
	ds_write_b64 v4, v[10:11] offset:40
	s_waitcnt lgkmcnt(0)
	ds_read_b64 v[6:7], v6 offset:40
	ds_read_b64 v[10:11], v15
	s_waitcnt lgkmcnt(0)
	v_pk_fma_f32 v[10:11], v[8:9], v[6:7], v[10:11] op_sel:[1,0,0] op_sel_hi:[0,0,1]
	v_pk_fma_f32 v[6:7], v[8:9], v[6:7], v[10:11] op_sel:[0,1,0] neg_hi:[0,1,0]
	ds_write_b64 v15, v[6:7]
	s_or_b64 exec, exec, s[0:1]
	s_andn2_b64 vcc, exec, s[12:13]
	s_waitcnt lgkmcnt(0)
	s_cbranch_vccz .LBB45_153
	s_branch .LBB45_154
	.section	.rodata,"a",@progbits
	.p2align	6, 0x0
	.amdhsa_kernel _ZN9rocsparseL26bsric0_2_8_unrolled_kernelILi36ELi32ELi6E21rocsparse_complex_numIfEEEv20rocsparse_direction_iiPKiS5_PT2_S5_PiS5_S8_21rocsparse_index_base_
		.amdhsa_group_segment_fixed_size 1728
		.amdhsa_private_segment_fixed_size 0
		.amdhsa_kernarg_size 76
		.amdhsa_user_sgpr_count 2
		.amdhsa_user_sgpr_dispatch_ptr 0
		.amdhsa_user_sgpr_queue_ptr 0
		.amdhsa_user_sgpr_kernarg_segment_ptr 1
		.amdhsa_user_sgpr_dispatch_id 0
		.amdhsa_user_sgpr_kernarg_preload_length 0
		.amdhsa_user_sgpr_kernarg_preload_offset 0
		.amdhsa_user_sgpr_private_segment_size 0
		.amdhsa_uses_dynamic_stack 0
		.amdhsa_enable_private_segment 0
		.amdhsa_system_sgpr_workgroup_id_x 1
		.amdhsa_system_sgpr_workgroup_id_y 0
		.amdhsa_system_sgpr_workgroup_id_z 0
		.amdhsa_system_sgpr_workgroup_info 0
		.amdhsa_system_vgpr_workitem_id 1
		.amdhsa_next_free_vgpr 68
		.amdhsa_next_free_sgpr 40
		.amdhsa_accum_offset 68
		.amdhsa_reserve_vcc 1
		.amdhsa_float_round_mode_32 0
		.amdhsa_float_round_mode_16_64 0
		.amdhsa_float_denorm_mode_32 3
		.amdhsa_float_denorm_mode_16_64 3
		.amdhsa_dx10_clamp 1
		.amdhsa_ieee_mode 1
		.amdhsa_fp16_overflow 0
		.amdhsa_tg_split 0
		.amdhsa_exception_fp_ieee_invalid_op 0
		.amdhsa_exception_fp_denorm_src 0
		.amdhsa_exception_fp_ieee_div_zero 0
		.amdhsa_exception_fp_ieee_overflow 0
		.amdhsa_exception_fp_ieee_underflow 0
		.amdhsa_exception_fp_ieee_inexact 0
		.amdhsa_exception_int_div_zero 0
	.end_amdhsa_kernel
	.section	.text._ZN9rocsparseL26bsric0_2_8_unrolled_kernelILi36ELi32ELi6E21rocsparse_complex_numIfEEEv20rocsparse_direction_iiPKiS5_PT2_S5_PiS5_S8_21rocsparse_index_base_,"axG",@progbits,_ZN9rocsparseL26bsric0_2_8_unrolled_kernelILi36ELi32ELi6E21rocsparse_complex_numIfEEEv20rocsparse_direction_iiPKiS5_PT2_S5_PiS5_S8_21rocsparse_index_base_,comdat
.Lfunc_end45:
	.size	_ZN9rocsparseL26bsric0_2_8_unrolled_kernelILi36ELi32ELi6E21rocsparse_complex_numIfEEEv20rocsparse_direction_iiPKiS5_PT2_S5_PiS5_S8_21rocsparse_index_base_, .Lfunc_end45-_ZN9rocsparseL26bsric0_2_8_unrolled_kernelILi36ELi32ELi6E21rocsparse_complex_numIfEEEv20rocsparse_direction_iiPKiS5_PT2_S5_PiS5_S8_21rocsparse_index_base_
                                        ; -- End function
	.set _ZN9rocsparseL26bsric0_2_8_unrolled_kernelILi36ELi32ELi6E21rocsparse_complex_numIfEEEv20rocsparse_direction_iiPKiS5_PT2_S5_PiS5_S8_21rocsparse_index_base_.num_vgpr, 68
	.set _ZN9rocsparseL26bsric0_2_8_unrolled_kernelILi36ELi32ELi6E21rocsparse_complex_numIfEEEv20rocsparse_direction_iiPKiS5_PT2_S5_PiS5_S8_21rocsparse_index_base_.num_agpr, 0
	.set _ZN9rocsparseL26bsric0_2_8_unrolled_kernelILi36ELi32ELi6E21rocsparse_complex_numIfEEEv20rocsparse_direction_iiPKiS5_PT2_S5_PiS5_S8_21rocsparse_index_base_.numbered_sgpr, 40
	.set _ZN9rocsparseL26bsric0_2_8_unrolled_kernelILi36ELi32ELi6E21rocsparse_complex_numIfEEEv20rocsparse_direction_iiPKiS5_PT2_S5_PiS5_S8_21rocsparse_index_base_.num_named_barrier, 0
	.set _ZN9rocsparseL26bsric0_2_8_unrolled_kernelILi36ELi32ELi6E21rocsparse_complex_numIfEEEv20rocsparse_direction_iiPKiS5_PT2_S5_PiS5_S8_21rocsparse_index_base_.private_seg_size, 0
	.set _ZN9rocsparseL26bsric0_2_8_unrolled_kernelILi36ELi32ELi6E21rocsparse_complex_numIfEEEv20rocsparse_direction_iiPKiS5_PT2_S5_PiS5_S8_21rocsparse_index_base_.uses_vcc, 1
	.set _ZN9rocsparseL26bsric0_2_8_unrolled_kernelILi36ELi32ELi6E21rocsparse_complex_numIfEEEv20rocsparse_direction_iiPKiS5_PT2_S5_PiS5_S8_21rocsparse_index_base_.uses_flat_scratch, 0
	.set _ZN9rocsparseL26bsric0_2_8_unrolled_kernelILi36ELi32ELi6E21rocsparse_complex_numIfEEEv20rocsparse_direction_iiPKiS5_PT2_S5_PiS5_S8_21rocsparse_index_base_.has_dyn_sized_stack, 0
	.set _ZN9rocsparseL26bsric0_2_8_unrolled_kernelILi36ELi32ELi6E21rocsparse_complex_numIfEEEv20rocsparse_direction_iiPKiS5_PT2_S5_PiS5_S8_21rocsparse_index_base_.has_recursion, 0
	.set _ZN9rocsparseL26bsric0_2_8_unrolled_kernelILi36ELi32ELi6E21rocsparse_complex_numIfEEEv20rocsparse_direction_iiPKiS5_PT2_S5_PiS5_S8_21rocsparse_index_base_.has_indirect_call, 0
	.section	.AMDGPU.csdata,"",@progbits
; Kernel info:
; codeLenInByte = 11932
; TotalNumSgprs: 46
; NumVgprs: 68
; NumAgprs: 0
; TotalNumVgprs: 68
; ScratchSize: 0
; MemoryBound: 0
; FloatMode: 240
; IeeeMode: 1
; LDSByteSize: 1728 bytes/workgroup (compile time only)
; SGPRBlocks: 5
; VGPRBlocks: 8
; NumSGPRsForWavesPerEU: 46
; NumVGPRsForWavesPerEU: 68
; AccumOffset: 68
; Occupancy: 7
; WaveLimiterHint : 1
; COMPUTE_PGM_RSRC2:SCRATCH_EN: 0
; COMPUTE_PGM_RSRC2:USER_SGPR: 2
; COMPUTE_PGM_RSRC2:TRAP_HANDLER: 0
; COMPUTE_PGM_RSRC2:TGID_X_EN: 1
; COMPUTE_PGM_RSRC2:TGID_Y_EN: 0
; COMPUTE_PGM_RSRC2:TGID_Z_EN: 0
; COMPUTE_PGM_RSRC2:TIDIG_COMP_CNT: 1
; COMPUTE_PGM_RSRC3_GFX90A:ACCUM_OFFSET: 16
; COMPUTE_PGM_RSRC3_GFX90A:TG_SPLIT: 0
	.section	.text._ZN9rocsparseL26bsric0_2_8_unrolled_kernelILi49ELi32ELi7E21rocsparse_complex_numIfEEEv20rocsparse_direction_iiPKiS5_PT2_S5_PiS5_S8_21rocsparse_index_base_,"axG",@progbits,_ZN9rocsparseL26bsric0_2_8_unrolled_kernelILi49ELi32ELi7E21rocsparse_complex_numIfEEEv20rocsparse_direction_iiPKiS5_PT2_S5_PiS5_S8_21rocsparse_index_base_,comdat
	.globl	_ZN9rocsparseL26bsric0_2_8_unrolled_kernelILi49ELi32ELi7E21rocsparse_complex_numIfEEEv20rocsparse_direction_iiPKiS5_PT2_S5_PiS5_S8_21rocsparse_index_base_ ; -- Begin function _ZN9rocsparseL26bsric0_2_8_unrolled_kernelILi49ELi32ELi7E21rocsparse_complex_numIfEEEv20rocsparse_direction_iiPKiS5_PT2_S5_PiS5_S8_21rocsparse_index_base_
	.p2align	8
	.type	_ZN9rocsparseL26bsric0_2_8_unrolled_kernelILi49ELi32ELi7E21rocsparse_complex_numIfEEEv20rocsparse_direction_iiPKiS5_PT2_S5_PiS5_S8_21rocsparse_index_base_,@function
_ZN9rocsparseL26bsric0_2_8_unrolled_kernelILi49ELi32ELi7E21rocsparse_complex_numIfEEEv20rocsparse_direction_iiPKiS5_PT2_S5_PiS5_S8_21rocsparse_index_base_: ; @_ZN9rocsparseL26bsric0_2_8_unrolled_kernelILi49ELi32ELi7E21rocsparse_complex_numIfEEEv20rocsparse_direction_iiPKiS5_PT2_S5_PiS5_S8_21rocsparse_index_base_
; %bb.0:
	s_load_dwordx8 s[4:11], s[0:1], 0x28
	s_mov_b32 s3, 0
	s_lshl_b64 s[2:3], s[2:3], 2
	v_and_b32_e32 v12, 0x3ff, v0
	v_bfe_u32 v13, v0, 10, 10
	s_waitcnt lgkmcnt(0)
	s_add_u32 s2, s8, s2
	s_addc_u32 s3, s9, s3
	s_load_dword s16, s[2:3], 0x0
	s_waitcnt lgkmcnt(0)
	s_ashr_i32 s17, s16, 31
	s_lshl_b64 s[8:9], s[16:17], 2
	s_add_u32 s2, s4, s8
	s_addc_u32 s3, s5, s9
	s_load_dword s30, s[2:3], 0x0
	s_load_dword s17, s[0:1], 0x48
	s_waitcnt lgkmcnt(0)
	s_cmp_lg_u32 s30, -1
	s_cbranch_scc0 .LBB46_77
; %bb.1:
	s_load_dwordx4 s[12:15], s[0:1], 0x10
	s_load_dwordx2 s[18:19], s[0:1], 0x20
	v_mad_u32_u24 v14, v13, 7, v12
	v_mul_u32_u24_e32 v17, 7, v13
	s_waitcnt lgkmcnt(0)
	s_add_u32 s2, s12, s8
	s_addc_u32 s3, s13, s9
	s_load_dword s26, s[2:3], 0x0
	s_waitcnt lgkmcnt(0)
	s_sub_i32 s31, s26, s17
	v_add_u32_e32 v0, s31, v14
	v_cmp_ge_i32_e32 vcc, s30, v0
	s_and_saveexec_b64 s[20:21], vcc
	s_cbranch_execz .LBB46_14
; %bb.2:
	v_add_u32_e32 v1, s26, v12
	v_add_u32_e32 v2, v1, v17
	v_subrev_u32_e32 v2, s17, v2
	v_add_u32_e32 v2, 49, v2
	s_add_i32 s2, s30, 1
	v_max_i32_e32 v2, s2, v2
	v_add_u32_e32 v2, s17, v2
	v_sub_u32_e32 v1, v2, v1
	v_subrev_u32_e32 v1, 49, v1
	v_cmp_ne_u32_e32 vcc, v1, v17
	s_mov_b64 s[22:23], -1
	s_nop 0
	v_addc_co_u32_e64 v2, s[2:3], 0, v17, vcc
	v_sub_u32_e32 v1, v1, v2
	s_mov_b32 s2, 0x5397829d
	v_mul_hi_u32 v1, v1, s2
	v_lshrrev_b32_e32 v1, 4, v1
	v_addc_co_u32_e32 v4, vcc, 0, v1, vcc
	v_cmp_ne_u32_e32 vcc, 0, v4
	s_and_saveexec_b64 s[2:3], vcc
	s_cbranch_execz .LBB46_11
; %bb.3:
	v_add_u32_e32 v2, -1, v4
	v_add_u32_e32 v1, 49, v0
	v_lshrrev_b32_e32 v2, 1, v2
	v_add_u32_e32 v5, 1, v2
	v_cmp_lt_u32_e32 vcc, 14, v4
	v_mov_b64_e32 v[2:3], v[0:1]
	s_and_saveexec_b64 s[22:23], vcc
	s_cbranch_execz .LBB46_7
; %bb.4:
	v_and_b32_e32 v6, -8, v5
	s_mov_b64 s[24:25], 0
	v_mov_b64_e32 v[2:3], v[0:1]
.LBB46_5:                               ; =>This Inner Loop Header: Depth=1
	v_ashrrev_i32_e32 v11, 31, v2
	v_mov_b32_e32 v10, v2
	v_ashrrev_i32_e32 v9, 31, v3
	v_mov_b32_e32 v8, v3
	v_add_u32_e32 v18, 0x62, v2
	v_add_u32_e32 v20, 0x62, v3
	v_lshl_add_u64 v[10:11], v[10:11], 2, s[14:15]
	v_add_u32_e32 v22, 0xc4, v2
	v_add_u32_e32 v24, 0xc4, v3
	;; [unrolled: 1-line block ×12, first 2 shown]
	v_lshl_add_u64 v[8:9], v[8:9], 2, s[14:15]
	v_ashrrev_i32_e32 v21, 31, v20
	v_ashrrev_i32_e32 v19, 31, v18
	global_load_dword v1, v[10:11], off
	global_load_dword v7, v[8:9], off
	v_ashrrev_i32_e32 v25, 31, v24
	v_ashrrev_i32_e32 v23, 31, v22
	;; [unrolled: 1-line block ×12, first 2 shown]
	v_lshl_add_u64 v[8:9], v[18:19], 2, s[14:15]
	v_lshl_add_u64 v[10:11], v[20:21], 2, s[14:15]
	;; [unrolled: 1-line block ×13, first 2 shown]
	global_load_dword v15, v[10:11], off
	v_lshl_add_u64 v[10:11], v[44:45], 2, s[14:15]
	global_load_dword v16, v[8:9], off
	global_load_dword v19, v[48:49], off
	;; [unrolled: 1-line block ×13, first 2 shown]
	v_subrev_u32_e32 v9, s31, v2
	v_add_u32_e32 v6, -8, v6
	v_subrev_u32_e32 v8, s31, v3
	v_lshlrev_b32_e32 v9, 2, v9
	v_subrev_u32_e32 v11, s31, v18
	v_cmp_eq_u32_e32 vcc, 0, v6
	v_add_u32_e32 v3, 0x310, v3
	v_add_u32_e32 v2, 0x310, v2
	v_lshlrev_b32_e32 v8, 2, v8
	v_subrev_u32_e32 v10, s31, v20
	v_subrev_u32_e32 v18, s31, v24
	;; [unrolled: 1-line block ×13, first 2 shown]
	v_lshlrev_b32_e32 v11, 2, v11
	s_or_b64 s[24:25], vcc, s[24:25]
	v_lshlrev_b32_e32 v10, 2, v10
	v_lshlrev_b32_e32 v20, 2, v20
	;; [unrolled: 1-line block ×13, first 2 shown]
	s_waitcnt vmcnt(15)
	v_subrev_u32_e32 v1, s17, v1
	s_waitcnt vmcnt(14)
	v_subrev_u32_e32 v7, s17, v7
	ds_write_b32 v9, v1 offset:2048
	ds_write_b32 v8, v7 offset:2048
	s_waitcnt vmcnt(12)
	v_subrev_u32_e32 v7, s17, v16
	s_waitcnt vmcnt(11)
	v_subrev_u32_e32 v8, s17, v19
	;; [unrolled: 2-line block ×8, first 2 shown]
	v_subrev_u32_e32 v1, s17, v15
	v_subrev_u32_e32 v15, s17, v23
	;; [unrolled: 1-line block ×3, first 2 shown]
	s_waitcnt vmcnt(2)
	v_subrev_u32_e32 v29, s17, v37
	s_waitcnt vmcnt(1)
	v_subrev_u32_e32 v31, s17, v39
	;; [unrolled: 2-line block ×3, first 2 shown]
	ds_write_b32 v11, v7 offset:2048
	ds_write_b32 v10, v1 offset:2048
	;; [unrolled: 1-line block ×14, first 2 shown]
	s_andn2_b64 exec, exec, s[24:25]
	s_cbranch_execnz .LBB46_5
; %bb.6:
	s_or_b64 exec, exec, s[24:25]
.LBB46_7:
	s_or_b64 exec, exec, s[22:23]
	v_and_b32_e32 v1, 7, v5
	v_cmp_ne_u32_e32 vcc, 0, v1
	s_and_saveexec_b64 s[22:23], vcc
	s_cbranch_execz .LBB46_10
; %bb.8:
	v_sub_u32_e32 v1, 0, v1
	s_mov_b64 s[24:25], 0
.LBB46_9:                               ; =>This Inner Loop Header: Depth=1
	v_ashrrev_i32_e32 v7, 31, v3
	v_mov_b32_e32 v6, v3
	v_ashrrev_i32_e32 v9, 31, v2
	v_mov_b32_e32 v8, v2
	v_lshl_add_u64 v[6:7], v[6:7], 2, s[14:15]
	v_lshl_add_u64 v[8:9], v[8:9], 2, s[14:15]
	global_load_dword v5, v[6:7], off
	global_load_dword v10, v[8:9], off
	v_subrev_u32_e32 v7, s31, v2
	v_add_co_u32_e32 v1, vcc, 1, v1
	v_subrev_u32_e32 v6, s31, v3
	v_add_u32_e32 v3, 0x62, v3
	v_add_u32_e32 v2, 0x62, v2
	v_lshlrev_b32_e32 v7, 2, v7
	s_or_b64 s[24:25], vcc, s[24:25]
	v_lshlrev_b32_e32 v6, 2, v6
	s_waitcnt vmcnt(1)
	v_subrev_u32_e32 v5, s17, v5
	s_waitcnt vmcnt(0)
	v_subrev_u32_e32 v8, s17, v10
	ds_write_b32 v7, v8 offset:2048
	ds_write_b32 v6, v5 offset:2048
	s_andn2_b64 exec, exec, s[24:25]
	s_cbranch_execnz .LBB46_9
.LBB46_10:
	s_or_b64 exec, exec, s[22:23]
	v_add_u32_e32 v2, 1, v4
	v_and_b32_e32 v3, 0x1ffffffe, v2
	v_mad_u64_u32 v[0:1], s[22:23], v3, 49, v[0:1]
	v_cmp_ne_u32_e32 vcc, v2, v3
	s_orn2_b64 s[22:23], vcc, exec
.LBB46_11:
	s_or_b64 exec, exec, s[2:3]
	s_and_b64 exec, exec, s[22:23]
	s_cbranch_execz .LBB46_14
; %bb.12:
	v_add_u32_e32 v1, s17, v0
	v_subrev_u32_e32 v1, s26, v1
	v_mov_b32_e32 v2, 0x800
	v_lshl_add_u32 v4, v1, 2, v2
	v_ashrrev_i32_e32 v1, 31, v0
	v_lshl_add_u64 v[2:3], v[0:1], 2, s[14:15]
	s_mov_b64 s[2:3], 0
	s_mov_b64 s[22:23], 0xc4
.LBB46_13:                              ; =>This Inner Loop Header: Depth=1
	global_load_dword v1, v[2:3], off
	v_add_u32_e32 v0, 49, v0
	v_cmp_lt_i32_e32 vcc, s30, v0
	v_lshl_add_u64 v[2:3], v[2:3], 0, s[22:23]
	s_or_b64 s[2:3], vcc, s[2:3]
	s_waitcnt vmcnt(0)
	v_subrev_u32_e32 v1, s17, v1
	ds_write_b32 v4, v1
	v_add_u32_e32 v4, 0xc4, v4
	s_andn2_b64 exec, exec, s[2:3]
	s_cbranch_execnz .LBB46_13
.LBB46_14:
	s_or_b64 exec, exec, s[20:21]
	s_load_dword s33, s[0:1], 0x0
	v_mov_b32_e32 v0, 0x540
	v_lshl_add_u32 v16, v13, 6, v0
	v_mov_b32_e32 v0, 0
	v_lshl_add_u32 v15, v12, 3, v16
	v_mov_b32_e32 v1, v0
	s_cmp_ge_i32 s31, s30
	v_mad_u32_u24 v3, v12, 7, v13
	ds_write_b64 v15, v[0:1]
	s_waitcnt lgkmcnt(0)
	s_cbranch_scc1 .LBB46_70
; %bb.15:
	s_cmp_lg_u32 s33, 0
	v_lshlrev_b32_e32 v2, 6, v13
	v_lshlrev_b32_e32 v4, 3, v12
	s_cselect_b64 s[20:21], -1, 0
	s_cmp_eq_u32 s33, 0
	v_add_u32_e32 v19, 0x380, v2
	v_add_u32_e32 v21, v2, v4
	v_add_u32_e32 v22, 0x1c0, v2
	v_mov_b32_e32 v2, 0x380
	v_mad_u32_u24 v1, v12, 7, v13
	v_lshl_add_u32 v24, v12, 6, v2
	v_or_b32_e32 v2, v12, v13
	s_cselect_b64 vcc, -1, 0
	v_mul_u32_u24_e32 v18, 7, v12
	v_add_u32_e32 v20, v19, v4
	v_add_u32_e32 v23, v22, v4
	v_cmp_ne_u32_e64 s[0:1], 0, v2
	v_cndmask_b32_e32 v2, v1, v14, vcc
	s_mov_b32 s22, s31
	s_branch .LBB46_18
.LBB46_16:                              ;   in Loop: Header=BB46_18 Depth=1
	s_or_b64 exec, exec, s[24:25]
	v_mov_b32_e32 v8, 0
	v_mov_b32_e32 v6, 1.0
.LBB46_17:                              ;   in Loop: Header=BB46_18 Depth=1
	s_or_b64 exec, exec, s[2:3]
	v_mul_f32_e32 v1, v8, v8
	v_fmac_f32_e32 v1, v6, v6
	v_div_scale_f32 v7, s[2:3], v1, v1, 1.0
	v_rcp_f32_e32 v9, v7
	ds_read_b128 v[26:29], v19
	ds_read_b128 v[30:33], v19 offset:16
	s_add_i32 s22, s22, 1
	s_cmp_ge_i32 s22, s30
	v_fma_f32 v25, -v7, v9, 1.0
	v_fmac_f32_e32 v9, v25, v9
	v_div_scale_f32 v25, vcc, 1.0, v1, 1.0
	v_mul_f32_e32 v42, v25, v9
	v_fma_f32 v34, -v7, v42, v25
	v_fmac_f32_e32 v42, v34, v9
	ds_read_b128 v[34:37], v0 offset:384
	ds_read_b128 v[38:41], v19 offset:32
	ds_read_b64 v[50:51], v22 offset:48
	v_fma_f32 v7, -v7, v42, v25
	v_div_fmas_f32 v7, v7, v9, v42
	ds_read_b128 v[42:45], v0 offset:400
	ds_read_b128 v[46:49], v0 offset:416
	v_div_fixup_f32 v52, v7, v1, 1.0
	s_waitcnt lgkmcnt(2)
	v_pk_fma_f32 v[50:51], v[34:35], v[26:27], v[50:51] op_sel_hi:[1,0,1]
	s_cselect_b64 s[2:3], -1, 0
	v_pk_fma_f32 v[26:27], v[34:35], v[26:27], v[50:51] op_sel:[1,1,0] op_sel_hi:[0,1,1] neg_hi:[0,1,0]
	v_pk_fma_f32 v[26:27], v[36:37], v[28:29], v[26:27] op_sel_hi:[1,0,1]
	v_mov_b32_e32 v28, v29
	v_pk_fma_f32 v[26:27], v[36:37], v[28:29], v[26:27] op_sel:[1,0,0] op_sel_hi:[0,0,1] neg_hi:[0,1,0]
	s_waitcnt lgkmcnt(1)
	v_pk_fma_f32 v[26:27], v[42:43], v[30:31], v[26:27] op_sel_hi:[1,0,1]
	v_mov_b32_e32 v28, v33
	v_pk_fma_f32 v[26:27], v[42:43], v[30:31], v[26:27] op_sel:[0,1,1] op_sel_hi:[1,1,0] neg_lo:[0,1,0]
	s_nop 0
	v_pk_fma_f32 v[26:27], v[44:45], v[32:33], v[26:27] op_sel:[1,0,0] op_sel_hi:[0,0,1]
	v_pk_fma_f32 v[26:27], v[44:45], v[28:29], v[26:27] op_sel_hi:[1,0,1] neg_lo:[0,1,0]
	v_mov_b32_e32 v28, v41
	s_waitcnt lgkmcnt(0)
	v_pk_fma_f32 v[26:27], v[46:47], v[38:39], v[26:27] op_sel:[1,0,0] op_sel_hi:[0,0,1]
	v_pk_fma_f32 v[26:27], v[46:47], v[38:39], v[26:27] op_sel:[0,1,0] neg_lo:[0,1,0]
	s_nop 0
	v_pk_fma_f32 v[26:27], v[48:49], v[40:41], v[26:27] op_sel:[1,0,0] op_sel_hi:[0,0,1]
	v_pk_fma_f32 v[26:27], v[48:49], v[28:29], v[26:27] op_sel_hi:[1,0,1] neg_lo:[0,1,0]
	v_mov_b32_e32 v28, v11
	v_mov_b32_e32 v29, v10
	v_pk_add_f32 v[10:11], v[28:29], v[26:27] neg_lo:[0,1] neg_hi:[0,1]
	s_nop 0
	v_xor_b32_e32 v26, 0x80000000, v11
	v_mov_b32_e32 v27, v10
	v_pk_mul_f32 v[8:9], v[8:9], v[26:27] op_sel_hi:[0,1]
	v_pk_fma_f32 v[6:7], v[10:11], v[6:7], v[8:9] op_sel_hi:[1,0,1]
	s_nop 0
	v_pk_mul_f32 v[6:7], v[52:53], v[6:7] op_sel_hi:[0,1]
	v_pk_mov_b32 v[8:9], v[6:7], v[6:7] op_sel:[1,0]
	ds_write_b64 v19, v[8:9] offset:48
	s_waitcnt lgkmcnt(0)
	ds_read_b64 v[8:9], v24 offset:48
	ds_read_b64 v[10:11], v15
	s_waitcnt lgkmcnt(0)
	v_pk_fma_f32 v[10:11], v[6:7], v[8:9], v[10:11] op_sel:[1,0,0] op_sel_hi:[0,0,1]
	v_pk_fma_f32 v[6:7], v[6:7], v[8:9], v[10:11] op_sel:[0,1,0] neg_hi:[0,1,0]
	ds_write_b64 v15, v[6:7]
	s_waitcnt lgkmcnt(0)
	ds_read_b64 v[6:7], v20
	s_waitcnt lgkmcnt(0)
	global_store_dwordx2 v[4:5], v[6:7], off
	buffer_wbl2 sc1
	s_waitcnt vmcnt(0)
	buffer_inv sc1
	s_and_b64 vcc, exec, s[2:3]
	s_cbranch_vccnz .LBB46_70
.LBB46_18:                              ; =>This Loop Header: Depth=1
                                        ;     Child Loop BB46_21 Depth 2
                                        ;     Child Loop BB46_32 Depth 2
	;; [unrolled: 1-line block ×3, first 2 shown]
	s_ashr_i32 s23, s22, 31
	s_lshl_b64 s[2:3], s[22:23], 2
	s_add_u32 s2, s14, s2
	s_addc_u32 s3, s15, s3
	s_load_dword s23, s[2:3], 0x0
	s_waitcnt lgkmcnt(0)
	s_sub_i32 s24, s23, s17
	s_ashr_i32 s25, s24, 31
	s_lshl_b64 s[2:3], s[24:25], 2
	s_add_u32 s26, s4, s2
	s_addc_u32 s27, s5, s3
	s_load_dword s25, s[26:27], 0x0
	s_waitcnt lgkmcnt(0)
	s_cmp_eq_u32 s25, -1
	s_cbranch_scc1 .LBB46_41
; %bb.19:                               ;   in Loop: Header=BB46_18 Depth=1
	v_mad_u64_u32 v[4:5], s[26:27], s22, 49, v[2:3]
	v_ashrrev_i32_e32 v5, 31, v4
	v_lshl_add_u64 v[4:5], v[4:5], 3, s[18:19]
	global_load_dwordx2 v[6:7], v[4:5], off
	s_add_u32 s26, s12, s2
	s_addc_u32 s27, s13, s3
	s_load_dword s26, s[26:27], 0x0
	ds_read_b32 v1, v0 offset:2048
	s_mov_b32 s27, 0
	s_waitcnt lgkmcnt(0)
	s_sub_i32 s26, s26, s17
	s_cmp_le_i32 s26, s25
	v_cmp_ge_i32_e32 vcc, s24, v1
	s_cselect_b64 s[28:29], -1, 0
	s_and_b64 s[28:29], s[28:29], vcc
	s_andn2_b64 vcc, exec, s[28:29]
	s_waitcnt vmcnt(0)
	ds_write_b64 v20, v[6:7]
	s_cbranch_vccnz .LBB46_31
; %bb.20:                               ;   in Loop: Header=BB46_18 Depth=1
	s_mov_b32 s34, 0
	s_mov_b32 s35, 0
.LBB46_21:                              ;   Parent Loop BB46_18 Depth=1
                                        ; =>  This Inner Loop Header: Depth=2
	s_ashr_i32 s27, s26, 31
	s_lshl_b64 s[28:29], s[26:27], 2
	s_add_u32 s28, s14, s28
	s_addc_u32 s29, s15, s29
	s_load_dword s27, s[28:29], 0x0
	s_lshl_b32 s28, s35, 2
	v_mov_b32_e32 v1, s28
	ds_read_b32 v1, v1 offset:2048
	s_mov_b64 s[28:29], -1
	s_waitcnt lgkmcnt(0)
	s_sub_i32 s39, s27, s17
                                        ; implicit-def: $sgpr27
                                        ; implicit-def: $sgpr38
                                        ; implicit-def: $sgpr37
	v_cmp_ge_i32_e32 vcc, s39, v1
	v_readfirstlane_b32 s36, v1
	s_cbranch_vccz .LBB46_27
; %bb.22:                               ;   in Loop: Header=BB46_21 Depth=2
	s_cmp_le_i32 s39, s36
                                        ; implicit-def: $sgpr27
                                        ; implicit-def: $sgpr38
                                        ; implicit-def: $sgpr37
	s_cbranch_scc0 .LBB46_24
; %bb.23:                               ;   in Loop: Header=BB46_21 Depth=2
	s_add_i32 s27, s35, s31
	s_mul_i32 s27, s27, 49
	s_lshl_b32 s28, s34, 2
	v_mov_b32_e32 v1, s28
	v_mov_b32_e32 v6, s27
	s_mul_i32 s27, s26, 49
	v_mov_b32_e32 v7, s27
	v_add_u32_e32 v1, 0x400, v1
	ds_write2_b32 v1, v7, v6 offset0:192 offset1:224
	s_add_i32 s37, s35, 1
	s_add_i32 s38, s26, 1
	;; [unrolled: 1-line block ×3, first 2 shown]
	s_mov_b64 s[28:29], 0
.LBB46_24:                              ;   in Loop: Header=BB46_21 Depth=2
	s_andn2_b64 vcc, exec, s[28:29]
	s_cbranch_vccnz .LBB46_26
; %bb.25:                               ;   in Loop: Header=BB46_21 Depth=2
	s_add_i32 s37, s35, 1
	s_mov_b32 s27, s34
	s_mov_b32 s38, s26
.LBB46_26:                              ;   in Loop: Header=BB46_21 Depth=2
	s_mov_b64 s[28:29], 0
.LBB46_27:                              ;   in Loop: Header=BB46_21 Depth=2
	s_andn2_b64 vcc, exec, s[28:29]
	s_cbranch_vccnz .LBB46_29
; %bb.28:                               ;   in Loop: Header=BB46_21 Depth=2
	s_add_i32 s38, s26, 1
	s_mov_b32 s37, s35
	s_mov_b32 s27, s34
.LBB46_29:                              ;   in Loop: Header=BB46_21 Depth=2
	s_cmp_le_i32 s38, s25
	s_cselect_b64 s[28:29], -1, 0
	s_cmp_le_i32 s36, s24
	s_cselect_b64 s[34:35], -1, 0
	s_and_b64 s[28:29], s[28:29], s[34:35]
	s_and_b64 vcc, exec, s[28:29]
	s_cbranch_vccz .LBB46_31
; %bb.30:                               ;   in Loop: Header=BB46_21 Depth=2
	s_mov_b32 s34, s27
	s_mov_b32 s26, s38
	;; [unrolled: 1-line block ×3, first 2 shown]
	s_branch .LBB46_21
.LBB46_31:                              ;   in Loop: Header=BB46_18 Depth=1
	s_add_u32 s2, s6, s2
	s_addc_u32 s3, s7, s3
	s_waitcnt lgkmcnt(0)
.LBB46_32:                              ;   Parent Loop BB46_18 Depth=1
                                        ; =>  This Inner Loop Header: Depth=2
	global_load_dword v1, v0, s[2:3] sc1
	s_waitcnt vmcnt(0)
	v_cmp_eq_u32_e32 vcc, 0, v1
	s_cbranch_vccnz .LBB46_32
; %bb.33:                               ;   in Loop: Header=BB46_18 Depth=1
	v_mad_u64_u32 v[6:7], s[2:3], s25, 49, v[2:3]
	v_ashrrev_i32_e32 v7, 31, v6
	v_lshl_add_u64 v[6:7], v[6:7], 3, s[18:19]
	buffer_inv sc1
	global_load_dwordx2 v[8:9], v[6:7], off
	v_mov_b32_e32 v7, 0
	s_cmp_lt_i32 s27, 2
	v_mov_b32_e32 v6, 0
	s_waitcnt vmcnt(0)
	ds_write_b64 v21, v[8:9]
	s_waitcnt lgkmcnt(0)
	s_cbranch_scc1 .LBB46_43
; %bb.34:                               ;   in Loop: Header=BB46_18 Depth=1
	v_mov_b32_e32 v1, v0
	s_add_i32 s24, s27, -1
	s_movk_i32 s25, 0x700
	v_mov_b64_e32 v[6:7], v[0:1]
.LBB46_35:                              ;   Parent Loop BB46_18 Depth=1
                                        ; =>  This Inner Loop Header: Depth=2
	v_mov_b32_e32 v1, s25
	s_waitcnt lgkmcnt(0)
	ds_read2_b32 v[8:9], v1 offset1:32
	s_mov_b64 s[2:3], -1
	s_and_b64 vcc, exec, s[20:21]
                                        ; implicit-def: $vgpr10_vgpr11
	s_cbranch_vccz .LBB46_38
; %bb.36:                               ;   in Loop: Header=BB46_35 Depth=2
	s_waitcnt lgkmcnt(0)
	v_add_u32_e32 v10, v8, v12
	v_add_u32_e32 v28, v9, v13
	v_ashrrev_i32_e32 v29, 31, v28
	v_add_u32_e32 v32, 7, v10
	v_add_u32_e32 v34, 7, v28
	;; [unrolled: 1-line block ×10, first 2 shown]
	v_ashrrev_i32_e32 v11, 31, v10
	v_lshl_add_u64 v[30:31], v[28:29], 3, s[18:19]
	v_ashrrev_i32_e32 v33, 31, v32
	v_ashrrev_i32_e32 v35, 31, v34
	;; [unrolled: 1-line block ×10, first 2 shown]
	v_lshl_add_u64 v[26:27], v[10:11], 3, s[18:19]
	v_lshl_add_u64 v[32:33], v[32:33], 3, s[18:19]
	;; [unrolled: 1-line block ×11, first 2 shown]
	global_load_dwordx2 v[52:53], v[30:31], off
	global_load_dwordx2 v[54:55], v[34:35], off
	;; [unrolled: 1-line block ×12, first 2 shown]
	v_add_u32_e32 v28, 42, v28
	v_add_u32_e32 v10, 42, v10
	v_ashrrev_i32_e32 v29, 31, v28
	v_ashrrev_i32_e32 v11, 31, v10
	v_lshl_add_u64 v[26:27], v[28:29], 3, s[18:19]
	v_lshl_add_u64 v[10:11], v[10:11], 3, s[18:19]
	global_load_dwordx2 v[28:29], v[26:27], off
	global_load_dwordx2 v[30:31], v[10:11], off
	s_waitcnt vmcnt(10)
	v_pk_fma_f32 v[10:11], v[58:59], v[52:53], v[6:7] op_sel:[1,0,0] op_sel_hi:[0,0,1]
	v_pk_fma_f32 v[10:11], v[58:59], v[52:53], v[10:11] op_sel:[0,1,0] neg_lo:[0,1,0]
	s_nop 0
	v_pk_fma_f32 v[10:11], v[56:57], v[54:55], v[10:11] op_sel:[1,0,0] op_sel_hi:[0,0,1]
	v_pk_fma_f32 v[10:11], v[56:57], v[54:55], v[10:11] op_sel:[0,1,0] neg_lo:[0,1,0]
	s_waitcnt vmcnt(6)
	v_pk_fma_f32 v[10:11], v[66:67], v[60:61], v[10:11] op_sel:[1,0,0] op_sel_hi:[0,0,1]
	v_pk_fma_f32 v[10:11], v[66:67], v[60:61], v[10:11] op_sel:[0,1,0] neg_lo:[0,1,0]
	s_nop 0
	v_pk_fma_f32 v[10:11], v[64:65], v[62:63], v[10:11] op_sel:[1,0,0] op_sel_hi:[0,0,1]
	v_pk_fma_f32 v[10:11], v[64:65], v[62:63], v[10:11] op_sel:[0,1,0] neg_lo:[0,1,0]
	;; [unrolled: 6-line block ×3, first 2 shown]
	s_waitcnt vmcnt(0)
	v_pk_fma_f32 v[10:11], v[30:31], v[28:29], v[10:11] op_sel:[1,0,0] op_sel_hi:[0,0,1]
	v_pk_fma_f32 v[10:11], v[30:31], v[28:29], v[10:11] op_sel:[0,1,0] neg_lo:[0,1,0]
	s_cbranch_execz .LBB46_39
.LBB46_37:                              ;   in Loop: Header=BB46_35 Depth=2
	s_add_i32 s24, s24, -1
	s_add_i32 s25, s25, 4
	s_cmp_eq_u32 s24, 0
	s_cbranch_scc0 .LBB46_40
	s_branch .LBB46_42
.LBB46_38:                              ;   in Loop: Header=BB46_35 Depth=2
	s_andn2_b64 vcc, exec, s[2:3]
	s_cbranch_vccnz .LBB46_37
.LBB46_39:                              ;   in Loop: Header=BB46_35 Depth=2
	s_waitcnt lgkmcnt(0)
	v_add_u32_e32 v10, v8, v18
	v_ashrrev_i32_e32 v11, 31, v10
	v_add_u32_e32 v8, v9, v17
	v_lshl_add_u64 v[46:47], v[10:11], 3, s[18:19]
	v_ashrrev_i32_e32 v9, 31, v8
	v_lshl_add_u64 v[48:49], v[8:9], 3, s[18:19]
	global_load_dwordx4 v[8:11], v[46:47], off
	global_load_dwordx4 v[26:29], v[48:49], off
	global_load_dwordx4 v[30:33], v[48:49], off offset:16
	global_load_dwordx4 v[34:37], v[46:47], off offset:16
	;; [unrolled: 1-line block ×4, first 2 shown]
	global_load_dwordx2 v[50:51], v[48:49], off offset:48
	global_load_dwordx2 v[52:53], v[46:47], off offset:48
	s_waitcnt vmcnt(6)
	v_pk_fma_f32 v[6:7], v[8:9], v[26:27], v[6:7] op_sel:[1,0,0] op_sel_hi:[0,0,1]
	v_pk_fma_f32 v[6:7], v[8:9], v[26:27], v[6:7] op_sel:[0,1,0] neg_lo:[0,1,0]
	v_mov_b32_e32 v46, v29
	v_pk_fma_f32 v[6:7], v[10:11], v[28:29], v[6:7] op_sel:[1,0,0] op_sel_hi:[0,0,1]
	v_pk_fma_f32 v[6:7], v[10:11], v[46:47], v[6:7] op_sel_hi:[1,0,1] neg_lo:[0,1,0]
	s_waitcnt vmcnt(5)
	v_mov_b32_e32 v48, v33
	s_waitcnt vmcnt(4)
	v_pk_fma_f32 v[6:7], v[34:35], v[30:31], v[6:7] op_sel:[1,0,0] op_sel_hi:[0,0,1]
	v_pk_fma_f32 v[6:7], v[34:35], v[30:31], v[6:7] op_sel:[0,1,0] neg_lo:[0,1,0]
	s_waitcnt vmcnt(2)
	v_mov_b32_e32 v8, v45
	v_pk_fma_f32 v[6:7], v[36:37], v[32:33], v[6:7] op_sel:[1,0,0] op_sel_hi:[0,0,1]
	v_pk_fma_f32 v[6:7], v[36:37], v[48:49], v[6:7] op_sel_hi:[1,0,1] neg_lo:[0,1,0]
	s_nop 0
	v_pk_fma_f32 v[6:7], v[38:39], v[42:43], v[6:7] op_sel:[1,0,0] op_sel_hi:[0,0,1]
	v_pk_fma_f32 v[6:7], v[38:39], v[42:43], v[6:7] op_sel:[0,1,0] neg_lo:[0,1,0]
	s_nop 0
	v_pk_fma_f32 v[6:7], v[40:41], v[44:45], v[6:7] op_sel:[1,0,0] op_sel_hi:[0,0,1]
	v_pk_fma_f32 v[6:7], v[40:41], v[8:9], v[6:7] op_sel_hi:[1,0,1] neg_lo:[0,1,0]
	s_waitcnt vmcnt(0)
	v_pk_fma_f32 v[6:7], v[52:53], v[50:51], v[6:7] op_sel:[1,0,0] op_sel_hi:[0,0,1]
	v_pk_fma_f32 v[10:11], v[52:53], v[50:51], v[6:7] op_sel:[0,1,0] neg_lo:[0,1,0]
	s_add_i32 s24, s24, -1
	s_add_i32 s25, s25, 4
	s_cmp_eq_u32 s24, 0
	s_cbranch_scc1 .LBB46_42
.LBB46_40:                              ;   in Loop: Header=BB46_35 Depth=2
	v_mov_b64_e32 v[6:7], v[10:11]
	s_branch .LBB46_35
.LBB46_41:                              ;   in Loop: Header=BB46_18 Depth=1
                                        ; implicit-def: $sgpr22
	s_cbranch_execz .LBB46_18
	s_branch .LBB46_70
.LBB46_42:                              ;   in Loop: Header=BB46_18 Depth=1
	v_mov_b32_e32 v7, v10
	v_mov_b32_e32 v6, v11
.LBB46_43:                              ;   in Loop: Header=BB46_18 Depth=1
	ds_write_b64 v23, v[6:7]
	s_waitcnt lgkmcnt(0)
	ds_read_b64 v[6:7], v0
	ds_read_b64 v[10:11], v19
	s_waitcnt lgkmcnt(1)
	v_cmp_neq_f32_e32 vcc, 0, v6
	v_cmp_neq_f32_e64 s[2:3], 0, v7
	s_or_b64 vcc, vcc, s[2:3]
	v_cndmask_b32_e32 v6, 1.0, v6, vcc
	s_nor_b64 s[24:25], vcc, s[0:1]
	v_cndmask_b32_e32 v8, 0, v7, vcc
	s_and_saveexec_b64 s[2:3], s[24:25]
	s_cbranch_execz .LBB46_47
; %bb.44:                               ;   in Loop: Header=BB46_18 Depth=1
	v_mbcnt_lo_u32_b32 v1, exec_lo, 0
	v_mbcnt_hi_u32_b32 v1, exec_hi, v1
	v_cmp_eq_u32_e32 vcc, 0, v1
	s_and_saveexec_b64 s[24:25], vcc
	s_cbranch_execz .LBB46_46
; %bb.45:                               ;   in Loop: Header=BB46_18 Depth=1
	v_mov_b32_e32 v1, s23
	global_atomic_smin v0, v1, s[10:11]
.LBB46_46:                              ;   in Loop: Header=BB46_18 Depth=1
	s_or_b64 exec, exec, s[24:25]
	v_mov_b32_e32 v8, 0
	v_mov_b32_e32 v6, 1.0
.LBB46_47:                              ;   in Loop: Header=BB46_18 Depth=1
	s_or_b64 exec, exec, s[2:3]
	v_mul_f32_e32 v1, v8, v8
	v_fmac_f32_e32 v1, v6, v6
	v_div_scale_f32 v7, s[2:3], v1, v1, 1.0
	v_rcp_f32_e32 v9, v7
	v_div_scale_f32 v25, vcc, 1.0, v1, 1.0
	s_waitcnt lgkmcnt(0)
	v_mov_b32_e32 v30, v11
	v_fma_f32 v26, -v7, v9, 1.0
	v_fmac_f32_e32 v9, v26, v9
	v_mul_f32_e32 v28, v25, v9
	v_fma_f32 v26, -v7, v28, v25
	v_fmac_f32_e32 v28, v26, v9
	ds_read_b64 v[26:27], v22
	v_mov_b32_e32 v31, v10
	v_fma_f32 v7, -v7, v28, v25
	v_div_fmas_f32 v7, v7, v9, v28
	v_div_fixup_f32 v28, v7, v1, 1.0
	s_waitcnt lgkmcnt(0)
	v_pk_add_f32 v[10:11], v[30:31], v[26:27] op_sel:[0,1] op_sel_hi:[1,0] neg_lo:[0,1] neg_hi:[0,1]
	s_nop 0
	v_xor_b32_e32 v26, 0x80000000, v11
	v_mov_b32_e32 v27, v10
	v_pk_mul_f32 v[8:9], v[8:9], v[26:27] op_sel_hi:[0,1]
	v_pk_fma_f32 v[6:7], v[10:11], v[6:7], v[8:9] op_sel_hi:[1,0,1]
	s_nop 0
	v_pk_mul_f32 v[6:7], v[28:29], v[6:7] op_sel_hi:[0,1]
	v_pk_mov_b32 v[8:9], v[6:7], v[6:7] op_sel:[1,0]
	ds_write_b64 v19, v[8:9]
	s_waitcnt lgkmcnt(0)
	ds_read_b64 v[8:9], v24
	ds_read_b64 v[10:11], v15
	s_waitcnt lgkmcnt(0)
	v_pk_fma_f32 v[10:11], v[6:7], v[8:9], v[10:11] op_sel:[1,0,0] op_sel_hi:[0,0,1]
	v_pk_fma_f32 v[6:7], v[6:7], v[8:9], v[10:11] op_sel:[0,1,0] neg_hi:[0,1,0]
	ds_write_b64 v15, v[6:7]
	s_waitcnt lgkmcnt(0)
	ds_read_b64 v[6:7], v0 offset:72
	ds_read_b64 v[10:11], v19 offset:8
	s_waitcnt lgkmcnt(1)
	v_cmp_neq_f32_e32 vcc, 0, v6
	v_cmp_neq_f32_e64 s[2:3], 0, v7
	s_or_b64 vcc, vcc, s[2:3]
	v_cndmask_b32_e32 v6, 1.0, v6, vcc
	s_nor_b64 s[24:25], vcc, s[0:1]
	v_cndmask_b32_e32 v8, 0, v7, vcc
	s_and_saveexec_b64 s[2:3], s[24:25]
	s_cbranch_execz .LBB46_51
; %bb.48:                               ;   in Loop: Header=BB46_18 Depth=1
	v_mbcnt_lo_u32_b32 v1, exec_lo, 0
	v_mbcnt_hi_u32_b32 v1, exec_hi, v1
	v_cmp_eq_u32_e32 vcc, 0, v1
	s_and_saveexec_b64 s[24:25], vcc
	s_cbranch_execz .LBB46_50
; %bb.49:                               ;   in Loop: Header=BB46_18 Depth=1
	v_mov_b32_e32 v1, s23
	global_atomic_smin v0, v1, s[10:11]
.LBB46_50:                              ;   in Loop: Header=BB46_18 Depth=1
	s_or_b64 exec, exec, s[24:25]
	v_mov_b32_e32 v8, 0
	v_mov_b32_e32 v6, 1.0
.LBB46_51:                              ;   in Loop: Header=BB46_18 Depth=1
	s_or_b64 exec, exec, s[2:3]
	v_mul_f32_e32 v1, v8, v8
	v_fmac_f32_e32 v1, v6, v6
	v_div_scale_f32 v7, s[2:3], v1, v1, 1.0
	v_rcp_f32_e32 v9, v7
	v_div_scale_f32 v25, vcc, 1.0, v1, 1.0
	v_fma_f32 v26, -v7, v9, 1.0
	v_fmac_f32_e32 v9, v26, v9
	v_mul_f32_e32 v32, v25, v9
	v_fma_f32 v26, -v7, v32, v25
	v_fmac_f32_e32 v32, v26, v9
	ds_read_b64 v[26:27], v19
	ds_read_b64 v[28:29], v0 offset:64
	ds_read_b64 v[30:31], v22 offset:8
	v_fma_f32 v7, -v7, v32, v25
	v_div_fmas_f32 v7, v7, v9, v32
	v_div_fixup_f32 v32, v7, v1, 1.0
	s_waitcnt lgkmcnt(0)
	v_pk_fma_f32 v[30:31], v[28:29], v[26:27], v[30:31] op_sel_hi:[1,0,1]
	s_nop 0
	v_pk_fma_f32 v[26:27], v[28:29], v[26:27], v[30:31] op_sel:[0,1,1] op_sel_hi:[1,1,0] neg_lo:[0,1,0]
	v_mov_b32_e32 v28, v11
	v_mov_b32_e32 v29, v10
	v_pk_add_f32 v[10:11], v[28:29], v[26:27] neg_lo:[0,1] neg_hi:[0,1]
	s_nop 0
	v_xor_b32_e32 v26, 0x80000000, v11
	v_mov_b32_e32 v27, v10
	v_pk_mul_f32 v[8:9], v[8:9], v[26:27] op_sel_hi:[0,1]
	v_pk_fma_f32 v[6:7], v[10:11], v[6:7], v[8:9] op_sel_hi:[1,0,1]
	s_nop 0
	v_pk_mul_f32 v[6:7], v[32:33], v[6:7] op_sel_hi:[0,1]
	v_pk_mov_b32 v[8:9], v[6:7], v[6:7] op_sel:[1,0]
	ds_write_b64 v19, v[8:9] offset:8
	s_waitcnt lgkmcnt(0)
	ds_read_b64 v[8:9], v24 offset:8
	ds_read_b64 v[10:11], v15
	s_waitcnt lgkmcnt(0)
	v_pk_fma_f32 v[10:11], v[6:7], v[8:9], v[10:11] op_sel:[1,0,0] op_sel_hi:[0,0,1]
	v_pk_fma_f32 v[6:7], v[6:7], v[8:9], v[10:11] op_sel:[0,1,0] neg_hi:[0,1,0]
	ds_write_b64 v15, v[6:7]
	s_waitcnt lgkmcnt(0)
	ds_read_b64 v[6:7], v0 offset:144
	ds_read_b64 v[10:11], v19 offset:16
	s_waitcnt lgkmcnt(1)
	v_cmp_neq_f32_e32 vcc, 0, v6
	v_cmp_neq_f32_e64 s[2:3], 0, v7
	s_or_b64 vcc, vcc, s[2:3]
	v_cndmask_b32_e32 v6, 1.0, v6, vcc
	s_nor_b64 s[24:25], vcc, s[0:1]
	v_cndmask_b32_e32 v8, 0, v7, vcc
	s_and_saveexec_b64 s[2:3], s[24:25]
	s_cbranch_execz .LBB46_55
; %bb.52:                               ;   in Loop: Header=BB46_18 Depth=1
	v_mbcnt_lo_u32_b32 v1, exec_lo, 0
	v_mbcnt_hi_u32_b32 v1, exec_hi, v1
	v_cmp_eq_u32_e32 vcc, 0, v1
	s_and_saveexec_b64 s[24:25], vcc
	s_cbranch_execz .LBB46_54
; %bb.53:                               ;   in Loop: Header=BB46_18 Depth=1
	v_mov_b32_e32 v1, s23
	global_atomic_smin v0, v1, s[10:11]
.LBB46_54:                              ;   in Loop: Header=BB46_18 Depth=1
	s_or_b64 exec, exec, s[24:25]
	v_mov_b32_e32 v8, 0
	v_mov_b32_e32 v6, 1.0
.LBB46_55:                              ;   in Loop: Header=BB46_18 Depth=1
	s_or_b64 exec, exec, s[2:3]
	v_mul_f32_e32 v1, v8, v8
	v_fmac_f32_e32 v1, v6, v6
	v_div_scale_f32 v7, s[2:3], v1, v1, 1.0
	v_rcp_f32_e32 v9, v7
	v_div_scale_f32 v25, vcc, 1.0, v1, 1.0
	v_fma_f32 v26, -v7, v9, 1.0
	v_fmac_f32_e32 v9, v26, v9
	v_mul_f32_e32 v36, v25, v9
	v_fma_f32 v26, -v7, v36, v25
	v_fmac_f32_e32 v36, v26, v9
	ds_read_b128 v[26:29], v0 offset:128
	ds_read_b128 v[30:33], v19
	ds_read_b64 v[34:35], v22 offset:16
	v_fma_f32 v7, -v7, v36, v25
	v_div_fmas_f32 v7, v7, v9, v36
	v_div_fixup_f32 v36, v7, v1, 1.0
	s_waitcnt lgkmcnt(0)
	v_pk_fma_f32 v[34:35], v[26:27], v[30:31], v[34:35] op_sel_hi:[1,0,1]
	s_nop 0
	v_pk_fma_f32 v[26:27], v[26:27], v[30:31], v[34:35] op_sel:[0,1,1] op_sel_hi:[1,1,0] neg_lo:[0,1,0]
	v_mov_b32_e32 v30, v33
	v_pk_fma_f32 v[26:27], v[28:29], v[32:33], v[26:27] op_sel:[1,0,0] op_sel_hi:[0,0,1]
	v_pk_fma_f32 v[26:27], v[28:29], v[30:31], v[26:27] op_sel_hi:[1,0,1] neg_lo:[0,1,0]
	v_mov_b32_e32 v28, v11
	v_mov_b32_e32 v29, v10
	v_pk_add_f32 v[10:11], v[28:29], v[26:27] neg_lo:[0,1] neg_hi:[0,1]
	s_nop 0
	v_xor_b32_e32 v26, 0x80000000, v11
	v_mov_b32_e32 v27, v10
	v_pk_mul_f32 v[8:9], v[8:9], v[26:27] op_sel_hi:[0,1]
	v_pk_fma_f32 v[6:7], v[10:11], v[6:7], v[8:9] op_sel_hi:[1,0,1]
	s_nop 0
	v_pk_mul_f32 v[6:7], v[36:37], v[6:7] op_sel_hi:[0,1]
	v_pk_mov_b32 v[8:9], v[6:7], v[6:7] op_sel:[1,0]
	ds_write_b64 v19, v[8:9] offset:16
	s_waitcnt lgkmcnt(0)
	ds_read_b64 v[8:9], v24 offset:16
	ds_read_b64 v[10:11], v15
	s_waitcnt lgkmcnt(0)
	v_pk_fma_f32 v[10:11], v[6:7], v[8:9], v[10:11] op_sel:[1,0,0] op_sel_hi:[0,0,1]
	v_pk_fma_f32 v[6:7], v[6:7], v[8:9], v[10:11] op_sel:[0,1,0] neg_hi:[0,1,0]
	ds_write_b64 v15, v[6:7]
	s_waitcnt lgkmcnt(0)
	ds_read_b64 v[6:7], v0 offset:216
	ds_read_b64 v[10:11], v19 offset:24
	s_waitcnt lgkmcnt(1)
	v_cmp_neq_f32_e32 vcc, 0, v6
	v_cmp_neq_f32_e64 s[2:3], 0, v7
	s_or_b64 vcc, vcc, s[2:3]
	v_cndmask_b32_e32 v6, 1.0, v6, vcc
	s_nor_b64 s[24:25], vcc, s[0:1]
	v_cndmask_b32_e32 v8, 0, v7, vcc
	s_and_saveexec_b64 s[2:3], s[24:25]
	s_cbranch_execz .LBB46_59
; %bb.56:                               ;   in Loop: Header=BB46_18 Depth=1
	v_mbcnt_lo_u32_b32 v1, exec_lo, 0
	v_mbcnt_hi_u32_b32 v1, exec_hi, v1
	v_cmp_eq_u32_e32 vcc, 0, v1
	s_and_saveexec_b64 s[24:25], vcc
	s_cbranch_execz .LBB46_58
; %bb.57:                               ;   in Loop: Header=BB46_18 Depth=1
	v_mov_b32_e32 v1, s23
	global_atomic_smin v0, v1, s[10:11]
.LBB46_58:                              ;   in Loop: Header=BB46_18 Depth=1
	s_or_b64 exec, exec, s[24:25]
	v_mov_b32_e32 v8, 0
	v_mov_b32_e32 v6, 1.0
.LBB46_59:                              ;   in Loop: Header=BB46_18 Depth=1
	s_or_b64 exec, exec, s[2:3]
	v_mul_f32_e32 v1, v8, v8
	v_fmac_f32_e32 v1, v6, v6
	v_div_scale_f32 v7, s[2:3], v1, v1, 1.0
	v_rcp_f32_e32 v9, v7
	ds_read_b128 v[26:29], v19
	ds_read_b64 v[34:35], v19 offset:16
	v_fma_f32 v25, -v7, v9, 1.0
	v_fmac_f32_e32 v9, v25, v9
	v_div_scale_f32 v25, vcc, 1.0, v1, 1.0
	v_mul_f32_e32 v38, v25, v9
	v_fma_f32 v30, -v7, v38, v25
	v_fmac_f32_e32 v38, v30, v9
	ds_read_b128 v[30:33], v0 offset:192
	ds_read_b64 v[36:37], v22 offset:24
	ds_read_b64 v[40:41], v0 offset:208
	v_fma_f32 v7, -v7, v38, v25
	v_div_fmas_f32 v7, v7, v9, v38
	v_div_fixup_f32 v38, v7, v1, 1.0
	s_waitcnt lgkmcnt(1)
	v_pk_fma_f32 v[36:37], v[30:31], v[26:27], v[36:37] op_sel_hi:[1,0,1]
	s_nop 0
	v_pk_fma_f32 v[26:27], v[30:31], v[26:27], v[36:37] op_sel:[0,1,1] op_sel_hi:[1,1,0] neg_lo:[0,1,0]
	s_nop 0
	v_pk_fma_f32 v[26:27], v[32:33], v[28:29], v[26:27] op_sel:[1,0,0] op_sel_hi:[0,0,1]
	v_mov_b32_e32 v28, v29
	v_pk_fma_f32 v[26:27], v[32:33], v[28:29], v[26:27] op_sel_hi:[1,0,1] neg_lo:[0,1,0]
	v_mov_b32_e32 v28, v11
	s_waitcnt lgkmcnt(0)
	v_pk_fma_f32 v[26:27], v[40:41], v[34:35], v[26:27] op_sel:[1,0,0] op_sel_hi:[0,0,1]
	v_pk_fma_f32 v[26:27], v[40:41], v[34:35], v[26:27] op_sel:[0,1,0] neg_lo:[0,1,0]
	v_mov_b32_e32 v29, v10
	v_pk_add_f32 v[10:11], v[28:29], v[26:27] neg_lo:[0,1] neg_hi:[0,1]
	s_nop 0
	v_xor_b32_e32 v26, 0x80000000, v11
	v_mov_b32_e32 v27, v10
	v_pk_mul_f32 v[8:9], v[8:9], v[26:27] op_sel_hi:[0,1]
	v_pk_fma_f32 v[6:7], v[10:11], v[6:7], v[8:9] op_sel_hi:[1,0,1]
	s_nop 0
	v_pk_mul_f32 v[6:7], v[38:39], v[6:7] op_sel_hi:[0,1]
	v_pk_mov_b32 v[8:9], v[6:7], v[6:7] op_sel:[1,0]
	ds_write_b64 v19, v[8:9] offset:24
	s_waitcnt lgkmcnt(0)
	ds_read_b64 v[8:9], v24 offset:24
	ds_read_b64 v[10:11], v15
	s_waitcnt lgkmcnt(0)
	v_pk_fma_f32 v[10:11], v[6:7], v[8:9], v[10:11] op_sel:[1,0,0] op_sel_hi:[0,0,1]
	v_pk_fma_f32 v[6:7], v[6:7], v[8:9], v[10:11] op_sel:[0,1,0] neg_hi:[0,1,0]
	ds_write_b64 v15, v[6:7]
	s_waitcnt lgkmcnt(0)
	ds_read_b64 v[6:7], v0 offset:288
	ds_read_b64 v[10:11], v19 offset:32
	s_waitcnt lgkmcnt(1)
	v_cmp_neq_f32_e32 vcc, 0, v6
	v_cmp_neq_f32_e64 s[2:3], 0, v7
	s_or_b64 vcc, vcc, s[2:3]
	v_cndmask_b32_e32 v6, 1.0, v6, vcc
	s_nor_b64 s[24:25], vcc, s[0:1]
	v_cndmask_b32_e32 v8, 0, v7, vcc
	s_and_saveexec_b64 s[2:3], s[24:25]
	s_cbranch_execz .LBB46_63
; %bb.60:                               ;   in Loop: Header=BB46_18 Depth=1
	v_mbcnt_lo_u32_b32 v1, exec_lo, 0
	v_mbcnt_hi_u32_b32 v1, exec_hi, v1
	v_cmp_eq_u32_e32 vcc, 0, v1
	s_and_saveexec_b64 s[24:25], vcc
	s_cbranch_execz .LBB46_62
; %bb.61:                               ;   in Loop: Header=BB46_18 Depth=1
	v_mov_b32_e32 v1, s23
	global_atomic_smin v0, v1, s[10:11]
.LBB46_62:                              ;   in Loop: Header=BB46_18 Depth=1
	s_or_b64 exec, exec, s[24:25]
	v_mov_b32_e32 v8, 0
	v_mov_b32_e32 v6, 1.0
.LBB46_63:                              ;   in Loop: Header=BB46_18 Depth=1
	s_or_b64 exec, exec, s[2:3]
	v_mul_f32_e32 v1, v8, v8
	v_fmac_f32_e32 v1, v6, v6
	v_div_scale_f32 v7, s[2:3], v1, v1, 1.0
	v_rcp_f32_e32 v9, v7
	ds_read_b128 v[26:29], v19
	ds_read_b128 v[30:33], v19 offset:16
	v_fma_f32 v25, -v7, v9, 1.0
	v_fmac_f32_e32 v9, v25, v9
	v_div_scale_f32 v25, vcc, 1.0, v1, 1.0
	v_mul_f32_e32 v38, v25, v9
	v_fma_f32 v34, -v7, v38, v25
	v_fmac_f32_e32 v38, v34, v9
	ds_read_b128 v[34:37], v0 offset:256
	ds_read_b64 v[42:43], v22 offset:32
	v_fma_f32 v7, -v7, v38, v25
	v_div_fmas_f32 v7, v7, v9, v38
	ds_read_b128 v[38:41], v0 offset:272
	v_div_fixup_f32 v44, v7, v1, 1.0
	s_waitcnt lgkmcnt(1)
	v_pk_fma_f32 v[42:43], v[34:35], v[26:27], v[42:43] op_sel_hi:[1,0,1]
	s_nop 0
	v_pk_fma_f32 v[26:27], v[34:35], v[26:27], v[42:43] op_sel:[0,1,1] op_sel_hi:[1,1,0] neg_lo:[0,1,0]
	s_nop 0
	v_pk_fma_f32 v[26:27], v[36:37], v[28:29], v[26:27] op_sel:[1,0,0] op_sel_hi:[0,0,1]
	v_mov_b32_e32 v28, v29
	v_pk_fma_f32 v[26:27], v[36:37], v[28:29], v[26:27] op_sel_hi:[1,0,1] neg_lo:[0,1,0]
	v_mov_b32_e32 v28, v33
	s_waitcnt lgkmcnt(0)
	v_pk_fma_f32 v[26:27], v[38:39], v[30:31], v[26:27] op_sel:[1,0,0] op_sel_hi:[0,0,1]
	v_pk_fma_f32 v[26:27], v[38:39], v[30:31], v[26:27] op_sel:[0,1,0] neg_lo:[0,1,0]
	s_nop 0
	v_pk_fma_f32 v[26:27], v[40:41], v[32:33], v[26:27] op_sel:[1,0,0] op_sel_hi:[0,0,1]
	v_pk_fma_f32 v[26:27], v[40:41], v[28:29], v[26:27] op_sel_hi:[1,0,1] neg_lo:[0,1,0]
	v_mov_b32_e32 v28, v11
	v_mov_b32_e32 v29, v10
	v_pk_add_f32 v[10:11], v[28:29], v[26:27] neg_lo:[0,1] neg_hi:[0,1]
	s_nop 0
	v_xor_b32_e32 v26, 0x80000000, v11
	v_mov_b32_e32 v27, v10
	v_pk_mul_f32 v[8:9], v[8:9], v[26:27] op_sel_hi:[0,1]
	v_pk_fma_f32 v[6:7], v[10:11], v[6:7], v[8:9] op_sel_hi:[1,0,1]
	s_nop 0
	v_pk_mul_f32 v[6:7], v[44:45], v[6:7] op_sel_hi:[0,1]
	v_pk_mov_b32 v[8:9], v[6:7], v[6:7] op_sel:[1,0]
	ds_write_b64 v19, v[8:9] offset:32
	s_waitcnt lgkmcnt(0)
	ds_read_b64 v[8:9], v24 offset:32
	ds_read_b64 v[10:11], v15
	s_waitcnt lgkmcnt(0)
	v_pk_fma_f32 v[10:11], v[6:7], v[8:9], v[10:11] op_sel:[1,0,0] op_sel_hi:[0,0,1]
	v_pk_fma_f32 v[6:7], v[6:7], v[8:9], v[10:11] op_sel:[0,1,0] neg_hi:[0,1,0]
	ds_write_b64 v15, v[6:7]
	s_waitcnt lgkmcnt(0)
	ds_read_b64 v[6:7], v0 offset:360
	ds_read_b64 v[10:11], v19 offset:40
	s_waitcnt lgkmcnt(1)
	v_cmp_neq_f32_e32 vcc, 0, v6
	v_cmp_neq_f32_e64 s[2:3], 0, v7
	s_or_b64 vcc, vcc, s[2:3]
	v_cndmask_b32_e32 v6, 1.0, v6, vcc
	s_nor_b64 s[24:25], vcc, s[0:1]
	v_cndmask_b32_e32 v8, 0, v7, vcc
	s_and_saveexec_b64 s[2:3], s[24:25]
	s_cbranch_execz .LBB46_67
; %bb.64:                               ;   in Loop: Header=BB46_18 Depth=1
	v_mbcnt_lo_u32_b32 v1, exec_lo, 0
	v_mbcnt_hi_u32_b32 v1, exec_hi, v1
	v_cmp_eq_u32_e32 vcc, 0, v1
	s_and_saveexec_b64 s[24:25], vcc
	s_cbranch_execz .LBB46_66
; %bb.65:                               ;   in Loop: Header=BB46_18 Depth=1
	v_mov_b32_e32 v1, s23
	global_atomic_smin v0, v1, s[10:11]
.LBB46_66:                              ;   in Loop: Header=BB46_18 Depth=1
	s_or_b64 exec, exec, s[24:25]
	v_mov_b32_e32 v8, 0
	v_mov_b32_e32 v6, 1.0
.LBB46_67:                              ;   in Loop: Header=BB46_18 Depth=1
	s_or_b64 exec, exec, s[2:3]
	v_mul_f32_e32 v1, v8, v8
	v_fmac_f32_e32 v1, v6, v6
	v_div_scale_f32 v7, s[2:3], v1, v1, 1.0
	v_rcp_f32_e32 v9, v7
	ds_read_b128 v[26:29], v19
	ds_read_b128 v[30:33], v19 offset:16
	v_fma_f32 v25, -v7, v9, 1.0
	v_fmac_f32_e32 v9, v25, v9
	v_div_scale_f32 v25, vcc, 1.0, v1, 1.0
	v_mul_f32_e32 v38, v25, v9
	v_fma_f32 v34, -v7, v38, v25
	v_fmac_f32_e32 v38, v34, v9
	ds_read_b128 v[34:37], v0 offset:320
	ds_read_b64 v[42:43], v19 offset:32
	ds_read_b64 v[44:45], v22 offset:40
	v_fma_f32 v7, -v7, v38, v25
	v_div_fmas_f32 v7, v7, v9, v38
	ds_read_b128 v[38:41], v0 offset:336
	ds_read_b64 v[48:49], v0 offset:352
	v_div_fixup_f32 v46, v7, v1, 1.0
	s_waitcnt lgkmcnt(2)
	v_pk_fma_f32 v[44:45], v[34:35], v[26:27], v[44:45] op_sel_hi:[1,0,1]
	s_nop 0
	v_pk_fma_f32 v[26:27], v[34:35], v[26:27], v[44:45] op_sel:[1,1,0] op_sel_hi:[0,1,1] neg_hi:[0,1,0]
	v_pk_fma_f32 v[26:27], v[36:37], v[28:29], v[26:27] op_sel_hi:[1,0,1]
	v_mov_b32_e32 v28, v29
	v_pk_fma_f32 v[26:27], v[36:37], v[28:29], v[26:27] op_sel:[0,0,1] op_sel_hi:[1,0,0] neg_lo:[0,1,0]
	v_mov_b32_e32 v28, v33
	s_waitcnt lgkmcnt(1)
	v_pk_fma_f32 v[26:27], v[38:39], v[30:31], v[26:27] op_sel:[1,0,0] op_sel_hi:[0,0,1]
	v_pk_fma_f32 v[26:27], v[38:39], v[30:31], v[26:27] op_sel:[0,1,0] neg_lo:[0,1,0]
	s_nop 0
	v_pk_fma_f32 v[26:27], v[40:41], v[32:33], v[26:27] op_sel:[1,0,0] op_sel_hi:[0,0,1]
	v_pk_fma_f32 v[26:27], v[40:41], v[28:29], v[26:27] op_sel_hi:[1,0,1] neg_lo:[0,1,0]
	v_mov_b32_e32 v28, v11
	s_waitcnt lgkmcnt(0)
	v_pk_fma_f32 v[26:27], v[48:49], v[42:43], v[26:27] op_sel:[1,0,0] op_sel_hi:[0,0,1]
	v_pk_fma_f32 v[26:27], v[48:49], v[42:43], v[26:27] op_sel:[0,1,0] neg_lo:[0,1,0]
	v_mov_b32_e32 v29, v10
	v_pk_add_f32 v[10:11], v[28:29], v[26:27] neg_lo:[0,1] neg_hi:[0,1]
	s_nop 0
	v_xor_b32_e32 v26, 0x80000000, v11
	v_mov_b32_e32 v27, v10
	v_pk_mul_f32 v[8:9], v[8:9], v[26:27] op_sel_hi:[0,1]
	v_pk_fma_f32 v[6:7], v[10:11], v[6:7], v[8:9] op_sel_hi:[1,0,1]
	s_nop 0
	v_pk_mul_f32 v[6:7], v[46:47], v[6:7] op_sel_hi:[0,1]
	v_pk_mov_b32 v[8:9], v[6:7], v[6:7] op_sel:[1,0]
	ds_write_b64 v19, v[8:9] offset:40
	s_waitcnt lgkmcnt(0)
	ds_read_b64 v[8:9], v24 offset:40
	ds_read_b64 v[10:11], v15
	s_waitcnt lgkmcnt(0)
	v_pk_fma_f32 v[10:11], v[6:7], v[8:9], v[10:11] op_sel:[1,0,0] op_sel_hi:[0,0,1]
	v_pk_fma_f32 v[6:7], v[6:7], v[8:9], v[10:11] op_sel:[0,1,0] neg_hi:[0,1,0]
	ds_write_b64 v15, v[6:7]
	s_waitcnt lgkmcnt(0)
	ds_read_b64 v[6:7], v0 offset:432
	ds_read_b64 v[10:11], v19 offset:48
	s_waitcnt lgkmcnt(1)
	v_cmp_neq_f32_e32 vcc, 0, v6
	v_cmp_neq_f32_e64 s[2:3], 0, v7
	s_or_b64 vcc, vcc, s[2:3]
	v_cndmask_b32_e32 v6, 1.0, v6, vcc
	s_nor_b64 s[24:25], vcc, s[0:1]
	v_cndmask_b32_e32 v8, 0, v7, vcc
	s_and_saveexec_b64 s[2:3], s[24:25]
	s_cbranch_execz .LBB46_17
; %bb.68:                               ;   in Loop: Header=BB46_18 Depth=1
	v_mbcnt_lo_u32_b32 v1, exec_lo, 0
	v_mbcnt_hi_u32_b32 v1, exec_hi, v1
	v_cmp_eq_u32_e32 vcc, 0, v1
	s_and_saveexec_b64 s[24:25], vcc
	s_cbranch_execz .LBB46_16
; %bb.69:                               ;   in Loop: Header=BB46_18 Depth=1
	v_mov_b32_e32 v1, s23
	global_atomic_smin v0, v1, s[10:11]
	s_branch .LBB46_16
.LBB46_70:
	s_cmp_lg_u32 s33, 0
	s_cselect_b64 s[12:13], -1, 0
	s_cmp_eq_u32 s33, 0
	v_mov_b32_e32 v0, v14
	s_cbranch_scc1 .LBB46_72
; %bb.71:
	v_mad_u32_u24 v0, v12, 7, v13
.LBB46_72:
	s_mul_i32 s20, s30, 49
	v_add_u32_e32 v0, s20, v0
	v_ashrrev_i32_e32 v1, 31, v0
	v_lshl_add_u64 v[0:1], v[0:1], 3, s[18:19]
	global_load_dwordx2 v[6:7], v[0:1], off
	v_mov_b32_e32 v0, 0x380
	v_lshl_add_u32 v4, v13, 6, v0
	v_cmp_ne_u32_e64 s[2:3], 0, v13
	v_lshl_add_u32 v1, v12, 3, v4
	v_cmp_eq_u32_e32 vcc, 0, v13
	s_waitcnt vmcnt(0)
	ds_write_b64 v1, v[6:7]
	s_waitcnt lgkmcnt(0)
	s_and_saveexec_b64 s[4:5], vcc
	s_cbranch_execz .LBB46_82
; %bb.73:
	v_mov_b32_e32 v5, 0
	ds_read2_b64 v[6:9], v5 offset0:112 offset1:168
	s_waitcnt lgkmcnt(0)
	v_sub_f32_e32 v0, v6, v8
	v_sub_f32_e32 v6, v7, v9
	v_cmp_gt_f32_e32 vcc, 0, v0
	s_nop 1
	v_cndmask_b32_e64 v0, v0, -v0, vcc
	v_cmp_gt_f32_e32 vcc, 0, v6
	s_nop 1
	v_cndmask_b32_e64 v2, v6, -v6, vcc
	v_cmp_ngt_f32_e32 vcc, v0, v2
	s_cbranch_vccz .LBB46_79
; %bb.74:
	v_cmp_eq_f32_e32 vcc, 0, v6
	s_cbranch_vccnz .LBB46_76
; %bb.75:
	v_div_scale_f32 v5, s[0:1], v2, v2, v0
	v_rcp_f32_e32 v6, v5
	v_div_scale_f32 v7, vcc, v0, v2, v0
	s_mov_b32 s0, 0xf800000
	v_fma_f32 v8, -v5, v6, 1.0
	v_fmac_f32_e32 v6, v8, v6
	v_mul_f32_e32 v8, v7, v6
	v_fma_f32 v9, -v5, v8, v7
	v_fmac_f32_e32 v8, v9, v6
	v_fma_f32 v5, -v5, v8, v7
	v_div_fmas_f32 v5, v5, v6, v8
	v_div_fixup_f32 v5, v5, v2, v0
	v_fma_f32 v5, v5, v5, 1.0
	v_mul_f32_e32 v6, 0x4f800000, v5
	v_cmp_gt_f32_e32 vcc, s0, v5
	s_nop 1
	v_cndmask_b32_e32 v5, v5, v6, vcc
	v_sqrt_f32_e32 v6, v5
	s_nop 0
	v_add_u32_e32 v7, -1, v6
	v_fma_f32 v8, -v7, v6, v5
	v_cmp_ge_f32_e64 s[0:1], 0, v8
	v_add_u32_e32 v8, 1, v6
	s_nop 0
	v_cndmask_b32_e64 v7, v6, v7, s[0:1]
	v_fma_f32 v6, -v8, v6, v5
	v_cmp_lt_f32_e64 s[0:1], 0, v6
	s_nop 1
	v_cndmask_b32_e64 v6, v7, v8, s[0:1]
	v_mul_f32_e32 v7, 0x37800000, v6
	v_cndmask_b32_e32 v6, v6, v7, vcc
	v_mov_b32_e32 v7, 0x260
	v_cmp_class_f32_e32 vcc, v5, v7
	s_nop 1
	v_cndmask_b32_e32 v5, v6, v5, vcc
	v_mul_f32_e32 v5, v2, v5
.LBB46_76:
	s_cbranch_execz .LBB46_80
	s_branch .LBB46_81
.LBB46_77:
	s_cbranch_execnz .LBB46_175
.LBB46_78:
	s_endpgm
.LBB46_79:
                                        ; implicit-def: $vgpr5
.LBB46_80:
	v_div_scale_f32 v5, s[0:1], v0, v0, v2
	v_rcp_f32_e32 v6, v5
	v_div_scale_f32 v7, vcc, v2, v0, v2
	s_mov_b32 s0, 0xf800000
	v_fma_f32 v8, -v5, v6, 1.0
	v_fmac_f32_e32 v6, v8, v6
	v_mul_f32_e32 v8, v7, v6
	v_fma_f32 v9, -v5, v8, v7
	v_fmac_f32_e32 v8, v9, v6
	v_fma_f32 v5, -v5, v8, v7
	v_div_fmas_f32 v5, v5, v6, v8
	v_div_fixup_f32 v2, v5, v0, v2
	v_fma_f32 v2, v2, v2, 1.0
	v_mul_f32_e32 v5, 0x4f800000, v2
	v_cmp_gt_f32_e32 vcc, s0, v2
	s_nop 1
	v_cndmask_b32_e32 v2, v2, v5, vcc
	v_sqrt_f32_e32 v5, v2
	s_nop 0
	v_add_u32_e32 v6, -1, v5
	v_fma_f32 v7, -v6, v5, v2
	v_cmp_ge_f32_e64 s[0:1], 0, v7
	v_add_u32_e32 v7, 1, v5
	s_nop 0
	v_cndmask_b32_e64 v6, v5, v6, s[0:1]
	v_fma_f32 v5, -v7, v5, v2
	v_cmp_lt_f32_e64 s[0:1], 0, v5
	s_nop 1
	v_cndmask_b32_e64 v5, v6, v7, s[0:1]
	v_mul_f32_e32 v6, 0x37800000, v5
	v_cndmask_b32_e32 v5, v5, v6, vcc
	v_mov_b32_e32 v6, 0x260
	v_cmp_class_f32_e32 vcc, v2, v6
	s_nop 1
	v_cndmask_b32_e32 v2, v5, v2, vcc
	v_mul_f32_e32 v5, v0, v2
.LBB46_81:
	s_mov_b32 s0, 0xf800000
	v_mul_f32_e32 v0, 0x4f800000, v5
	v_cmp_gt_f32_e32 vcc, s0, v5
	v_mov_b32_e32 v7, 0
	s_nop 0
	v_cndmask_b32_e32 v0, v5, v0, vcc
	v_sqrt_f32_e32 v2, v0
	s_nop 0
	v_add_u32_e32 v5, -1, v2
	v_fma_f32 v6, -v5, v2, v0
	v_cmp_ge_f32_e64 s[0:1], 0, v6
	v_add_u32_e32 v6, 1, v2
	s_nop 0
	v_cndmask_b32_e64 v5, v2, v5, s[0:1]
	v_fma_f32 v2, -v6, v2, v0
	v_cmp_lt_f32_e64 s[0:1], 0, v2
	s_nop 1
	v_cndmask_b32_e64 v2, v5, v6, s[0:1]
	v_mul_f32_e32 v5, 0x37800000, v2
	v_cndmask_b32_e32 v2, v2, v5, vcc
	v_mov_b32_e32 v5, 0x260
	v_cmp_class_f32_e32 vcc, v0, v5
	s_nop 1
	v_cndmask_b32_e32 v6, v2, v0, vcc
	ds_write_b64 v7, v[6:7] offset:896
.LBB46_82:
	s_or_b64 exec, exec, s[4:5]
	v_mov_b32_e32 v0, 0
	s_waitcnt lgkmcnt(0)
	ds_read_b64 v[6:7], v0 offset:896
	v_or_b32_e32 v5, v12, v13
	v_cmp_ne_u32_e64 s[0:1], 0, v5
	s_add_i32 s21, s16, s17
	s_waitcnt lgkmcnt(0)
	v_cmp_neq_f32_e32 vcc, 0, v6
	v_cmp_neq_f32_e64 s[4:5], 0, v7
	s_or_b64 vcc, vcc, s[4:5]
	v_cndmask_b32_e32 v0, 1.0, v6, vcc
	s_nor_b64 s[14:15], vcc, s[0:1]
	v_cndmask_b32_e32 v2, 0, v7, vcc
	s_and_saveexec_b64 s[4:5], s[14:15]
	s_cbranch_execz .LBB46_86
; %bb.83:
	v_mbcnt_lo_u32_b32 v0, exec_lo, 0
	v_mbcnt_hi_u32_b32 v0, exec_hi, v0
	v_cmp_eq_u32_e32 vcc, 0, v0
	s_and_saveexec_b64 s[14:15], vcc
	s_cbranch_execz .LBB46_85
; %bb.84:
	v_mov_b32_e32 v0, 0
	v_mov_b32_e32 v2, s21
	global_atomic_smin v0, v2, s[10:11]
.LBB46_85:
	s_or_b64 exec, exec, s[14:15]
	v_mov_b32_e32 v2, 0
	v_mov_b32_e32 v0, 1.0
.LBB46_86:
	s_or_b64 exec, exec, s[4:5]
	v_mov_b32_e32 v6, 0x380
	v_lshl_add_u32 v6, v12, 6, v6
	s_and_saveexec_b64 s[4:5], s[2:3]
	s_cbranch_execz .LBB46_88
; %bb.87:
	v_mul_f32_e32 v7, v2, v2
	v_fmac_f32_e32 v7, v0, v0
	v_div_scale_f32 v17, s[2:3], v7, v7, 1.0
	v_rcp_f32_e32 v18, v17
	v_div_scale_f32 v19, vcc, 1.0, v7, 1.0
	v_fma_f32 v8, -v17, v18, 1.0
	v_fmac_f32_e32 v18, v8, v18
	v_mul_f32_e32 v20, v19, v18
	v_fma_f32 v8, -v17, v20, v19
	v_fmac_f32_e32 v20, v8, v18
	ds_read_b64 v[8:9], v4
	ds_read_b64 v[10:11], v16
	v_fma_f32 v17, -v17, v20, v19
	v_div_fmas_f32 v17, v17, v18, v20
	v_div_fixup_f32 v18, v17, v7, 1.0
	s_waitcnt lgkmcnt(0)
	v_pk_add_f32 v[8:9], v[8:9], v[10:11] op_sel:[1,1] op_sel_hi:[0,0] neg_lo:[0,1] neg_hi:[0,1]
	v_xor_b32_e32 v10, 0x80000000, v9
	v_mov_b32_e32 v11, v8
	v_pk_mul_f32 v[10:11], v[2:3], v[10:11] op_sel_hi:[0,1]
	v_pk_fma_f32 v[8:9], v[8:9], v[0:1], v[10:11] op_sel_hi:[1,0,1]
	s_nop 0
	v_pk_mul_f32 v[8:9], v[18:19], v[8:9] op_sel_hi:[0,1]
	v_pk_mov_b32 v[10:11], v[8:9], v[8:9] op_sel:[1,0]
	ds_write_b64 v4, v[10:11]
	s_waitcnt lgkmcnt(0)
	ds_read_b64 v[10:11], v6
	ds_read_b64 v[18:19], v15
	s_waitcnt lgkmcnt(0)
	v_pk_fma_f32 v[18:19], v[8:9], v[10:11], v[18:19] op_sel:[1,0,0] op_sel_hi:[0,0,1]
	v_pk_fma_f32 v[8:9], v[8:9], v[10:11], v[18:19] op_sel:[0,1,0] neg_hi:[0,1,0]
	ds_write_b64 v15, v[8:9]
.LBB46_88:
	s_or_b64 exec, exec, s[4:5]
	v_cmp_eq_u32_e32 vcc, 1, v13
	s_waitcnt lgkmcnt(0)
	s_and_saveexec_b64 s[4:5], vcc
	s_cbranch_execz .LBB46_96
; %bb.89:
	v_mov_b32_e32 v7, 0
	ds_read2_b64 v[8:11], v7 offset0:121 offset1:177
	s_waitcnt lgkmcnt(0)
	v_sub_f32_e32 v0, v8, v10
	v_sub_f32_e32 v8, v9, v11
	v_cmp_gt_f32_e32 vcc, 0, v0
	s_nop 1
	v_cndmask_b32_e64 v0, v0, -v0, vcc
	v_cmp_gt_f32_e32 vcc, 0, v8
	s_nop 1
	v_cndmask_b32_e64 v2, v8, -v8, vcc
	v_cmp_gt_f32_e32 vcc, v0, v2
	s_cbranch_vccnz .LBB46_93
; %bb.90:
	v_cmp_eq_f32_e32 vcc, 0, v8
	s_cbranch_vccnz .LBB46_92
; %bb.91:
	v_div_scale_f32 v7, s[2:3], v2, v2, v0
	v_rcp_f32_e32 v8, v7
	v_div_scale_f32 v9, vcc, v0, v2, v0
	s_mov_b32 s2, 0xf800000
	v_fma_f32 v10, -v7, v8, 1.0
	v_fmac_f32_e32 v8, v10, v8
	v_mul_f32_e32 v10, v9, v8
	v_fma_f32 v11, -v7, v10, v9
	v_fmac_f32_e32 v10, v11, v8
	v_fma_f32 v7, -v7, v10, v9
	v_div_fmas_f32 v7, v7, v8, v10
	v_div_fixup_f32 v7, v7, v2, v0
	v_fma_f32 v7, v7, v7, 1.0
	v_mul_f32_e32 v8, 0x4f800000, v7
	v_cmp_gt_f32_e32 vcc, s2, v7
	s_nop 1
	v_cndmask_b32_e32 v7, v7, v8, vcc
	v_sqrt_f32_e32 v8, v7
	s_nop 0
	v_add_u32_e32 v9, -1, v8
	v_fma_f32 v10, -v9, v8, v7
	v_cmp_ge_f32_e64 s[2:3], 0, v10
	v_add_u32_e32 v10, 1, v8
	s_nop 0
	v_cndmask_b32_e64 v9, v8, v9, s[2:3]
	v_fma_f32 v8, -v10, v8, v7
	v_cmp_lt_f32_e64 s[2:3], 0, v8
	s_nop 1
	v_cndmask_b32_e64 v8, v9, v10, s[2:3]
	v_mul_f32_e32 v9, 0x37800000, v8
	v_cndmask_b32_e32 v8, v8, v9, vcc
	v_mov_b32_e32 v9, 0x260
	v_cmp_class_f32_e32 vcc, v7, v9
	s_nop 1
	v_cndmask_b32_e32 v7, v8, v7, vcc
	v_mul_f32_e32 v7, v2, v7
.LBB46_92:
	s_cbranch_execz .LBB46_94
	s_branch .LBB46_95
.LBB46_93:
                                        ; implicit-def: $vgpr7
.LBB46_94:
	v_div_scale_f32 v7, s[2:3], v0, v0, v2
	v_rcp_f32_e32 v8, v7
	v_div_scale_f32 v9, vcc, v2, v0, v2
	s_mov_b32 s2, 0xf800000
	v_fma_f32 v10, -v7, v8, 1.0
	v_fmac_f32_e32 v8, v10, v8
	v_mul_f32_e32 v10, v9, v8
	v_fma_f32 v11, -v7, v10, v9
	v_fmac_f32_e32 v10, v11, v8
	v_fma_f32 v7, -v7, v10, v9
	v_div_fmas_f32 v7, v7, v8, v10
	v_div_fixup_f32 v2, v7, v0, v2
	v_fma_f32 v2, v2, v2, 1.0
	v_mul_f32_e32 v7, 0x4f800000, v2
	v_cmp_gt_f32_e32 vcc, s2, v2
	s_nop 1
	v_cndmask_b32_e32 v2, v2, v7, vcc
	v_sqrt_f32_e32 v7, v2
	s_nop 0
	v_add_u32_e32 v8, -1, v7
	v_fma_f32 v9, -v8, v7, v2
	v_cmp_ge_f32_e64 s[2:3], 0, v9
	v_add_u32_e32 v9, 1, v7
	s_nop 0
	v_cndmask_b32_e64 v8, v7, v8, s[2:3]
	v_fma_f32 v7, -v9, v7, v2
	v_cmp_lt_f32_e64 s[2:3], 0, v7
	s_nop 1
	v_cndmask_b32_e64 v7, v8, v9, s[2:3]
	v_mul_f32_e32 v8, 0x37800000, v7
	v_cndmask_b32_e32 v7, v7, v8, vcc
	v_mov_b32_e32 v8, 0x260
	v_cmp_class_f32_e32 vcc, v2, v8
	s_nop 1
	v_cndmask_b32_e32 v2, v7, v2, vcc
	v_mul_f32_e32 v7, v0, v2
.LBB46_95:
	s_mov_b32 s2, 0xf800000
	v_mul_f32_e32 v0, 0x4f800000, v7
	v_cmp_gt_f32_e32 vcc, s2, v7
	v_mov_b32_e32 v9, 0
	s_nop 0
	v_cndmask_b32_e32 v0, v7, v0, vcc
	v_sqrt_f32_e32 v2, v0
	s_nop 0
	v_add_u32_e32 v7, -1, v2
	v_fma_f32 v8, -v7, v2, v0
	v_cmp_ge_f32_e64 s[2:3], 0, v8
	v_add_u32_e32 v8, 1, v2
	s_nop 0
	v_cndmask_b32_e64 v7, v2, v7, s[2:3]
	v_fma_f32 v2, -v8, v2, v0
	v_cmp_lt_f32_e64 s[2:3], 0, v2
	s_nop 1
	v_cndmask_b32_e64 v2, v7, v8, s[2:3]
	v_mul_f32_e32 v7, 0x37800000, v2
	v_cndmask_b32_e32 v2, v2, v7, vcc
	v_mov_b32_e32 v7, 0x260
	v_cmp_class_f32_e32 vcc, v0, v7
	s_nop 1
	v_cndmask_b32_e32 v8, v2, v0, vcc
	ds_write_b64 v9, v[8:9] offset:968
.LBB46_96:
	s_or_b64 exec, exec, s[4:5]
	v_mov_b32_e32 v0, 0
	s_waitcnt lgkmcnt(0)
	ds_read_b64 v[8:9], v0 offset:968
	s_waitcnt lgkmcnt(0)
	v_cmp_neq_f32_e32 vcc, 0, v8
	v_cmp_neq_f32_e64 s[2:3], 0, v9
	s_or_b64 vcc, vcc, s[2:3]
	v_cndmask_b32_e32 v0, 1.0, v8, vcc
	s_nor_b64 s[4:5], vcc, s[0:1]
	v_cndmask_b32_e32 v2, 0, v9, vcc
	s_and_saveexec_b64 s[2:3], s[4:5]
	s_cbranch_execz .LBB46_100
; %bb.97:
	v_mbcnt_lo_u32_b32 v0, exec_lo, 0
	v_mbcnt_hi_u32_b32 v0, exec_hi, v0
	v_cmp_eq_u32_e32 vcc, 0, v0
	s_and_saveexec_b64 s[4:5], vcc
	s_cbranch_execz .LBB46_99
; %bb.98:
	v_mov_b32_e32 v0, 0
	v_mov_b32_e32 v2, s21
	global_atomic_smin v0, v2, s[10:11]
.LBB46_99:
	s_or_b64 exec, exec, s[4:5]
	v_mov_b32_e32 v2, 0
	v_mov_b32_e32 v0, 1.0
.LBB46_100:
	s_or_b64 exec, exec, s[2:3]
	v_cmp_lt_u32_e32 vcc, 1, v13
	s_and_saveexec_b64 s[2:3], vcc
	s_cbranch_execz .LBB46_102
; %bb.101:
	v_mul_f32_e32 v7, v2, v2
	v_fmac_f32_e32 v7, v0, v0
	v_div_scale_f32 v17, s[4:5], v7, v7, 1.0
	v_rcp_f32_e32 v18, v17
	v_div_scale_f32 v19, vcc, 1.0, v7, 1.0
	v_fma_f32 v8, -v17, v18, 1.0
	v_fmac_f32_e32 v18, v8, v18
	v_mul_f32_e32 v20, v19, v18
	v_fma_f32 v8, -v17, v20, v19
	v_fmac_f32_e32 v20, v8, v18
	ds_read_b64 v[8:9], v4 offset:8
	ds_read_b64 v[10:11], v16 offset:8
	v_fma_f32 v17, -v17, v20, v19
	v_div_fmas_f32 v17, v17, v18, v20
	v_div_fixup_f32 v18, v17, v7, 1.0
	s_waitcnt lgkmcnt(0)
	v_pk_add_f32 v[8:9], v[8:9], v[10:11] op_sel:[1,1] op_sel_hi:[0,0] neg_lo:[0,1] neg_hi:[0,1]
	v_xor_b32_e32 v10, 0x80000000, v9
	v_mov_b32_e32 v11, v8
	v_pk_mul_f32 v[10:11], v[2:3], v[10:11] op_sel_hi:[0,1]
	v_pk_fma_f32 v[8:9], v[8:9], v[0:1], v[10:11] op_sel_hi:[1,0,1]
	s_nop 0
	v_pk_mul_f32 v[8:9], v[18:19], v[8:9] op_sel_hi:[0,1]
	v_pk_mov_b32 v[10:11], v[8:9], v[8:9] op_sel:[1,0]
	ds_write_b64 v4, v[10:11] offset:8
	s_waitcnt lgkmcnt(0)
	ds_read_b64 v[10:11], v6 offset:8
	ds_read_b64 v[18:19], v15
	s_waitcnt lgkmcnt(0)
	v_pk_fma_f32 v[18:19], v[8:9], v[10:11], v[18:19] op_sel:[1,0,0] op_sel_hi:[0,0,1]
	v_pk_fma_f32 v[8:9], v[8:9], v[10:11], v[18:19] op_sel:[0,1,0] neg_hi:[0,1,0]
	ds_write_b64 v15, v[8:9]
.LBB46_102:
	s_or_b64 exec, exec, s[2:3]
	v_cmp_eq_u32_e32 vcc, 2, v13
	s_waitcnt lgkmcnt(0)
	s_and_saveexec_b64 s[4:5], vcc
	s_cbranch_execz .LBB46_110
; %bb.103:
	v_mov_b32_e32 v7, 0
	ds_read2_b64 v[8:11], v7 offset0:130 offset1:186
	s_waitcnt lgkmcnt(0)
	v_sub_f32_e32 v0, v8, v10
	v_sub_f32_e32 v8, v9, v11
	v_cmp_gt_f32_e32 vcc, 0, v0
	s_nop 1
	v_cndmask_b32_e64 v0, v0, -v0, vcc
	v_cmp_gt_f32_e32 vcc, 0, v8
	s_nop 1
	v_cndmask_b32_e64 v2, v8, -v8, vcc
	v_cmp_gt_f32_e32 vcc, v0, v2
	s_cbranch_vccnz .LBB46_107
; %bb.104:
	v_cmp_eq_f32_e32 vcc, 0, v8
	s_cbranch_vccnz .LBB46_106
; %bb.105:
	v_div_scale_f32 v7, s[2:3], v2, v2, v0
	v_rcp_f32_e32 v8, v7
	v_div_scale_f32 v9, vcc, v0, v2, v0
	s_mov_b32 s2, 0xf800000
	v_fma_f32 v10, -v7, v8, 1.0
	v_fmac_f32_e32 v8, v10, v8
	v_mul_f32_e32 v10, v9, v8
	v_fma_f32 v11, -v7, v10, v9
	v_fmac_f32_e32 v10, v11, v8
	v_fma_f32 v7, -v7, v10, v9
	v_div_fmas_f32 v7, v7, v8, v10
	v_div_fixup_f32 v7, v7, v2, v0
	v_fma_f32 v7, v7, v7, 1.0
	v_mul_f32_e32 v8, 0x4f800000, v7
	v_cmp_gt_f32_e32 vcc, s2, v7
	s_nop 1
	v_cndmask_b32_e32 v7, v7, v8, vcc
	v_sqrt_f32_e32 v8, v7
	s_nop 0
	v_add_u32_e32 v9, -1, v8
	v_fma_f32 v10, -v9, v8, v7
	v_cmp_ge_f32_e64 s[2:3], 0, v10
	v_add_u32_e32 v10, 1, v8
	s_nop 0
	v_cndmask_b32_e64 v9, v8, v9, s[2:3]
	v_fma_f32 v8, -v10, v8, v7
	v_cmp_lt_f32_e64 s[2:3], 0, v8
	s_nop 1
	v_cndmask_b32_e64 v8, v9, v10, s[2:3]
	v_mul_f32_e32 v9, 0x37800000, v8
	v_cndmask_b32_e32 v8, v8, v9, vcc
	v_mov_b32_e32 v9, 0x260
	v_cmp_class_f32_e32 vcc, v7, v9
	s_nop 1
	v_cndmask_b32_e32 v7, v8, v7, vcc
	v_mul_f32_e32 v7, v2, v7
.LBB46_106:
	s_cbranch_execz .LBB46_108
	s_branch .LBB46_109
.LBB46_107:
                                        ; implicit-def: $vgpr7
.LBB46_108:
	v_div_scale_f32 v7, s[2:3], v0, v0, v2
	v_rcp_f32_e32 v8, v7
	v_div_scale_f32 v9, vcc, v2, v0, v2
	s_mov_b32 s2, 0xf800000
	v_fma_f32 v10, -v7, v8, 1.0
	v_fmac_f32_e32 v8, v10, v8
	v_mul_f32_e32 v10, v9, v8
	v_fma_f32 v11, -v7, v10, v9
	v_fmac_f32_e32 v10, v11, v8
	v_fma_f32 v7, -v7, v10, v9
	v_div_fmas_f32 v7, v7, v8, v10
	v_div_fixup_f32 v2, v7, v0, v2
	v_fma_f32 v2, v2, v2, 1.0
	v_mul_f32_e32 v7, 0x4f800000, v2
	v_cmp_gt_f32_e32 vcc, s2, v2
	s_nop 1
	v_cndmask_b32_e32 v2, v2, v7, vcc
	v_sqrt_f32_e32 v7, v2
	s_nop 0
	v_add_u32_e32 v8, -1, v7
	v_fma_f32 v9, -v8, v7, v2
	v_cmp_ge_f32_e64 s[2:3], 0, v9
	v_add_u32_e32 v9, 1, v7
	s_nop 0
	v_cndmask_b32_e64 v8, v7, v8, s[2:3]
	v_fma_f32 v7, -v9, v7, v2
	v_cmp_lt_f32_e64 s[2:3], 0, v7
	s_nop 1
	v_cndmask_b32_e64 v7, v8, v9, s[2:3]
	v_mul_f32_e32 v8, 0x37800000, v7
	v_cndmask_b32_e32 v7, v7, v8, vcc
	v_mov_b32_e32 v8, 0x260
	v_cmp_class_f32_e32 vcc, v2, v8
	s_nop 1
	v_cndmask_b32_e32 v2, v7, v2, vcc
	v_mul_f32_e32 v7, v0, v2
.LBB46_109:
	s_mov_b32 s2, 0xf800000
	v_mul_f32_e32 v0, 0x4f800000, v7
	v_cmp_gt_f32_e32 vcc, s2, v7
	v_mov_b32_e32 v9, 0
	s_nop 0
	v_cndmask_b32_e32 v0, v7, v0, vcc
	v_sqrt_f32_e32 v2, v0
	s_nop 0
	v_add_u32_e32 v7, -1, v2
	v_fma_f32 v8, -v7, v2, v0
	v_cmp_ge_f32_e64 s[2:3], 0, v8
	v_add_u32_e32 v8, 1, v2
	s_nop 0
	v_cndmask_b32_e64 v7, v2, v7, s[2:3]
	v_fma_f32 v2, -v8, v2, v0
	v_cmp_lt_f32_e64 s[2:3], 0, v2
	s_nop 1
	v_cndmask_b32_e64 v2, v7, v8, s[2:3]
	v_mul_f32_e32 v7, 0x37800000, v2
	v_cndmask_b32_e32 v2, v2, v7, vcc
	v_mov_b32_e32 v7, 0x260
	v_cmp_class_f32_e32 vcc, v0, v7
	s_nop 1
	v_cndmask_b32_e32 v8, v2, v0, vcc
	ds_write_b64 v9, v[8:9] offset:1040
.LBB46_110:
	s_or_b64 exec, exec, s[4:5]
	v_mov_b32_e32 v0, 0
	s_waitcnt lgkmcnt(0)
	ds_read_b64 v[8:9], v0 offset:1040
	s_waitcnt lgkmcnt(0)
	v_cmp_neq_f32_e32 vcc, 0, v8
	v_cmp_neq_f32_e64 s[2:3], 0, v9
	s_or_b64 vcc, vcc, s[2:3]
	v_cndmask_b32_e32 v0, 1.0, v8, vcc
	s_nor_b64 s[4:5], vcc, s[0:1]
	v_cndmask_b32_e32 v2, 0, v9, vcc
	s_and_saveexec_b64 s[2:3], s[4:5]
	s_cbranch_execz .LBB46_114
; %bb.111:
	v_mbcnt_lo_u32_b32 v0, exec_lo, 0
	v_mbcnt_hi_u32_b32 v0, exec_hi, v0
	v_cmp_eq_u32_e32 vcc, 0, v0
	s_and_saveexec_b64 s[4:5], vcc
	s_cbranch_execz .LBB46_113
; %bb.112:
	v_mov_b32_e32 v0, 0
	v_mov_b32_e32 v2, s21
	global_atomic_smin v0, v2, s[10:11]
.LBB46_113:
	s_or_b64 exec, exec, s[4:5]
	v_mov_b32_e32 v2, 0
	v_mov_b32_e32 v0, 1.0
.LBB46_114:
	s_or_b64 exec, exec, s[2:3]
	v_cmp_lt_u32_e32 vcc, 2, v13
	s_and_saveexec_b64 s[2:3], vcc
	s_cbranch_execz .LBB46_116
; %bb.115:
	v_mul_f32_e32 v7, v2, v2
	v_fmac_f32_e32 v7, v0, v0
	v_div_scale_f32 v17, s[4:5], v7, v7, 1.0
	v_rcp_f32_e32 v18, v17
	v_div_scale_f32 v19, vcc, 1.0, v7, 1.0
	v_fma_f32 v8, -v17, v18, 1.0
	v_fmac_f32_e32 v18, v8, v18
	v_mul_f32_e32 v20, v19, v18
	v_fma_f32 v8, -v17, v20, v19
	v_fmac_f32_e32 v20, v8, v18
	ds_read_b64 v[8:9], v4 offset:16
	ds_read_b64 v[10:11], v16 offset:16
	v_fma_f32 v17, -v17, v20, v19
	v_div_fmas_f32 v17, v17, v18, v20
	v_div_fixup_f32 v18, v17, v7, 1.0
	s_waitcnt lgkmcnt(0)
	v_pk_add_f32 v[8:9], v[8:9], v[10:11] op_sel:[1,1] op_sel_hi:[0,0] neg_lo:[0,1] neg_hi:[0,1]
	v_xor_b32_e32 v10, 0x80000000, v9
	v_mov_b32_e32 v11, v8
	v_pk_mul_f32 v[10:11], v[2:3], v[10:11] op_sel_hi:[0,1]
	v_pk_fma_f32 v[8:9], v[8:9], v[0:1], v[10:11] op_sel_hi:[1,0,1]
	s_nop 0
	v_pk_mul_f32 v[8:9], v[18:19], v[8:9] op_sel_hi:[0,1]
	v_pk_mov_b32 v[10:11], v[8:9], v[8:9] op_sel:[1,0]
	ds_write_b64 v4, v[10:11] offset:16
	s_waitcnt lgkmcnt(0)
	ds_read_b64 v[10:11], v6 offset:16
	ds_read_b64 v[18:19], v15
	s_waitcnt lgkmcnt(0)
	v_pk_fma_f32 v[18:19], v[8:9], v[10:11], v[18:19] op_sel:[1,0,0] op_sel_hi:[0,0,1]
	v_pk_fma_f32 v[8:9], v[8:9], v[10:11], v[18:19] op_sel:[0,1,0] neg_hi:[0,1,0]
	ds_write_b64 v15, v[8:9]
.LBB46_116:
	s_or_b64 exec, exec, s[2:3]
	v_cmp_eq_u32_e32 vcc, 3, v13
	s_waitcnt lgkmcnt(0)
	s_and_saveexec_b64 s[4:5], vcc
	s_cbranch_execz .LBB46_124
; %bb.117:
	v_mov_b32_e32 v7, 0
	ds_read2_b64 v[8:11], v7 offset0:139 offset1:195
	s_waitcnt lgkmcnt(0)
	v_sub_f32_e32 v0, v8, v10
	v_sub_f32_e32 v8, v9, v11
	v_cmp_gt_f32_e32 vcc, 0, v0
	s_nop 1
	v_cndmask_b32_e64 v0, v0, -v0, vcc
	v_cmp_gt_f32_e32 vcc, 0, v8
	s_nop 1
	v_cndmask_b32_e64 v2, v8, -v8, vcc
	v_cmp_gt_f32_e32 vcc, v0, v2
	s_cbranch_vccnz .LBB46_121
; %bb.118:
	v_cmp_eq_f32_e32 vcc, 0, v8
	s_cbranch_vccnz .LBB46_120
; %bb.119:
	v_div_scale_f32 v7, s[2:3], v2, v2, v0
	v_rcp_f32_e32 v8, v7
	v_div_scale_f32 v9, vcc, v0, v2, v0
	s_mov_b32 s2, 0xf800000
	v_fma_f32 v10, -v7, v8, 1.0
	v_fmac_f32_e32 v8, v10, v8
	v_mul_f32_e32 v10, v9, v8
	v_fma_f32 v11, -v7, v10, v9
	v_fmac_f32_e32 v10, v11, v8
	v_fma_f32 v7, -v7, v10, v9
	v_div_fmas_f32 v7, v7, v8, v10
	v_div_fixup_f32 v7, v7, v2, v0
	v_fma_f32 v7, v7, v7, 1.0
	v_mul_f32_e32 v8, 0x4f800000, v7
	v_cmp_gt_f32_e32 vcc, s2, v7
	s_nop 1
	v_cndmask_b32_e32 v7, v7, v8, vcc
	v_sqrt_f32_e32 v8, v7
	s_nop 0
	v_add_u32_e32 v9, -1, v8
	v_fma_f32 v10, -v9, v8, v7
	v_cmp_ge_f32_e64 s[2:3], 0, v10
	v_add_u32_e32 v10, 1, v8
	s_nop 0
	v_cndmask_b32_e64 v9, v8, v9, s[2:3]
	v_fma_f32 v8, -v10, v8, v7
	v_cmp_lt_f32_e64 s[2:3], 0, v8
	s_nop 1
	v_cndmask_b32_e64 v8, v9, v10, s[2:3]
	v_mul_f32_e32 v9, 0x37800000, v8
	v_cndmask_b32_e32 v8, v8, v9, vcc
	v_mov_b32_e32 v9, 0x260
	v_cmp_class_f32_e32 vcc, v7, v9
	s_nop 1
	v_cndmask_b32_e32 v7, v8, v7, vcc
	v_mul_f32_e32 v7, v2, v7
.LBB46_120:
	s_cbranch_execz .LBB46_122
	s_branch .LBB46_123
.LBB46_121:
                                        ; implicit-def: $vgpr7
.LBB46_122:
	v_div_scale_f32 v7, s[2:3], v0, v0, v2
	v_rcp_f32_e32 v8, v7
	v_div_scale_f32 v9, vcc, v2, v0, v2
	s_mov_b32 s2, 0xf800000
	v_fma_f32 v10, -v7, v8, 1.0
	v_fmac_f32_e32 v8, v10, v8
	v_mul_f32_e32 v10, v9, v8
	v_fma_f32 v11, -v7, v10, v9
	v_fmac_f32_e32 v10, v11, v8
	v_fma_f32 v7, -v7, v10, v9
	v_div_fmas_f32 v7, v7, v8, v10
	v_div_fixup_f32 v2, v7, v0, v2
	v_fma_f32 v2, v2, v2, 1.0
	v_mul_f32_e32 v7, 0x4f800000, v2
	v_cmp_gt_f32_e32 vcc, s2, v2
	s_nop 1
	v_cndmask_b32_e32 v2, v2, v7, vcc
	v_sqrt_f32_e32 v7, v2
	s_nop 0
	v_add_u32_e32 v8, -1, v7
	v_fma_f32 v9, -v8, v7, v2
	v_cmp_ge_f32_e64 s[2:3], 0, v9
	v_add_u32_e32 v9, 1, v7
	s_nop 0
	v_cndmask_b32_e64 v8, v7, v8, s[2:3]
	v_fma_f32 v7, -v9, v7, v2
	v_cmp_lt_f32_e64 s[2:3], 0, v7
	s_nop 1
	v_cndmask_b32_e64 v7, v8, v9, s[2:3]
	v_mul_f32_e32 v8, 0x37800000, v7
	v_cndmask_b32_e32 v7, v7, v8, vcc
	v_mov_b32_e32 v8, 0x260
	v_cmp_class_f32_e32 vcc, v2, v8
	s_nop 1
	v_cndmask_b32_e32 v2, v7, v2, vcc
	v_mul_f32_e32 v7, v0, v2
.LBB46_123:
	s_mov_b32 s2, 0xf800000
	v_mul_f32_e32 v0, 0x4f800000, v7
	v_cmp_gt_f32_e32 vcc, s2, v7
	v_mov_b32_e32 v9, 0
	s_nop 0
	v_cndmask_b32_e32 v0, v7, v0, vcc
	v_sqrt_f32_e32 v2, v0
	s_nop 0
	v_add_u32_e32 v7, -1, v2
	v_fma_f32 v8, -v7, v2, v0
	v_cmp_ge_f32_e64 s[2:3], 0, v8
	v_add_u32_e32 v8, 1, v2
	s_nop 0
	v_cndmask_b32_e64 v7, v2, v7, s[2:3]
	v_fma_f32 v2, -v8, v2, v0
	v_cmp_lt_f32_e64 s[2:3], 0, v2
	s_nop 1
	v_cndmask_b32_e64 v2, v7, v8, s[2:3]
	v_mul_f32_e32 v7, 0x37800000, v2
	v_cndmask_b32_e32 v2, v2, v7, vcc
	v_mov_b32_e32 v7, 0x260
	v_cmp_class_f32_e32 vcc, v0, v7
	s_nop 1
	v_cndmask_b32_e32 v8, v2, v0, vcc
	ds_write_b64 v9, v[8:9] offset:1112
.LBB46_124:
	s_or_b64 exec, exec, s[4:5]
	v_mov_b32_e32 v0, 0
	s_waitcnt lgkmcnt(0)
	ds_read_b64 v[8:9], v0 offset:1112
	s_waitcnt lgkmcnt(0)
	v_cmp_neq_f32_e32 vcc, 0, v8
	v_cmp_neq_f32_e64 s[2:3], 0, v9
	s_or_b64 vcc, vcc, s[2:3]
	v_cndmask_b32_e32 v0, 1.0, v8, vcc
	s_nor_b64 s[4:5], vcc, s[0:1]
	v_cndmask_b32_e32 v2, 0, v9, vcc
	s_and_saveexec_b64 s[2:3], s[4:5]
	s_cbranch_execz .LBB46_128
; %bb.125:
	v_mbcnt_lo_u32_b32 v0, exec_lo, 0
	v_mbcnt_hi_u32_b32 v0, exec_hi, v0
	v_cmp_eq_u32_e32 vcc, 0, v0
	s_and_saveexec_b64 s[4:5], vcc
	s_cbranch_execz .LBB46_127
; %bb.126:
	v_mov_b32_e32 v0, 0
	v_mov_b32_e32 v2, s21
	global_atomic_smin v0, v2, s[10:11]
.LBB46_127:
	s_or_b64 exec, exec, s[4:5]
	v_mov_b32_e32 v2, 0
	v_mov_b32_e32 v0, 1.0
.LBB46_128:
	s_or_b64 exec, exec, s[2:3]
	v_cmp_lt_u32_e32 vcc, 3, v13
	s_and_saveexec_b64 s[2:3], vcc
	s_cbranch_execz .LBB46_130
; %bb.129:
	v_mul_f32_e32 v7, v2, v2
	v_fmac_f32_e32 v7, v0, v0
	v_div_scale_f32 v17, s[4:5], v7, v7, 1.0
	v_rcp_f32_e32 v18, v17
	v_div_scale_f32 v19, vcc, 1.0, v7, 1.0
	v_fma_f32 v8, -v17, v18, 1.0
	v_fmac_f32_e32 v18, v8, v18
	v_mul_f32_e32 v20, v19, v18
	v_fma_f32 v8, -v17, v20, v19
	v_fmac_f32_e32 v20, v8, v18
	ds_read_b64 v[8:9], v4 offset:24
	ds_read_b64 v[10:11], v16 offset:24
	v_fma_f32 v17, -v17, v20, v19
	v_div_fmas_f32 v17, v17, v18, v20
	v_div_fixup_f32 v18, v17, v7, 1.0
	s_waitcnt lgkmcnt(0)
	v_pk_add_f32 v[8:9], v[8:9], v[10:11] op_sel:[1,1] op_sel_hi:[0,0] neg_lo:[0,1] neg_hi:[0,1]
	v_xor_b32_e32 v10, 0x80000000, v9
	v_mov_b32_e32 v11, v8
	v_pk_mul_f32 v[10:11], v[2:3], v[10:11] op_sel_hi:[0,1]
	v_pk_fma_f32 v[8:9], v[8:9], v[0:1], v[10:11] op_sel_hi:[1,0,1]
	s_nop 0
	v_pk_mul_f32 v[8:9], v[18:19], v[8:9] op_sel_hi:[0,1]
	v_pk_mov_b32 v[10:11], v[8:9], v[8:9] op_sel:[1,0]
	ds_write_b64 v4, v[10:11] offset:24
	s_waitcnt lgkmcnt(0)
	ds_read_b64 v[10:11], v6 offset:24
	ds_read_b64 v[18:19], v15
	s_waitcnt lgkmcnt(0)
	v_pk_fma_f32 v[18:19], v[8:9], v[10:11], v[18:19] op_sel:[1,0,0] op_sel_hi:[0,0,1]
	v_pk_fma_f32 v[8:9], v[8:9], v[10:11], v[18:19] op_sel:[0,1,0] neg_hi:[0,1,0]
	ds_write_b64 v15, v[8:9]
.LBB46_130:
	s_or_b64 exec, exec, s[2:3]
	v_cmp_eq_u32_e32 vcc, 4, v13
	s_waitcnt lgkmcnt(0)
	s_and_saveexec_b64 s[4:5], vcc
	s_cbranch_execz .LBB46_138
; %bb.131:
	v_mov_b32_e32 v7, 0
	ds_read2_b64 v[8:11], v7 offset0:148 offset1:204
	s_waitcnt lgkmcnt(0)
	v_sub_f32_e32 v0, v8, v10
	v_sub_f32_e32 v8, v9, v11
	v_cmp_gt_f32_e32 vcc, 0, v0
	s_nop 1
	v_cndmask_b32_e64 v0, v0, -v0, vcc
	v_cmp_gt_f32_e32 vcc, 0, v8
	s_nop 1
	v_cndmask_b32_e64 v2, v8, -v8, vcc
	v_cmp_gt_f32_e32 vcc, v0, v2
	s_cbranch_vccnz .LBB46_135
; %bb.132:
	v_cmp_eq_f32_e32 vcc, 0, v8
	s_cbranch_vccnz .LBB46_134
; %bb.133:
	v_div_scale_f32 v7, s[2:3], v2, v2, v0
	v_rcp_f32_e32 v8, v7
	v_div_scale_f32 v9, vcc, v0, v2, v0
	s_mov_b32 s2, 0xf800000
	v_fma_f32 v10, -v7, v8, 1.0
	v_fmac_f32_e32 v8, v10, v8
	v_mul_f32_e32 v10, v9, v8
	v_fma_f32 v11, -v7, v10, v9
	v_fmac_f32_e32 v10, v11, v8
	v_fma_f32 v7, -v7, v10, v9
	v_div_fmas_f32 v7, v7, v8, v10
	v_div_fixup_f32 v7, v7, v2, v0
	v_fma_f32 v7, v7, v7, 1.0
	v_mul_f32_e32 v8, 0x4f800000, v7
	v_cmp_gt_f32_e32 vcc, s2, v7
	s_nop 1
	v_cndmask_b32_e32 v7, v7, v8, vcc
	v_sqrt_f32_e32 v8, v7
	s_nop 0
	v_add_u32_e32 v9, -1, v8
	v_fma_f32 v10, -v9, v8, v7
	v_cmp_ge_f32_e64 s[2:3], 0, v10
	v_add_u32_e32 v10, 1, v8
	s_nop 0
	v_cndmask_b32_e64 v9, v8, v9, s[2:3]
	v_fma_f32 v8, -v10, v8, v7
	v_cmp_lt_f32_e64 s[2:3], 0, v8
	s_nop 1
	v_cndmask_b32_e64 v8, v9, v10, s[2:3]
	v_mul_f32_e32 v9, 0x37800000, v8
	v_cndmask_b32_e32 v8, v8, v9, vcc
	v_mov_b32_e32 v9, 0x260
	v_cmp_class_f32_e32 vcc, v7, v9
	s_nop 1
	v_cndmask_b32_e32 v7, v8, v7, vcc
	v_mul_f32_e32 v7, v2, v7
.LBB46_134:
	s_cbranch_execz .LBB46_136
	s_branch .LBB46_137
.LBB46_135:
                                        ; implicit-def: $vgpr7
.LBB46_136:
	v_div_scale_f32 v7, s[2:3], v0, v0, v2
	v_rcp_f32_e32 v8, v7
	v_div_scale_f32 v9, vcc, v2, v0, v2
	s_mov_b32 s2, 0xf800000
	v_fma_f32 v10, -v7, v8, 1.0
	v_fmac_f32_e32 v8, v10, v8
	v_mul_f32_e32 v10, v9, v8
	v_fma_f32 v11, -v7, v10, v9
	v_fmac_f32_e32 v10, v11, v8
	v_fma_f32 v7, -v7, v10, v9
	v_div_fmas_f32 v7, v7, v8, v10
	v_div_fixup_f32 v2, v7, v0, v2
	v_fma_f32 v2, v2, v2, 1.0
	v_mul_f32_e32 v7, 0x4f800000, v2
	v_cmp_gt_f32_e32 vcc, s2, v2
	s_nop 1
	v_cndmask_b32_e32 v2, v2, v7, vcc
	v_sqrt_f32_e32 v7, v2
	s_nop 0
	v_add_u32_e32 v8, -1, v7
	v_fma_f32 v9, -v8, v7, v2
	v_cmp_ge_f32_e64 s[2:3], 0, v9
	v_add_u32_e32 v9, 1, v7
	s_nop 0
	v_cndmask_b32_e64 v8, v7, v8, s[2:3]
	v_fma_f32 v7, -v9, v7, v2
	v_cmp_lt_f32_e64 s[2:3], 0, v7
	s_nop 1
	v_cndmask_b32_e64 v7, v8, v9, s[2:3]
	v_mul_f32_e32 v8, 0x37800000, v7
	v_cndmask_b32_e32 v7, v7, v8, vcc
	v_mov_b32_e32 v8, 0x260
	v_cmp_class_f32_e32 vcc, v2, v8
	s_nop 1
	v_cndmask_b32_e32 v2, v7, v2, vcc
	v_mul_f32_e32 v7, v0, v2
.LBB46_137:
	s_mov_b32 s2, 0xf800000
	v_mul_f32_e32 v0, 0x4f800000, v7
	v_cmp_gt_f32_e32 vcc, s2, v7
	v_mov_b32_e32 v9, 0
	s_nop 0
	v_cndmask_b32_e32 v0, v7, v0, vcc
	v_sqrt_f32_e32 v2, v0
	s_nop 0
	v_add_u32_e32 v7, -1, v2
	v_fma_f32 v8, -v7, v2, v0
	v_cmp_ge_f32_e64 s[2:3], 0, v8
	v_add_u32_e32 v8, 1, v2
	s_nop 0
	v_cndmask_b32_e64 v7, v2, v7, s[2:3]
	v_fma_f32 v2, -v8, v2, v0
	v_cmp_lt_f32_e64 s[2:3], 0, v2
	s_nop 1
	v_cndmask_b32_e64 v2, v7, v8, s[2:3]
	v_mul_f32_e32 v7, 0x37800000, v2
	v_cndmask_b32_e32 v2, v2, v7, vcc
	v_mov_b32_e32 v7, 0x260
	v_cmp_class_f32_e32 vcc, v0, v7
	s_nop 1
	v_cndmask_b32_e32 v8, v2, v0, vcc
	ds_write_b64 v9, v[8:9] offset:1184
.LBB46_138:
	s_or_b64 exec, exec, s[4:5]
	v_mov_b32_e32 v0, 0
	s_waitcnt lgkmcnt(0)
	ds_read_b64 v[8:9], v0 offset:1184
	s_waitcnt lgkmcnt(0)
	v_cmp_neq_f32_e32 vcc, 0, v8
	v_cmp_neq_f32_e64 s[2:3], 0, v9
	s_or_b64 vcc, vcc, s[2:3]
	v_cndmask_b32_e32 v0, 1.0, v8, vcc
	s_nor_b64 s[4:5], vcc, s[0:1]
	v_cndmask_b32_e32 v2, 0, v9, vcc
	s_and_saveexec_b64 s[2:3], s[4:5]
	s_cbranch_execz .LBB46_142
; %bb.139:
	v_mbcnt_lo_u32_b32 v0, exec_lo, 0
	v_mbcnt_hi_u32_b32 v0, exec_hi, v0
	v_cmp_eq_u32_e32 vcc, 0, v0
	s_and_saveexec_b64 s[4:5], vcc
	s_cbranch_execz .LBB46_141
; %bb.140:
	v_mov_b32_e32 v0, 0
	v_mov_b32_e32 v2, s21
	global_atomic_smin v0, v2, s[10:11]
.LBB46_141:
	s_or_b64 exec, exec, s[4:5]
	v_mov_b32_e32 v2, 0
	v_mov_b32_e32 v0, 1.0
.LBB46_142:
	s_or_b64 exec, exec, s[2:3]
	v_cmp_lt_u32_e32 vcc, 4, v13
	s_and_saveexec_b64 s[2:3], vcc
	s_cbranch_execz .LBB46_144
; %bb.143:
	v_mul_f32_e32 v7, v2, v2
	v_fmac_f32_e32 v7, v0, v0
	v_div_scale_f32 v17, s[4:5], v7, v7, 1.0
	v_rcp_f32_e32 v18, v17
	v_div_scale_f32 v19, vcc, 1.0, v7, 1.0
	v_fma_f32 v8, -v17, v18, 1.0
	v_fmac_f32_e32 v18, v8, v18
	v_mul_f32_e32 v20, v19, v18
	v_fma_f32 v8, -v17, v20, v19
	v_fmac_f32_e32 v20, v8, v18
	ds_read_b64 v[8:9], v4 offset:32
	ds_read_b64 v[10:11], v16 offset:32
	v_fma_f32 v17, -v17, v20, v19
	v_div_fmas_f32 v17, v17, v18, v20
	v_div_fixup_f32 v18, v17, v7, 1.0
	s_waitcnt lgkmcnt(0)
	v_pk_add_f32 v[8:9], v[8:9], v[10:11] op_sel:[1,1] op_sel_hi:[0,0] neg_lo:[0,1] neg_hi:[0,1]
	v_xor_b32_e32 v10, 0x80000000, v9
	v_mov_b32_e32 v11, v8
	v_pk_mul_f32 v[10:11], v[2:3], v[10:11] op_sel_hi:[0,1]
	v_pk_fma_f32 v[8:9], v[8:9], v[0:1], v[10:11] op_sel_hi:[1,0,1]
	s_nop 0
	v_pk_mul_f32 v[8:9], v[18:19], v[8:9] op_sel_hi:[0,1]
	v_pk_mov_b32 v[10:11], v[8:9], v[8:9] op_sel:[1,0]
	ds_write_b64 v4, v[10:11] offset:32
	s_waitcnt lgkmcnt(0)
	ds_read_b64 v[10:11], v6 offset:32
	ds_read_b64 v[18:19], v15
	s_waitcnt lgkmcnt(0)
	v_pk_fma_f32 v[18:19], v[8:9], v[10:11], v[18:19] op_sel:[1,0,0] op_sel_hi:[0,0,1]
	v_pk_fma_f32 v[8:9], v[8:9], v[10:11], v[18:19] op_sel:[0,1,0] neg_hi:[0,1,0]
	ds_write_b64 v15, v[8:9]
.LBB46_144:
	s_or_b64 exec, exec, s[2:3]
	v_cmp_eq_u32_e32 vcc, 5, v13
	s_waitcnt lgkmcnt(0)
	s_and_saveexec_b64 s[4:5], vcc
	s_cbranch_execz .LBB46_152
; %bb.145:
	v_mov_b32_e32 v7, 0
	ds_read2_b64 v[8:11], v7 offset0:157 offset1:213
	s_waitcnt lgkmcnt(0)
	v_sub_f32_e32 v0, v8, v10
	v_sub_f32_e32 v8, v9, v11
	v_cmp_gt_f32_e32 vcc, 0, v0
	s_nop 1
	v_cndmask_b32_e64 v0, v0, -v0, vcc
	v_cmp_gt_f32_e32 vcc, 0, v8
	s_nop 1
	v_cndmask_b32_e64 v2, v8, -v8, vcc
	v_cmp_gt_f32_e32 vcc, v0, v2
	s_cbranch_vccnz .LBB46_149
; %bb.146:
	v_cmp_eq_f32_e32 vcc, 0, v8
	s_cbranch_vccnz .LBB46_148
; %bb.147:
	v_div_scale_f32 v7, s[2:3], v2, v2, v0
	v_rcp_f32_e32 v8, v7
	v_div_scale_f32 v9, vcc, v0, v2, v0
	s_mov_b32 s2, 0xf800000
	v_fma_f32 v10, -v7, v8, 1.0
	v_fmac_f32_e32 v8, v10, v8
	v_mul_f32_e32 v10, v9, v8
	v_fma_f32 v11, -v7, v10, v9
	v_fmac_f32_e32 v10, v11, v8
	v_fma_f32 v7, -v7, v10, v9
	v_div_fmas_f32 v7, v7, v8, v10
	v_div_fixup_f32 v7, v7, v2, v0
	v_fma_f32 v7, v7, v7, 1.0
	v_mul_f32_e32 v8, 0x4f800000, v7
	v_cmp_gt_f32_e32 vcc, s2, v7
	s_nop 1
	v_cndmask_b32_e32 v7, v7, v8, vcc
	v_sqrt_f32_e32 v8, v7
	s_nop 0
	v_add_u32_e32 v9, -1, v8
	v_fma_f32 v10, -v9, v8, v7
	v_cmp_ge_f32_e64 s[2:3], 0, v10
	v_add_u32_e32 v10, 1, v8
	s_nop 0
	v_cndmask_b32_e64 v9, v8, v9, s[2:3]
	v_fma_f32 v8, -v10, v8, v7
	v_cmp_lt_f32_e64 s[2:3], 0, v8
	s_nop 1
	v_cndmask_b32_e64 v8, v9, v10, s[2:3]
	v_mul_f32_e32 v9, 0x37800000, v8
	v_cndmask_b32_e32 v8, v8, v9, vcc
	v_mov_b32_e32 v9, 0x260
	v_cmp_class_f32_e32 vcc, v7, v9
	s_nop 1
	v_cndmask_b32_e32 v7, v8, v7, vcc
	v_mul_f32_e32 v7, v2, v7
.LBB46_148:
	s_cbranch_execz .LBB46_150
	s_branch .LBB46_151
.LBB46_149:
                                        ; implicit-def: $vgpr7
.LBB46_150:
	v_div_scale_f32 v7, s[2:3], v0, v0, v2
	v_rcp_f32_e32 v8, v7
	v_div_scale_f32 v9, vcc, v2, v0, v2
	s_mov_b32 s2, 0xf800000
	v_fma_f32 v10, -v7, v8, 1.0
	v_fmac_f32_e32 v8, v10, v8
	v_mul_f32_e32 v10, v9, v8
	v_fma_f32 v11, -v7, v10, v9
	v_fmac_f32_e32 v10, v11, v8
	v_fma_f32 v7, -v7, v10, v9
	v_div_fmas_f32 v7, v7, v8, v10
	v_div_fixup_f32 v2, v7, v0, v2
	v_fma_f32 v2, v2, v2, 1.0
	v_mul_f32_e32 v7, 0x4f800000, v2
	v_cmp_gt_f32_e32 vcc, s2, v2
	s_nop 1
	v_cndmask_b32_e32 v2, v2, v7, vcc
	v_sqrt_f32_e32 v7, v2
	s_nop 0
	v_add_u32_e32 v8, -1, v7
	v_fma_f32 v9, -v8, v7, v2
	v_cmp_ge_f32_e64 s[2:3], 0, v9
	v_add_u32_e32 v9, 1, v7
	s_nop 0
	v_cndmask_b32_e64 v8, v7, v8, s[2:3]
	v_fma_f32 v7, -v9, v7, v2
	v_cmp_lt_f32_e64 s[2:3], 0, v7
	s_nop 1
	v_cndmask_b32_e64 v7, v8, v9, s[2:3]
	v_mul_f32_e32 v8, 0x37800000, v7
	v_cndmask_b32_e32 v7, v7, v8, vcc
	v_mov_b32_e32 v8, 0x260
	v_cmp_class_f32_e32 vcc, v2, v8
	s_nop 1
	v_cndmask_b32_e32 v2, v7, v2, vcc
	v_mul_f32_e32 v7, v0, v2
.LBB46_151:
	s_mov_b32 s2, 0xf800000
	v_mul_f32_e32 v0, 0x4f800000, v7
	v_cmp_gt_f32_e32 vcc, s2, v7
	v_mov_b32_e32 v9, 0
	s_nop 0
	v_cndmask_b32_e32 v0, v7, v0, vcc
	v_sqrt_f32_e32 v2, v0
	s_nop 0
	v_add_u32_e32 v7, -1, v2
	v_fma_f32 v8, -v7, v2, v0
	v_cmp_ge_f32_e64 s[2:3], 0, v8
	v_add_u32_e32 v8, 1, v2
	s_nop 0
	v_cndmask_b32_e64 v7, v2, v7, s[2:3]
	v_fma_f32 v2, -v8, v2, v0
	v_cmp_lt_f32_e64 s[2:3], 0, v2
	s_nop 1
	v_cndmask_b32_e64 v2, v7, v8, s[2:3]
	v_mul_f32_e32 v7, 0x37800000, v2
	v_cndmask_b32_e32 v2, v2, v7, vcc
	v_mov_b32_e32 v7, 0x260
	v_cmp_class_f32_e32 vcc, v0, v7
	s_nop 1
	v_cndmask_b32_e32 v8, v2, v0, vcc
	ds_write_b64 v9, v[8:9] offset:1256
.LBB46_152:
	s_or_b64 exec, exec, s[4:5]
	v_mov_b32_e32 v0, 0
	s_waitcnt lgkmcnt(0)
	ds_read_b64 v[8:9], v0 offset:1256
	s_waitcnt lgkmcnt(0)
	v_cmp_neq_f32_e32 vcc, 0, v8
	v_cmp_neq_f32_e64 s[2:3], 0, v9
	s_or_b64 vcc, vcc, s[2:3]
	v_cndmask_b32_e32 v0, 1.0, v8, vcc
	s_nor_b64 s[4:5], vcc, s[0:1]
	v_cndmask_b32_e32 v2, 0, v9, vcc
	s_and_saveexec_b64 s[2:3], s[4:5]
	s_cbranch_execz .LBB46_156
; %bb.153:
	v_mbcnt_lo_u32_b32 v0, exec_lo, 0
	v_mbcnt_hi_u32_b32 v0, exec_hi, v0
	v_cmp_eq_u32_e32 vcc, 0, v0
	s_and_saveexec_b64 s[4:5], vcc
	s_cbranch_execz .LBB46_155
; %bb.154:
	v_mov_b32_e32 v0, 0
	v_mov_b32_e32 v2, s21
	global_atomic_smin v0, v2, s[10:11]
.LBB46_155:
	s_or_b64 exec, exec, s[4:5]
	v_mov_b32_e32 v2, 0
	v_mov_b32_e32 v0, 1.0
.LBB46_156:
	s_or_b64 exec, exec, s[2:3]
	v_cmp_lt_u32_e32 vcc, 5, v13
	s_and_saveexec_b64 s[2:3], vcc
	s_cbranch_execz .LBB46_158
; %bb.157:
	v_mul_f32_e32 v7, v2, v2
	v_fmac_f32_e32 v7, v0, v0
	v_div_scale_f32 v17, s[4:5], v7, v7, 1.0
	v_rcp_f32_e32 v18, v17
	v_div_scale_f32 v19, vcc, 1.0, v7, 1.0
	v_fma_f32 v8, -v17, v18, 1.0
	v_fmac_f32_e32 v18, v8, v18
	v_mul_f32_e32 v20, v19, v18
	v_fma_f32 v8, -v17, v20, v19
	v_fmac_f32_e32 v20, v8, v18
	ds_read_b64 v[8:9], v4 offset:40
	ds_read_b64 v[10:11], v16 offset:40
	v_fma_f32 v17, -v17, v20, v19
	v_div_fmas_f32 v17, v17, v18, v20
	v_div_fixup_f32 v18, v17, v7, 1.0
	s_waitcnt lgkmcnt(0)
	v_pk_add_f32 v[8:9], v[8:9], v[10:11] op_sel:[1,1] op_sel_hi:[0,0] neg_lo:[0,1] neg_hi:[0,1]
	v_xor_b32_e32 v10, 0x80000000, v9
	v_mov_b32_e32 v11, v8
	v_pk_mul_f32 v[10:11], v[2:3], v[10:11] op_sel_hi:[0,1]
	v_pk_fma_f32 v[8:9], v[8:9], v[0:1], v[10:11] op_sel_hi:[1,0,1]
	s_nop 0
	v_pk_mul_f32 v[8:9], v[18:19], v[8:9] op_sel_hi:[0,1]
	v_pk_mov_b32 v[10:11], v[8:9], v[8:9] op_sel:[1,0]
	ds_write_b64 v4, v[10:11] offset:40
	s_waitcnt lgkmcnt(0)
	ds_read_b64 v[10:11], v6 offset:40
	ds_read_b64 v[18:19], v15
	s_waitcnt lgkmcnt(0)
	v_pk_fma_f32 v[18:19], v[8:9], v[10:11], v[18:19] op_sel:[1,0,0] op_sel_hi:[0,0,1]
	v_pk_fma_f32 v[8:9], v[8:9], v[10:11], v[18:19] op_sel:[0,1,0] neg_hi:[0,1,0]
	ds_write_b64 v15, v[8:9]
.LBB46_158:
	s_or_b64 exec, exec, s[2:3]
	v_cmp_eq_u32_e32 vcc, 6, v13
	s_waitcnt lgkmcnt(0)
	s_and_saveexec_b64 s[4:5], vcc
	s_cbranch_execz .LBB46_166
; %bb.159:
	v_mov_b32_e32 v7, 0
	ds_read2_b64 v[8:11], v7 offset0:166 offset1:222
	s_waitcnt lgkmcnt(0)
	v_sub_f32_e32 v0, v8, v10
	v_sub_f32_e32 v8, v9, v11
	v_cmp_gt_f32_e32 vcc, 0, v0
	s_nop 1
	v_cndmask_b32_e64 v0, v0, -v0, vcc
	v_cmp_gt_f32_e32 vcc, 0, v8
	s_nop 1
	v_cndmask_b32_e64 v2, v8, -v8, vcc
	v_cmp_gt_f32_e32 vcc, v0, v2
	s_cbranch_vccnz .LBB46_163
; %bb.160:
	v_cmp_eq_f32_e32 vcc, 0, v8
	s_cbranch_vccnz .LBB46_162
; %bb.161:
	v_div_scale_f32 v7, s[2:3], v2, v2, v0
	v_rcp_f32_e32 v8, v7
	v_div_scale_f32 v9, vcc, v0, v2, v0
	s_mov_b32 s2, 0xf800000
	v_fma_f32 v10, -v7, v8, 1.0
	v_fmac_f32_e32 v8, v10, v8
	v_mul_f32_e32 v10, v9, v8
	v_fma_f32 v11, -v7, v10, v9
	v_fmac_f32_e32 v10, v11, v8
	v_fma_f32 v7, -v7, v10, v9
	v_div_fmas_f32 v7, v7, v8, v10
	v_div_fixup_f32 v7, v7, v2, v0
	v_fma_f32 v7, v7, v7, 1.0
	v_mul_f32_e32 v8, 0x4f800000, v7
	v_cmp_gt_f32_e32 vcc, s2, v7
	s_nop 1
	v_cndmask_b32_e32 v7, v7, v8, vcc
	v_sqrt_f32_e32 v8, v7
	s_nop 0
	v_add_u32_e32 v9, -1, v8
	v_fma_f32 v10, -v9, v8, v7
	v_cmp_ge_f32_e64 s[2:3], 0, v10
	v_add_u32_e32 v10, 1, v8
	s_nop 0
	v_cndmask_b32_e64 v9, v8, v9, s[2:3]
	v_fma_f32 v8, -v10, v8, v7
	v_cmp_lt_f32_e64 s[2:3], 0, v8
	s_nop 1
	v_cndmask_b32_e64 v8, v9, v10, s[2:3]
	v_mul_f32_e32 v9, 0x37800000, v8
	v_cndmask_b32_e32 v8, v8, v9, vcc
	v_mov_b32_e32 v9, 0x260
	v_cmp_class_f32_e32 vcc, v7, v9
	s_nop 1
	v_cndmask_b32_e32 v7, v8, v7, vcc
	v_mul_f32_e32 v7, v2, v7
.LBB46_162:
	s_cbranch_execz .LBB46_164
	s_branch .LBB46_165
.LBB46_163:
                                        ; implicit-def: $vgpr7
.LBB46_164:
	v_div_scale_f32 v7, s[2:3], v0, v0, v2
	v_rcp_f32_e32 v8, v7
	v_div_scale_f32 v9, vcc, v2, v0, v2
	s_mov_b32 s2, 0xf800000
	v_fma_f32 v10, -v7, v8, 1.0
	v_fmac_f32_e32 v8, v10, v8
	v_mul_f32_e32 v10, v9, v8
	v_fma_f32 v11, -v7, v10, v9
	v_fmac_f32_e32 v10, v11, v8
	v_fma_f32 v7, -v7, v10, v9
	v_div_fmas_f32 v7, v7, v8, v10
	v_div_fixup_f32 v2, v7, v0, v2
	v_fma_f32 v2, v2, v2, 1.0
	v_mul_f32_e32 v7, 0x4f800000, v2
	v_cmp_gt_f32_e32 vcc, s2, v2
	s_nop 1
	v_cndmask_b32_e32 v2, v2, v7, vcc
	v_sqrt_f32_e32 v7, v2
	s_nop 0
	v_add_u32_e32 v8, -1, v7
	v_fma_f32 v9, -v8, v7, v2
	v_cmp_ge_f32_e64 s[2:3], 0, v9
	v_add_u32_e32 v9, 1, v7
	s_nop 0
	v_cndmask_b32_e64 v8, v7, v8, s[2:3]
	v_fma_f32 v7, -v9, v7, v2
	v_cmp_lt_f32_e64 s[2:3], 0, v7
	s_nop 1
	v_cndmask_b32_e64 v7, v8, v9, s[2:3]
	v_mul_f32_e32 v8, 0x37800000, v7
	v_cndmask_b32_e32 v7, v7, v8, vcc
	v_mov_b32_e32 v8, 0x260
	v_cmp_class_f32_e32 vcc, v2, v8
	s_nop 1
	v_cndmask_b32_e32 v2, v7, v2, vcc
	v_mul_f32_e32 v7, v0, v2
.LBB46_165:
	s_mov_b32 s2, 0xf800000
	v_mul_f32_e32 v0, 0x4f800000, v7
	v_cmp_gt_f32_e32 vcc, s2, v7
	v_mov_b32_e32 v9, 0
	s_nop 0
	v_cndmask_b32_e32 v0, v7, v0, vcc
	v_sqrt_f32_e32 v2, v0
	s_nop 0
	v_add_u32_e32 v7, -1, v2
	v_fma_f32 v8, -v7, v2, v0
	v_cmp_ge_f32_e64 s[2:3], 0, v8
	v_add_u32_e32 v8, 1, v2
	s_nop 0
	v_cndmask_b32_e64 v7, v2, v7, s[2:3]
	v_fma_f32 v2, -v8, v2, v0
	v_cmp_lt_f32_e64 s[2:3], 0, v2
	s_nop 1
	v_cndmask_b32_e64 v2, v7, v8, s[2:3]
	v_mul_f32_e32 v7, 0x37800000, v2
	v_cndmask_b32_e32 v2, v2, v7, vcc
	v_mov_b32_e32 v7, 0x260
	v_cmp_class_f32_e32 vcc, v0, v7
	s_nop 1
	v_cndmask_b32_e32 v8, v2, v0, vcc
	ds_write_b64 v9, v[8:9] offset:1328
.LBB46_166:
	s_or_b64 exec, exec, s[4:5]
	v_mov_b32_e32 v0, 0
	s_waitcnt lgkmcnt(0)
	ds_read_b64 v[8:9], v0 offset:1328
	s_waitcnt lgkmcnt(0)
	v_cmp_neq_f32_e32 vcc, 0, v8
	v_cmp_neq_f32_e64 s[2:3], 0, v9
	s_or_b64 vcc, vcc, s[2:3]
	v_cndmask_b32_e32 v0, 1.0, v8, vcc
	s_nor_b64 s[2:3], vcc, s[0:1]
	v_cndmask_b32_e32 v2, 0, v9, vcc
	s_and_saveexec_b64 s[0:1], s[2:3]
	s_cbranch_execz .LBB46_179
; %bb.167:
	v_mbcnt_lo_u32_b32 v0, exec_lo, 0
	v_mbcnt_hi_u32_b32 v0, exec_hi, v0
	v_cmp_eq_u32_e32 vcc, 0, v0
	s_and_saveexec_b64 s[2:3], vcc
	s_cbranch_execz .LBB46_169
; %bb.168:
	v_mov_b32_e32 v0, 0
	v_mov_b32_e32 v2, s21
	global_atomic_smin v0, v2, s[10:11]
.LBB46_169:
	s_or_b64 exec, exec, s[2:3]
	v_mov_b32_e32 v2, 0
	v_mov_b32_e32 v0, 1.0
	s_or_b64 exec, exec, s[0:1]
	v_cmp_lt_u32_e32 vcc, 6, v13
	s_and_saveexec_b64 s[0:1], vcc
	s_cbranch_execnz .LBB46_180
.LBB46_170:
	s_or_b64 exec, exec, s[0:1]
	s_andn2_b64 vcc, exec, s[12:13]
	s_cbranch_vccnz .LBB46_172
.LBB46_171:
	v_mov_b32_e32 v14, v3
.LBB46_172:
	ds_read_b64 v[0:1], v1
	v_add_u32_e32 v2, s20, v14
	v_ashrrev_i32_e32 v3, 31, v2
	v_lshl_add_u64 v[2:3], v[2:3], 3, s[18:19]
	v_cmp_eq_u32_e32 vcc, 0, v5
	s_waitcnt lgkmcnt(0)
	global_store_dwordx2 v[2:3], v[0:1], off
	s_and_saveexec_b64 s[0:1], vcc
	s_cbranch_execz .LBB46_174
; %bb.173:
	s_add_u32 s2, s6, s8
	s_addc_u32 s3, s7, s9
	v_mov_b32_e32 v0, 0
	v_mov_b32_e32 v1, 1
	buffer_wbl2 sc1
	s_waitcnt vmcnt(0)
	global_store_dword v0, v1, s[2:3] sc1
.LBB46_174:
	s_or_b64 exec, exec, s[0:1]
	s_branch .LBB46_78
.LBB46_175:
	v_or_b32_e32 v0, v12, v13
	v_cmp_eq_u32_e32 vcc, 0, v0
	s_and_saveexec_b64 s[0:1], vcc
	s_cbranch_execz .LBB46_78
; %bb.176:
	v_mbcnt_lo_u32_b32 v0, exec_lo, 0
	v_mbcnt_hi_u32_b32 v0, exec_hi, v0
	v_cmp_eq_u32_e32 vcc, 0, v0
	s_and_saveexec_b64 s[0:1], vcc
	s_cbranch_execz .LBB46_178
; %bb.177:
	s_add_i32 s2, s16, s17
	v_mov_b32_e32 v0, 0
	v_mov_b32_e32 v1, s2
	global_atomic_smin v0, v1, s[10:11]
.LBB46_178:
	s_or_b64 exec, exec, s[0:1]
	s_add_u32 s0, s6, s8
	s_addc_u32 s1, s7, s9
	v_mov_b32_e32 v0, 0
	v_mov_b32_e32 v1, 1
	buffer_wbl2 sc1
	s_waitcnt vmcnt(0)
	global_store_dword v0, v1, s[0:1] sc1
	s_endpgm
.LBB46_179:
	s_or_b64 exec, exec, s[0:1]
	v_cmp_lt_u32_e32 vcc, 6, v13
	s_and_saveexec_b64 s[0:1], vcc
	s_cbranch_execz .LBB46_170
.LBB46_180:
	v_mul_f32_e32 v7, v2, v2
	v_fmac_f32_e32 v7, v0, v0
	v_div_scale_f32 v17, s[2:3], v7, v7, 1.0
	v_rcp_f32_e32 v18, v17
	v_div_scale_f32 v19, vcc, 1.0, v7, 1.0
	v_fma_f32 v8, -v17, v18, 1.0
	v_fmac_f32_e32 v18, v8, v18
	v_mul_f32_e32 v20, v19, v18
	v_fma_f32 v8, -v17, v20, v19
	v_fmac_f32_e32 v20, v8, v18
	ds_read_b64 v[8:9], v4 offset:48
	ds_read_b64 v[10:11], v16 offset:48
	v_fma_f32 v16, -v17, v20, v19
	v_div_fmas_f32 v16, v16, v18, v20
	v_div_fixup_f32 v16, v16, v7, 1.0
	s_waitcnt lgkmcnt(0)
	v_pk_add_f32 v[8:9], v[8:9], v[10:11] op_sel:[1,1] op_sel_hi:[0,0] neg_lo:[0,1] neg_hi:[0,1]
	v_xor_b32_e32 v10, 0x80000000, v9
	v_mov_b32_e32 v11, v8
	v_pk_mul_f32 v[10:11], v[2:3], v[10:11] op_sel_hi:[0,1]
	v_pk_fma_f32 v[8:9], v[8:9], v[0:1], v[10:11] op_sel_hi:[1,0,1]
	s_nop 0
	v_pk_mul_f32 v[8:9], v[16:17], v[8:9] op_sel_hi:[0,1]
	v_pk_mov_b32 v[10:11], v[8:9], v[8:9] op_sel:[1,0]
	ds_write_b64 v4, v[10:11] offset:48
	s_waitcnt lgkmcnt(0)
	ds_read_b64 v[6:7], v6 offset:48
	ds_read_b64 v[10:11], v15
	s_waitcnt lgkmcnt(0)
	v_pk_fma_f32 v[10:11], v[8:9], v[6:7], v[10:11] op_sel:[1,0,0] op_sel_hi:[0,0,1]
	v_pk_fma_f32 v[6:7], v[8:9], v[6:7], v[10:11] op_sel:[0,1,0] neg_hi:[0,1,0]
	ds_write_b64 v15, v[6:7]
	s_or_b64 exec, exec, s[0:1]
	s_andn2_b64 vcc, exec, s[12:13]
	s_waitcnt lgkmcnt(0)
	s_cbranch_vccz .LBB46_171
	s_branch .LBB46_172
	.section	.rodata,"a",@progbits
	.p2align	6, 0x0
	.amdhsa_kernel _ZN9rocsparseL26bsric0_2_8_unrolled_kernelILi49ELi32ELi7E21rocsparse_complex_numIfEEEv20rocsparse_direction_iiPKiS5_PT2_S5_PiS5_S8_21rocsparse_index_base_
		.amdhsa_group_segment_fixed_size 2176
		.amdhsa_private_segment_fixed_size 0
		.amdhsa_kernarg_size 76
		.amdhsa_user_sgpr_count 2
		.amdhsa_user_sgpr_dispatch_ptr 0
		.amdhsa_user_sgpr_queue_ptr 0
		.amdhsa_user_sgpr_kernarg_segment_ptr 1
		.amdhsa_user_sgpr_dispatch_id 0
		.amdhsa_user_sgpr_kernarg_preload_length 0
		.amdhsa_user_sgpr_kernarg_preload_offset 0
		.amdhsa_user_sgpr_private_segment_size 0
		.amdhsa_uses_dynamic_stack 0
		.amdhsa_enable_private_segment 0
		.amdhsa_system_sgpr_workgroup_id_x 1
		.amdhsa_system_sgpr_workgroup_id_y 0
		.amdhsa_system_sgpr_workgroup_id_z 0
		.amdhsa_system_sgpr_workgroup_info 0
		.amdhsa_system_vgpr_workitem_id 1
		.amdhsa_next_free_vgpr 76
		.amdhsa_next_free_sgpr 40
		.amdhsa_accum_offset 76
		.amdhsa_reserve_vcc 1
		.amdhsa_float_round_mode_32 0
		.amdhsa_float_round_mode_16_64 0
		.amdhsa_float_denorm_mode_32 3
		.amdhsa_float_denorm_mode_16_64 3
		.amdhsa_dx10_clamp 1
		.amdhsa_ieee_mode 1
		.amdhsa_fp16_overflow 0
		.amdhsa_tg_split 0
		.amdhsa_exception_fp_ieee_invalid_op 0
		.amdhsa_exception_fp_denorm_src 0
		.amdhsa_exception_fp_ieee_div_zero 0
		.amdhsa_exception_fp_ieee_overflow 0
		.amdhsa_exception_fp_ieee_underflow 0
		.amdhsa_exception_fp_ieee_inexact 0
		.amdhsa_exception_int_div_zero 0
	.end_amdhsa_kernel
	.section	.text._ZN9rocsparseL26bsric0_2_8_unrolled_kernelILi49ELi32ELi7E21rocsparse_complex_numIfEEEv20rocsparse_direction_iiPKiS5_PT2_S5_PiS5_S8_21rocsparse_index_base_,"axG",@progbits,_ZN9rocsparseL26bsric0_2_8_unrolled_kernelILi49ELi32ELi7E21rocsparse_complex_numIfEEEv20rocsparse_direction_iiPKiS5_PT2_S5_PiS5_S8_21rocsparse_index_base_,comdat
.Lfunc_end46:
	.size	_ZN9rocsparseL26bsric0_2_8_unrolled_kernelILi49ELi32ELi7E21rocsparse_complex_numIfEEEv20rocsparse_direction_iiPKiS5_PT2_S5_PiS5_S8_21rocsparse_index_base_, .Lfunc_end46-_ZN9rocsparseL26bsric0_2_8_unrolled_kernelILi49ELi32ELi7E21rocsparse_complex_numIfEEEv20rocsparse_direction_iiPKiS5_PT2_S5_PiS5_S8_21rocsparse_index_base_
                                        ; -- End function
	.set _ZN9rocsparseL26bsric0_2_8_unrolled_kernelILi49ELi32ELi7E21rocsparse_complex_numIfEEEv20rocsparse_direction_iiPKiS5_PT2_S5_PiS5_S8_21rocsparse_index_base_.num_vgpr, 76
	.set _ZN9rocsparseL26bsric0_2_8_unrolled_kernelILi49ELi32ELi7E21rocsparse_complex_numIfEEEv20rocsparse_direction_iiPKiS5_PT2_S5_PiS5_S8_21rocsparse_index_base_.num_agpr, 0
	.set _ZN9rocsparseL26bsric0_2_8_unrolled_kernelILi49ELi32ELi7E21rocsparse_complex_numIfEEEv20rocsparse_direction_iiPKiS5_PT2_S5_PiS5_S8_21rocsparse_index_base_.numbered_sgpr, 40
	.set _ZN9rocsparseL26bsric0_2_8_unrolled_kernelILi49ELi32ELi7E21rocsparse_complex_numIfEEEv20rocsparse_direction_iiPKiS5_PT2_S5_PiS5_S8_21rocsparse_index_base_.num_named_barrier, 0
	.set _ZN9rocsparseL26bsric0_2_8_unrolled_kernelILi49ELi32ELi7E21rocsparse_complex_numIfEEEv20rocsparse_direction_iiPKiS5_PT2_S5_PiS5_S8_21rocsparse_index_base_.private_seg_size, 0
	.set _ZN9rocsparseL26bsric0_2_8_unrolled_kernelILi49ELi32ELi7E21rocsparse_complex_numIfEEEv20rocsparse_direction_iiPKiS5_PT2_S5_PiS5_S8_21rocsparse_index_base_.uses_vcc, 1
	.set _ZN9rocsparseL26bsric0_2_8_unrolled_kernelILi49ELi32ELi7E21rocsparse_complex_numIfEEEv20rocsparse_direction_iiPKiS5_PT2_S5_PiS5_S8_21rocsparse_index_base_.uses_flat_scratch, 0
	.set _ZN9rocsparseL26bsric0_2_8_unrolled_kernelILi49ELi32ELi7E21rocsparse_complex_numIfEEEv20rocsparse_direction_iiPKiS5_PT2_S5_PiS5_S8_21rocsparse_index_base_.has_dyn_sized_stack, 0
	.set _ZN9rocsparseL26bsric0_2_8_unrolled_kernelILi49ELi32ELi7E21rocsparse_complex_numIfEEEv20rocsparse_direction_iiPKiS5_PT2_S5_PiS5_S8_21rocsparse_index_base_.has_recursion, 0
	.set _ZN9rocsparseL26bsric0_2_8_unrolled_kernelILi49ELi32ELi7E21rocsparse_complex_numIfEEEv20rocsparse_direction_iiPKiS5_PT2_S5_PiS5_S8_21rocsparse_index_base_.has_indirect_call, 0
	.section	.AMDGPU.csdata,"",@progbits
; Kernel info:
; codeLenInByte = 13552
; TotalNumSgprs: 46
; NumVgprs: 76
; NumAgprs: 0
; TotalNumVgprs: 76
; ScratchSize: 0
; MemoryBound: 0
; FloatMode: 240
; IeeeMode: 1
; LDSByteSize: 2176 bytes/workgroup (compile time only)
; SGPRBlocks: 5
; VGPRBlocks: 9
; NumSGPRsForWavesPerEU: 46
; NumVGPRsForWavesPerEU: 76
; AccumOffset: 76
; Occupancy: 6
; WaveLimiterHint : 1
; COMPUTE_PGM_RSRC2:SCRATCH_EN: 0
; COMPUTE_PGM_RSRC2:USER_SGPR: 2
; COMPUTE_PGM_RSRC2:TRAP_HANDLER: 0
; COMPUTE_PGM_RSRC2:TGID_X_EN: 1
; COMPUTE_PGM_RSRC2:TGID_Y_EN: 0
; COMPUTE_PGM_RSRC2:TGID_Z_EN: 0
; COMPUTE_PGM_RSRC2:TIDIG_COMP_CNT: 1
; COMPUTE_PGM_RSRC3_GFX90A:ACCUM_OFFSET: 18
; COMPUTE_PGM_RSRC3_GFX90A:TG_SPLIT: 0
	.section	.text._ZN9rocsparseL26bsric0_2_8_unrolled_kernelILi64ELi32ELi8E21rocsparse_complex_numIfEEEv20rocsparse_direction_iiPKiS5_PT2_S5_PiS5_S8_21rocsparse_index_base_,"axG",@progbits,_ZN9rocsparseL26bsric0_2_8_unrolled_kernelILi64ELi32ELi8E21rocsparse_complex_numIfEEEv20rocsparse_direction_iiPKiS5_PT2_S5_PiS5_S8_21rocsparse_index_base_,comdat
	.globl	_ZN9rocsparseL26bsric0_2_8_unrolled_kernelILi64ELi32ELi8E21rocsparse_complex_numIfEEEv20rocsparse_direction_iiPKiS5_PT2_S5_PiS5_S8_21rocsparse_index_base_ ; -- Begin function _ZN9rocsparseL26bsric0_2_8_unrolled_kernelILi64ELi32ELi8E21rocsparse_complex_numIfEEEv20rocsparse_direction_iiPKiS5_PT2_S5_PiS5_S8_21rocsparse_index_base_
	.p2align	8
	.type	_ZN9rocsparseL26bsric0_2_8_unrolled_kernelILi64ELi32ELi8E21rocsparse_complex_numIfEEEv20rocsparse_direction_iiPKiS5_PT2_S5_PiS5_S8_21rocsparse_index_base_,@function
_ZN9rocsparseL26bsric0_2_8_unrolled_kernelILi64ELi32ELi8E21rocsparse_complex_numIfEEEv20rocsparse_direction_iiPKiS5_PT2_S5_PiS5_S8_21rocsparse_index_base_: ; @_ZN9rocsparseL26bsric0_2_8_unrolled_kernelILi64ELi32ELi8E21rocsparse_complex_numIfEEEv20rocsparse_direction_iiPKiS5_PT2_S5_PiS5_S8_21rocsparse_index_base_
; %bb.0:
	s_load_dwordx8 s[4:11], s[0:1], 0x28
	s_mov_b32 s3, 0
	s_lshl_b64 s[2:3], s[2:3], 2
	v_and_b32_e32 v12, 0x3ff, v0
	v_bfe_u32 v13, v0, 10, 10
	s_waitcnt lgkmcnt(0)
	s_add_u32 s2, s8, s2
	s_addc_u32 s3, s9, s3
	s_load_dword s16, s[2:3], 0x0
	s_waitcnt lgkmcnt(0)
	s_ashr_i32 s17, s16, 31
	s_lshl_b64 s[8:9], s[16:17], 2
	s_add_u32 s2, s4, s8
	s_addc_u32 s3, s5, s9
	s_load_dword s30, s[2:3], 0x0
	s_load_dword s17, s[0:1], 0x48
	s_waitcnt lgkmcnt(0)
	s_cmp_lg_u32 s30, -1
	s_cbranch_scc0 .LBB47_16
; %bb.1:
	s_load_dwordx4 s[12:15], s[0:1], 0x10
	v_lshlrev_b32_e32 v18, 3, v13
	v_add_u32_e32 v17, v18, v12
	s_waitcnt lgkmcnt(0)
	s_add_u32 s2, s12, s8
	s_addc_u32 s3, s13, s9
	s_load_dword s24, s[2:3], 0x0
	s_waitcnt lgkmcnt(0)
	s_sub_i32 s31, s24, s17
	v_add_u32_e32 v0, s31, v17
	v_cmp_ge_i32_e32 vcc, s30, v0
	s_and_saveexec_b64 s[2:3], vcc
	s_cbranch_execz .LBB47_14
; %bb.2:
	v_add_u32_e32 v1, s24, v17
	v_subrev_u32_e32 v1, s17, v1
	v_add_u32_e32 v1, 64, v1
	s_add_i32 s18, s30, 1
	v_max_i32_e32 v1, s18, v1
	v_not_b32_e32 v2, v12
	v_add3_u32 v1, s17, v1, v2
	v_add_u32_e32 v2, s24, v18
	v_sub_u32_e32 v1, v1, v2
	v_cmp_lt_u32_e32 vcc, 63, v1
	s_mov_b64 s[20:21], -1
	s_and_saveexec_b64 s[18:19], vcc
	s_cbranch_execz .LBB47_11
; %bb.3:
	v_lshrrev_b32_e32 v4, 6, v1
	v_add_u32_e32 v2, -1, v4
	v_add_u32_e32 v1, 64, v0
	v_lshrrev_b32_e32 v3, 1, v2
	v_add_u32_e32 v5, 1, v3
	v_cmp_lt_u32_e32 vcc, 13, v2
	v_mov_b64_e32 v[2:3], v[0:1]
	s_and_saveexec_b64 s[20:21], vcc
	s_cbranch_execz .LBB47_7
; %bb.4:
	v_and_b32_e32 v6, -8, v5
	s_mov_b64 s[22:23], 0
	v_mov_b64_e32 v[2:3], v[0:1]
.LBB47_5:                               ; =>This Inner Loop Header: Depth=1
	v_ashrrev_i32_e32 v11, 31, v2
	v_mov_b32_e32 v10, v2
	v_ashrrev_i32_e32 v9, 31, v3
	v_mov_b32_e32 v8, v3
	v_add_u32_e32 v14, 0x80, v2
	v_add_u32_e32 v20, 0x80, v3
	v_lshl_add_u64 v[10:11], v[10:11], 2, s[14:15]
	v_add_u32_e32 v22, 0x100, v2
	v_add_u32_e32 v24, 0x100, v3
	;; [unrolled: 1-line block ×12, first 2 shown]
	v_lshl_add_u64 v[8:9], v[8:9], 2, s[14:15]
	v_ashrrev_i32_e32 v21, 31, v20
	v_ashrrev_i32_e32 v15, 31, v14
	global_load_dword v1, v[10:11], off
	global_load_dword v7, v[8:9], off
	v_ashrrev_i32_e32 v25, 31, v24
	v_ashrrev_i32_e32 v23, 31, v22
	;; [unrolled: 1-line block ×12, first 2 shown]
	v_lshl_add_u64 v[8:9], v[14:15], 2, s[14:15]
	v_lshl_add_u64 v[10:11], v[20:21], 2, s[14:15]
	;; [unrolled: 1-line block ×13, first 2 shown]
	global_load_dword v15, v[10:11], off
	v_lshl_add_u64 v[10:11], v[44:45], 2, s[14:15]
	global_load_dword v16, v[8:9], off
	global_load_dword v19, v[48:49], off
	;; [unrolled: 1-line block ×13, first 2 shown]
	v_subrev_u32_e32 v9, s31, v2
	v_add_u32_e32 v6, -8, v6
	v_subrev_u32_e32 v8, s31, v3
	v_lshlrev_b32_e32 v9, 2, v9
	v_subrev_u32_e32 v11, s31, v14
	v_cmp_eq_u32_e32 vcc, 0, v6
	v_add_u32_e32 v3, 0x400, v3
	v_add_u32_e32 v2, 0x400, v2
	v_lshlrev_b32_e32 v8, 2, v8
	v_subrev_u32_e32 v10, s31, v20
	v_subrev_u32_e32 v14, s31, v24
	;; [unrolled: 1-line block ×13, first 2 shown]
	v_lshlrev_b32_e32 v11, 2, v11
	s_or_b64 s[22:23], vcc, s[22:23]
	v_lshlrev_b32_e32 v10, 2, v10
	v_lshlrev_b32_e32 v20, 2, v20
	;; [unrolled: 1-line block ×13, first 2 shown]
	s_waitcnt vmcnt(15)
	v_subrev_u32_e32 v1, s17, v1
	s_waitcnt vmcnt(14)
	v_subrev_u32_e32 v7, s17, v7
	ds_write_b32 v9, v1 offset:2560
	ds_write_b32 v8, v7 offset:2560
	s_waitcnt vmcnt(12)
	v_subrev_u32_e32 v7, s17, v16
	s_waitcnt vmcnt(11)
	v_subrev_u32_e32 v8, s17, v19
	;; [unrolled: 2-line block ×8, first 2 shown]
	v_subrev_u32_e32 v1, s17, v15
	v_subrev_u32_e32 v15, s17, v23
	;; [unrolled: 1-line block ×3, first 2 shown]
	s_waitcnt vmcnt(2)
	v_subrev_u32_e32 v29, s17, v37
	s_waitcnt vmcnt(1)
	v_subrev_u32_e32 v31, s17, v39
	;; [unrolled: 2-line block ×3, first 2 shown]
	ds_write_b32 v11, v7 offset:2560
	ds_write_b32 v10, v1 offset:2560
	;; [unrolled: 1-line block ×14, first 2 shown]
	s_andn2_b64 exec, exec, s[22:23]
	s_cbranch_execnz .LBB47_5
; %bb.6:
	s_or_b64 exec, exec, s[22:23]
.LBB47_7:
	s_or_b64 exec, exec, s[20:21]
	v_and_b32_e32 v1, 7, v5
	v_cmp_ne_u32_e32 vcc, 0, v1
	s_and_saveexec_b64 s[20:21], vcc
	s_cbranch_execz .LBB47_10
; %bb.8:
	s_mov_b64 s[22:23], 0
.LBB47_9:                               ; =>This Inner Loop Header: Depth=1
	v_ashrrev_i32_e32 v7, 31, v3
	v_mov_b32_e32 v6, v3
	v_ashrrev_i32_e32 v9, 31, v2
	v_mov_b32_e32 v8, v2
	v_lshl_add_u64 v[6:7], v[6:7], 2, s[14:15]
	v_lshl_add_u64 v[8:9], v[8:9], 2, s[14:15]
	global_load_dword v5, v[6:7], off
	global_load_dword v10, v[8:9], off
	v_add_u32_e32 v1, -1, v1
	v_subrev_u32_e32 v7, s31, v2
	v_cmp_eq_u32_e32 vcc, 0, v1
	v_subrev_u32_e32 v6, s31, v3
	v_add_u32_e32 v3, 0x80, v3
	v_add_u32_e32 v2, 0x80, v2
	v_lshlrev_b32_e32 v7, 2, v7
	s_or_b64 s[22:23], vcc, s[22:23]
	v_lshlrev_b32_e32 v6, 2, v6
	s_waitcnt vmcnt(1)
	v_subrev_u32_e32 v5, s17, v5
	s_waitcnt vmcnt(0)
	v_subrev_u32_e32 v8, s17, v10
	ds_write_b32 v7, v8 offset:2560
	ds_write_b32 v6, v5 offset:2560
	s_andn2_b64 exec, exec, s[22:23]
	s_cbranch_execnz .LBB47_9
.LBB47_10:
	s_or_b64 exec, exec, s[20:21]
	v_add_u32_e32 v1, 1, v4
	v_and_b32_e32 v2, 0x7fffffe, v1
	v_cmp_ne_u32_e32 vcc, v1, v2
	v_lshl_add_u32 v0, v2, 6, v0
	s_orn2_b64 s[20:21], vcc, exec
.LBB47_11:
	s_or_b64 exec, exec, s[18:19]
	s_and_b64 exec, exec, s[20:21]
	s_cbranch_execz .LBB47_14
; %bb.12:
	v_add_u32_e32 v1, s17, v0
	v_subrev_u32_e32 v1, s24, v1
	v_mov_b32_e32 v2, 0xa00
	v_lshl_add_u32 v4, v1, 2, v2
	v_ashrrev_i32_e32 v1, 31, v0
	v_lshl_add_u64 v[2:3], v[0:1], 2, s[14:15]
	s_mov_b64 s[18:19], 0
	s_mov_b64 s[20:21], 0x100
.LBB47_13:                              ; =>This Inner Loop Header: Depth=1
	global_load_dword v1, v[2:3], off
	v_add_u32_e32 v0, 64, v0
	v_cmp_lt_i32_e32 vcc, s30, v0
	v_lshl_add_u64 v[2:3], v[2:3], 0, s[20:21]
	s_or_b64 s[18:19], vcc, s[18:19]
	s_waitcnt vmcnt(0)
	v_subrev_u32_e32 v1, s17, v1
	ds_write_b32 v4, v1
	v_add_u32_e32 v4, 0x100, v4
	s_andn2_b64 exec, exec, s[18:19]
	s_cbranch_execnz .LBB47_13
.LBB47_14:
	s_or_b64 exec, exec, s[2:3]
	s_load_dwordx2 s[18:19], s[0:1], 0x20
	s_movk_i32 s2, 0x48
	v_mov_b32_e32 v0, 0x6c0
	v_mad_u32_u24 v15, v13, s2, v0
	v_mov_b32_e32 v0, 0
	v_lshl_add_u32 v14, v12, 3, v15
	v_mov_b32_e32 v1, v0
	s_cmp_lt_i32 s31, s30
	ds_write_b64 v14, v[0:1]
	s_waitcnt lgkmcnt(0)
	s_cbranch_scc1 .LBB47_18
; %bb.15:
	v_lshl_add_u32 v19, v12, 3, v13
	v_or_b32_e32 v16, v12, v13
	s_load_dword s33, s[0:1], 0x0
	s_cbranch_execz .LBB47_19
	s_branch .LBB47_92
.LBB47_16:
	s_cbranch_execnz .LBB47_207
.LBB47_17:
	s_endpgm
.LBB47_18:
                                        ; implicit-def: $vgpr19
                                        ; implicit-def: $vgpr16
	s_load_dword s33, s[0:1], 0x0
.LBB47_19:
	s_waitcnt lgkmcnt(0)
	s_cmp_lg_u32 s33, 0
	s_cselect_b64 s[20:21], -1, 0
	s_cmp_eq_u32 s33, 0
	v_lshlrev_b32_e32 v20, 3, v12
	s_movk_i32 s0, 0x48
	v_mov_b32_e32 v0, 0x480
	v_mov_b32_e32 v1, 0x240
	v_add_u32_e32 v19, v20, v13
	v_mad_u32_u24 v21, v13, s0, v0
	v_mad_u32_u24 v24, v13, s0, v1
	v_or_b32_e32 v16, v12, v13
	s_cselect_b64 vcc, -1, 0
	v_add_u32_e32 v22, v21, v20
	v_mad_u32_u24 v23, v13, s0, v20
	v_add_u32_e32 v25, v24, v20
	v_mad_u32_u24 v26, v12, s0, v0
	v_cmp_ne_u32_e64 s[0:1], 0, v16
	v_cndmask_b32_e32 v27, v19, v17, vcc
	v_mov_b32_e32 v0, 0
	s_mov_b32 s22, s31
	s_branch .LBB47_21
.LBB47_20:                              ;   in Loop: Header=BB47_21 Depth=1
                                        ; implicit-def: $sgpr22
	s_cbranch_execnz .LBB47_92
.LBB47_21:                              ; =>This Loop Header: Depth=1
                                        ;     Child Loop BB47_24 Depth 2
                                        ;     Child Loop BB47_35 Depth 2
	;; [unrolled: 1-line block ×10, first 2 shown]
	s_ashr_i32 s23, s22, 31
	s_lshl_b64 s[2:3], s[22:23], 2
	s_add_u32 s2, s14, s2
	s_addc_u32 s3, s15, s3
	s_load_dword s23, s[2:3], 0x0
	s_waitcnt lgkmcnt(0)
	s_sub_i32 s24, s23, s17
	s_ashr_i32 s25, s24, 31
	s_lshl_b64 s[2:3], s[24:25], 2
	s_add_u32 s26, s4, s2
	s_addc_u32 s27, s5, s3
	s_load_dword s25, s[26:27], 0x0
	s_waitcnt lgkmcnt(0)
	s_cmp_eq_u32 s25, -1
	s_cbranch_scc1 .LBB47_20
; %bb.22:                               ;   in Loop: Header=BB47_21 Depth=1
	v_lshl_add_u32 v2, s22, 6, v27
	v_ashrrev_i32_e32 v3, 31, v2
	v_lshl_add_u64 v[2:3], v[2:3], 3, s[18:19]
	global_load_dwordx2 v[4:5], v[2:3], off
	s_add_u32 s26, s12, s2
	s_addc_u32 s27, s13, s3
	s_load_dword s26, s[26:27], 0x0
	ds_read_b32 v1, v0 offset:2560
	s_mov_b32 s27, 0
	s_waitcnt lgkmcnt(0)
	s_sub_i32 s26, s26, s17
	s_cmp_le_i32 s26, s25
	v_cmp_ge_i32_e32 vcc, s24, v1
	s_cselect_b64 s[28:29], -1, 0
	s_and_b64 s[28:29], s[28:29], vcc
	s_andn2_b64 vcc, exec, s[28:29]
	s_waitcnt vmcnt(0)
	ds_write_b64 v22, v[4:5]
	s_cbranch_vccnz .LBB47_34
; %bb.23:                               ;   in Loop: Header=BB47_21 Depth=1
	s_mov_b32 s34, 0
	s_mov_b32 s35, 0
.LBB47_24:                              ;   Parent Loop BB47_21 Depth=1
                                        ; =>  This Inner Loop Header: Depth=2
	s_ashr_i32 s27, s26, 31
	s_lshl_b64 s[28:29], s[26:27], 2
	s_add_u32 s28, s14, s28
	s_addc_u32 s29, s15, s29
	s_load_dword s27, s[28:29], 0x0
	s_lshl_b32 s28, s35, 2
	v_mov_b32_e32 v1, s28
	ds_read_b32 v1, v1 offset:2560
	s_mov_b64 s[28:29], -1
	s_waitcnt lgkmcnt(0)
	s_sub_i32 s39, s27, s17
                                        ; implicit-def: $sgpr27
                                        ; implicit-def: $sgpr38
                                        ; implicit-def: $sgpr37
	v_cmp_ge_i32_e32 vcc, s39, v1
	v_readfirstlane_b32 s36, v1
	s_cbranch_vccz .LBB47_30
; %bb.25:                               ;   in Loop: Header=BB47_24 Depth=2
	s_cmp_le_i32 s39, s36
                                        ; implicit-def: $sgpr27
                                        ; implicit-def: $sgpr38
                                        ; implicit-def: $sgpr37
	s_cbranch_scc0 .LBB47_27
; %bb.26:                               ;   in Loop: Header=BB47_24 Depth=2
	s_add_i32 s27, s35, s31
	s_lshl_b32 s27, s27, 6
	s_lshl_b32 s28, s34, 2
	v_mov_b32_e32 v1, s28
	v_mov_b32_e32 v4, s27
	s_lshl_b32 s27, s26, 6
	v_mov_b32_e32 v5, s27
	v_add_u32_e32 v1, 0x800, v1
	ds_write2_b32 v1, v5, v4 offset0:64 offset1:96
	s_add_i32 s37, s35, 1
	s_add_i32 s38, s26, 1
	;; [unrolled: 1-line block ×3, first 2 shown]
	s_mov_b64 s[28:29], 0
.LBB47_27:                              ;   in Loop: Header=BB47_24 Depth=2
	s_andn2_b64 vcc, exec, s[28:29]
	s_cbranch_vccnz .LBB47_29
; %bb.28:                               ;   in Loop: Header=BB47_24 Depth=2
	s_add_i32 s37, s35, 1
	s_mov_b32 s27, s34
	s_mov_b32 s38, s26
.LBB47_29:                              ;   in Loop: Header=BB47_24 Depth=2
	s_mov_b64 s[28:29], 0
.LBB47_30:                              ;   in Loop: Header=BB47_24 Depth=2
	s_andn2_b64 vcc, exec, s[28:29]
	s_cbranch_vccnz .LBB47_32
; %bb.31:                               ;   in Loop: Header=BB47_24 Depth=2
	s_add_i32 s38, s26, 1
	s_mov_b32 s37, s35
	s_mov_b32 s27, s34
.LBB47_32:                              ;   in Loop: Header=BB47_24 Depth=2
	s_cmp_le_i32 s38, s25
	s_cselect_b64 s[28:29], -1, 0
	s_cmp_le_i32 s36, s24
	s_cselect_b64 s[34:35], -1, 0
	s_and_b64 s[28:29], s[28:29], s[34:35]
	s_and_b64 vcc, exec, s[28:29]
	s_cbranch_vccz .LBB47_34
; %bb.33:                               ;   in Loop: Header=BB47_24 Depth=2
	s_mov_b32 s34, s27
	s_mov_b32 s26, s38
	;; [unrolled: 1-line block ×3, first 2 shown]
	s_branch .LBB47_24
.LBB47_34:                              ;   in Loop: Header=BB47_21 Depth=1
	s_add_u32 s2, s6, s2
	s_addc_u32 s3, s7, s3
	s_waitcnt lgkmcnt(0)
.LBB47_35:                              ;   Parent Loop BB47_21 Depth=1
                                        ; =>  This Inner Loop Header: Depth=2
	global_load_dword v1, v0, s[2:3] sc1
	s_waitcnt vmcnt(0)
	v_cmp_eq_u32_e32 vcc, 0, v1
	s_cbranch_vccnz .LBB47_35
; %bb.36:                               ;   in Loop: Header=BB47_21 Depth=1
	v_lshl_add_u32 v4, s25, 6, v27
	v_ashrrev_i32_e32 v5, 31, v4
	v_lshl_add_u64 v[4:5], v[4:5], 3, s[18:19]
	buffer_inv sc1
	global_load_dwordx2 v[6:7], v[4:5], off
	v_mov_b32_e32 v5, 0
	s_cmp_lt_i32 s27, 2
	v_mov_b32_e32 v4, 0
	s_waitcnt vmcnt(0)
	ds_write_b64 v23, v[6:7]
	s_waitcnt lgkmcnt(0)
	s_cbranch_scc1 .LBB47_45
; %bb.37:                               ;   in Loop: Header=BB47_21 Depth=1
	v_mov_b32_e32 v1, v0
	s_add_i32 s24, s27, -1
	s_movk_i32 s25, 0x900
	v_mov_b64_e32 v[4:5], v[0:1]
.LBB47_38:                              ;   Parent Loop BB47_21 Depth=1
                                        ; =>  This Inner Loop Header: Depth=2
	v_mov_b32_e32 v1, s25
	s_waitcnt lgkmcnt(0)
	ds_read2_b32 v[6:7], v1 offset1:32
	s_mov_b64 s[2:3], -1
	s_and_b64 vcc, exec, s[20:21]
                                        ; implicit-def: $vgpr8_vgpr9
	s_cbranch_vccz .LBB47_41
; %bb.39:                               ;   in Loop: Header=BB47_38 Depth=2
	s_waitcnt lgkmcnt(0)
	v_add_u32_e32 v8, v6, v12
	v_add_u32_e32 v28, v7, v13
	v_ashrrev_i32_e32 v29, 31, v28
	v_add_u32_e32 v32, 8, v8
	v_add_u32_e32 v34, 8, v28
	;; [unrolled: 1-line block ×10, first 2 shown]
	v_ashrrev_i32_e32 v9, 31, v8
	v_lshl_add_u64 v[30:31], v[28:29], 3, s[18:19]
	v_ashrrev_i32_e32 v33, 31, v32
	v_ashrrev_i32_e32 v35, 31, v34
	;; [unrolled: 1-line block ×10, first 2 shown]
	v_lshl_add_u64 v[10:11], v[8:9], 3, s[18:19]
	v_lshl_add_u64 v[32:33], v[32:33], 3, s[18:19]
	;; [unrolled: 1-line block ×11, first 2 shown]
	global_load_dwordx2 v[56:57], v[30:31], off
	global_load_dwordx2 v[58:59], v[34:35], off
	;; [unrolled: 1-line block ×12, first 2 shown]
	v_add_u32_e32 v54, 48, v28
	v_add_u32_e32 v52, 48, v8
	v_ashrrev_i32_e32 v55, 31, v54
	v_add_u32_e32 v8, 56, v8
	v_ashrrev_i32_e32 v53, 31, v52
	v_lshl_add_u64 v[54:55], v[54:55], 3, s[18:19]
	v_ashrrev_i32_e32 v9, 31, v8
	v_add_u32_e32 v28, 56, v28
	v_lshl_add_u64 v[52:53], v[52:53], 3, s[18:19]
	v_lshl_add_u64 v[8:9], v[8:9], 3, s[18:19]
	v_ashrrev_i32_e32 v29, 31, v28
	global_load_dwordx2 v[10:11], v[54:55], off
	global_load_dwordx2 v[30:31], v[8:9], off
	;; [unrolled: 1-line block ×3, first 2 shown]
	v_lshl_add_u64 v[8:9], v[28:29], 3, s[18:19]
	global_load_dwordx2 v[8:9], v[8:9], off
	s_waitcnt vmcnt(12)
	v_pk_fma_f32 v[28:29], v[62:63], v[56:57], v[4:5] op_sel:[1,0,0] op_sel_hi:[0,0,1]
	v_pk_fma_f32 v[28:29], v[62:63], v[56:57], v[28:29] op_sel:[0,1,0] neg_lo:[0,1,0]
	s_nop 0
	v_pk_fma_f32 v[28:29], v[60:61], v[58:59], v[28:29] op_sel:[1,0,0] op_sel_hi:[0,0,1]
	v_pk_fma_f32 v[28:29], v[60:61], v[58:59], v[28:29] op_sel:[0,1,0] neg_lo:[0,1,0]
	s_waitcnt vmcnt(8)
	v_pk_fma_f32 v[28:29], v[70:71], v[64:65], v[28:29] op_sel:[1,0,0] op_sel_hi:[0,0,1]
	v_pk_fma_f32 v[28:29], v[70:71], v[64:65], v[28:29] op_sel:[0,1,0] neg_lo:[0,1,0]
	s_nop 0
	v_pk_fma_f32 v[28:29], v[68:69], v[66:67], v[28:29] op_sel:[1,0,0] op_sel_hi:[0,0,1]
	v_pk_fma_f32 v[28:29], v[68:69], v[66:67], v[28:29] op_sel:[0,1,0] neg_lo:[0,1,0]
	s_waitcnt vmcnt(4)
	v_pk_fma_f32 v[28:29], v[78:79], v[72:73], v[28:29] op_sel:[1,0,0] op_sel_hi:[0,0,1]
	v_pk_fma_f32 v[28:29], v[78:79], v[72:73], v[28:29] op_sel:[0,1,0] neg_lo:[0,1,0]
	s_nop 0
	v_pk_fma_f32 v[28:29], v[76:77], v[74:75], v[28:29] op_sel:[1,0,0] op_sel_hi:[0,0,1]
	v_pk_fma_f32 v[28:29], v[76:77], v[74:75], v[28:29] op_sel:[0,1,0] neg_lo:[0,1,0]
	s_waitcnt vmcnt(1)
	v_pk_fma_f32 v[28:29], v[32:33], v[10:11], v[28:29] op_sel:[1,0,0] op_sel_hi:[0,0,1]
	v_pk_fma_f32 v[10:11], v[32:33], v[10:11], v[28:29] op_sel:[0,1,0] neg_lo:[0,1,0]
	s_waitcnt vmcnt(0)
	v_pk_fma_f32 v[10:11], v[30:31], v[8:9], v[10:11] op_sel:[1,0,0] op_sel_hi:[0,0,1]
	v_pk_fma_f32 v[8:9], v[30:31], v[8:9], v[10:11] op_sel:[0,1,0] neg_lo:[0,1,0]
	s_cbranch_execz .LBB47_42
.LBB47_40:                              ;   in Loop: Header=BB47_38 Depth=2
	s_add_i32 s24, s24, -1
	s_add_i32 s25, s25, 4
	s_cmp_eq_u32 s24, 0
	s_cbranch_scc0 .LBB47_43
	s_branch .LBB47_44
.LBB47_41:                              ;   in Loop: Header=BB47_38 Depth=2
	s_andn2_b64 vcc, exec, s[2:3]
	s_cbranch_vccnz .LBB47_40
.LBB47_42:                              ;   in Loop: Header=BB47_38 Depth=2
	s_waitcnt lgkmcnt(0)
	v_add_u32_e32 v8, v6, v20
	v_ashrrev_i32_e32 v9, 31, v8
	v_add_u32_e32 v6, v7, v18
	v_lshl_add_u64 v[10:11], v[8:9], 3, s[18:19]
	v_ashrrev_i32_e32 v7, 31, v6
	v_lshl_add_u64 v[56:57], v[6:7], 3, s[18:19]
	global_load_dwordx4 v[6:9], v[10:11], off
	global_load_dwordx4 v[28:31], v[56:57], off
	global_load_dwordx4 v[32:35], v[56:57], off offset:16
	global_load_dwordx4 v[36:39], v[56:57], off offset:32
	global_load_dwordx4 v[40:43], v[10:11], off offset:16
	global_load_dwordx4 v[44:47], v[10:11], off offset:32
	global_load_dwordx4 v[48:51], v[56:57], off offset:48
	global_load_dwordx4 v[52:55], v[10:11], off offset:48
	s_waitcnt vmcnt(6)
	v_pk_fma_f32 v[4:5], v[6:7], v[28:29], v[4:5] op_sel:[1,0,0] op_sel_hi:[0,0,1]
	v_pk_fma_f32 v[4:5], v[6:7], v[28:29], v[4:5] op_sel:[0,1,0] neg_lo:[0,1,0]
	v_mov_b32_e32 v10, v31
	v_pk_fma_f32 v[4:5], v[8:9], v[30:31], v[4:5] op_sel:[1,0,0] op_sel_hi:[0,0,1]
	v_pk_fma_f32 v[4:5], v[8:9], v[10:11], v[4:5] op_sel_hi:[1,0,1] neg_lo:[0,1,0]
	s_waitcnt vmcnt(5)
	v_mov_b32_e32 v56, v35
	s_waitcnt vmcnt(3)
	v_pk_fma_f32 v[4:5], v[40:41], v[32:33], v[4:5] op_sel:[1,0,0] op_sel_hi:[0,0,1]
	v_pk_fma_f32 v[4:5], v[40:41], v[32:33], v[4:5] op_sel:[0,1,0] neg_lo:[0,1,0]
	v_mov_b32_e32 v58, v39
	v_pk_fma_f32 v[4:5], v[42:43], v[34:35], v[4:5] op_sel:[1,0,0] op_sel_hi:[0,0,1]
	v_pk_fma_f32 v[4:5], v[42:43], v[56:57], v[4:5] op_sel_hi:[1,0,1] neg_lo:[0,1,0]
	s_waitcnt vmcnt(1)
	v_mov_b32_e32 v6, v51
	v_pk_fma_f32 v[4:5], v[44:45], v[36:37], v[4:5] op_sel:[1,0,0] op_sel_hi:[0,0,1]
	v_pk_fma_f32 v[4:5], v[44:45], v[36:37], v[4:5] op_sel:[0,1,0] neg_lo:[0,1,0]
	s_nop 0
	v_pk_fma_f32 v[4:5], v[46:47], v[38:39], v[4:5] op_sel:[1,0,0] op_sel_hi:[0,0,1]
	v_pk_fma_f32 v[4:5], v[46:47], v[58:59], v[4:5] op_sel_hi:[1,0,1] neg_lo:[0,1,0]
	s_waitcnt vmcnt(0)
	v_pk_fma_f32 v[4:5], v[52:53], v[48:49], v[4:5] op_sel:[1,0,0] op_sel_hi:[0,0,1]
	v_pk_fma_f32 v[4:5], v[52:53], v[48:49], v[4:5] op_sel:[0,1,0] neg_lo:[0,1,0]
	s_nop 0
	v_pk_fma_f32 v[4:5], v[54:55], v[50:51], v[4:5] op_sel:[1,0,0] op_sel_hi:[0,0,1]
	v_pk_fma_f32 v[8:9], v[54:55], v[6:7], v[4:5] op_sel_hi:[1,0,1] neg_lo:[0,1,0]
	s_add_i32 s24, s24, -1
	s_add_i32 s25, s25, 4
	s_cmp_eq_u32 s24, 0
	s_cbranch_scc1 .LBB47_44
.LBB47_43:                              ;   in Loop: Header=BB47_38 Depth=2
	v_mov_b64_e32 v[4:5], v[8:9]
	s_branch .LBB47_38
.LBB47_44:                              ;   in Loop: Header=BB47_21 Depth=1
	v_mov_b32_e32 v5, v8
	v_mov_b32_e32 v4, v9
.LBB47_45:                              ;   in Loop: Header=BB47_21 Depth=1
	ds_write_b64 v25, v[4:5]
	s_waitcnt lgkmcnt(0)
	ds_read_b64 v[6:7], v0
	ds_read_b64 v[4:5], v21
	s_waitcnt lgkmcnt(1)
	v_cmp_neq_f32_e32 vcc, 0, v6
	v_cmp_neq_f32_e64 s[2:3], 0, v7
	s_or_b64 vcc, vcc, s[2:3]
	v_cndmask_b32_e32 v6, 1.0, v6, vcc
	s_nor_b64 s[24:25], vcc, s[0:1]
	v_cndmask_b32_e32 v8, 0, v7, vcc
	s_and_saveexec_b64 s[2:3], s[24:25]
	s_cbranch_execz .LBB47_49
; %bb.46:                               ;   in Loop: Header=BB47_21 Depth=1
	v_mbcnt_lo_u32_b32 v1, exec_lo, 0
	v_mbcnt_hi_u32_b32 v1, exec_hi, v1
	v_cmp_eq_u32_e32 vcc, 0, v1
	s_and_saveexec_b64 s[24:25], vcc
	s_cbranch_execz .LBB47_48
; %bb.47:                               ;   in Loop: Header=BB47_21 Depth=1
	v_mov_b32_e32 v1, s23
	global_atomic_smin v0, v1, s[10:11]
.LBB47_48:                              ;   in Loop: Header=BB47_21 Depth=1
	s_or_b64 exec, exec, s[24:25]
	v_mov_b32_e32 v8, 0
	v_mov_b32_e32 v6, 1.0
.LBB47_49:                              ;   in Loop: Header=BB47_21 Depth=1
	s_or_b64 exec, exec, s[2:3]
	v_mul_f32_e32 v1, v8, v8
	v_fmac_f32_e32 v1, v6, v6
	v_div_scale_f32 v7, s[2:3], v1, v1, 1.0
	v_rcp_f32_e32 v9, v7
	ds_read_b64 v[10:11], v24
	v_fma_f32 v28, -v7, v9, 1.0
	v_fmac_f32_e32 v9, v28, v9
	v_div_scale_f32 v28, vcc, 1.0, v1, 1.0
	v_mul_f32_e32 v29, v28, v9
	v_fma_f32 v30, -v7, v29, v28
	v_fmac_f32_e32 v29, v30, v9
	s_waitcnt lgkmcnt(0)
	v_pk_add_f32 v[4:5], v[4:5], v[10:11] neg_lo:[0,1] neg_hi:[0,1]
	v_fma_f32 v7, -v7, v29, v28
	v_xor_b32_e32 v11, 0x80000000, v4
	v_mov_b32_e32 v10, v5
	v_div_fmas_f32 v7, v7, v9, v29
	v_pk_mul_f32 v[8:9], v[8:9], v[10:11] op_sel_hi:[0,1]
	v_div_fixup_f32 v28, v7, v1, 1.0
	v_pk_fma_f32 v[4:5], v[4:5], v[6:7], v[8:9] op_sel_hi:[1,0,1]
	s_nop 0
	v_pk_mul_f32 v[4:5], v[28:29], v[4:5] op_sel_hi:[0,1]
	ds_write_b64 v21, v[4:5]
	s_waitcnt lgkmcnt(0)
	ds_read_b64 v[6:7], v26
	ds_read_b64 v[8:9], v14
	s_waitcnt lgkmcnt(0)
	v_pk_fma_f32 v[8:9], v[4:5], v[6:7], v[8:9] op_sel_hi:[1,0,1]
	s_nop 0
	v_pk_fma_f32 v[4:5], v[4:5], v[6:7], v[8:9] op_sel:[0,1,1] op_sel_hi:[1,1,0] neg_lo:[0,1,0]
	s_nop 0
	v_pk_mov_b32 v[4:5], v[4:5], v[4:5] op_sel:[1,0]
	ds_write_b64 v14, v[4:5]
	s_waitcnt lgkmcnt(0)
	ds_read_b64 v[6:7], v0 offset:80
	ds_read_b64 v[4:5], v21 offset:8
	s_waitcnt lgkmcnt(1)
	v_cmp_neq_f32_e32 vcc, 0, v6
	v_cmp_neq_f32_e64 s[2:3], 0, v7
	s_or_b64 vcc, vcc, s[2:3]
	v_cndmask_b32_e32 v6, 1.0, v6, vcc
	s_nor_b64 s[24:25], vcc, s[0:1]
	v_cndmask_b32_e32 v8, 0, v7, vcc
	s_and_saveexec_b64 s[2:3], s[24:25]
	s_cbranch_execz .LBB47_53
; %bb.50:                               ;   in Loop: Header=BB47_21 Depth=1
	v_mbcnt_lo_u32_b32 v1, exec_lo, 0
	v_mbcnt_hi_u32_b32 v1, exec_hi, v1
	v_cmp_eq_u32_e32 vcc, 0, v1
	s_and_saveexec_b64 s[24:25], vcc
	s_cbranch_execz .LBB47_52
; %bb.51:                               ;   in Loop: Header=BB47_21 Depth=1
	v_mov_b32_e32 v1, s23
	global_atomic_smin v0, v1, s[10:11]
.LBB47_52:                              ;   in Loop: Header=BB47_21 Depth=1
	s_or_b64 exec, exec, s[24:25]
	v_mov_b32_e32 v8, 0
	v_mov_b32_e32 v6, 1.0
.LBB47_53:                              ;   in Loop: Header=BB47_21 Depth=1
	s_or_b64 exec, exec, s[2:3]
	ds_read_b64 v[10:11], v24 offset:8
	s_mov_b32 s2, 0
.LBB47_54:                              ;   Parent Loop BB47_21 Depth=1
                                        ; =>  This Inner Loop Header: Depth=2
	v_add_u32_e32 v1, s2, v21
	v_mov_b32_e32 v7, s2
	ds_read_b64 v[28:29], v1
	ds_read_b64 v[30:31], v7 offset:72
	s_add_i32 s2, s2, 8
	s_cmp_lg_u32 s2, 8
	s_waitcnt lgkmcnt(0)
	v_pk_fma_f32 v[10:11], v[30:31], v[28:29], v[10:11] op_sel_hi:[1,0,1]
	s_nop 0
	v_pk_fma_f32 v[10:11], v[30:31], v[28:29], v[10:11] op_sel:[1,1,0] op_sel_hi:[0,1,1] neg_hi:[0,1,0]
	s_cbranch_scc1 .LBB47_54
; %bb.55:                               ;   in Loop: Header=BB47_21 Depth=1
	v_mul_f32_e32 v1, v8, v8
	v_fmac_f32_e32 v1, v6, v6
	v_div_scale_f32 v7, s[2:3], v1, v1, 1.0
	v_rcp_f32_e32 v9, v7
	v_div_scale_f32 v28, vcc, 1.0, v1, 1.0
	v_pk_add_f32 v[4:5], v[4:5], v[10:11] neg_lo:[0,1] neg_hi:[0,1]
	v_fma_f32 v29, -v7, v9, 1.0
	v_fmac_f32_e32 v9, v29, v9
	v_mul_f32_e32 v29, v28, v9
	v_fma_f32 v30, -v7, v29, v28
	v_fmac_f32_e32 v29, v30, v9
	v_fma_f32 v7, -v7, v29, v28
	v_xor_b32_e32 v11, 0x80000000, v4
	v_mov_b32_e32 v10, v5
	v_div_fmas_f32 v7, v7, v9, v29
	v_pk_mul_f32 v[8:9], v[8:9], v[10:11] op_sel_hi:[0,1]
	v_div_fixup_f32 v28, v7, v1, 1.0
	v_pk_fma_f32 v[4:5], v[4:5], v[6:7], v[8:9] op_sel_hi:[1,0,1]
	s_nop 0
	v_pk_mul_f32 v[4:5], v[28:29], v[4:5] op_sel_hi:[0,1]
	ds_write_b64 v21, v[4:5] offset:8
	s_waitcnt lgkmcnt(0)
	ds_read_b64 v[6:7], v26 offset:8
	ds_read_b64 v[8:9], v14
	s_waitcnt lgkmcnt(0)
	v_pk_fma_f32 v[8:9], v[4:5], v[6:7], v[8:9] op_sel_hi:[1,0,1]
	s_nop 0
	v_pk_fma_f32 v[4:5], v[4:5], v[6:7], v[8:9] op_sel:[0,1,1] op_sel_hi:[1,1,0] neg_lo:[0,1,0]
	s_nop 0
	v_pk_mov_b32 v[4:5], v[4:5], v[4:5] op_sel:[1,0]
	ds_write_b64 v14, v[4:5]
	s_waitcnt lgkmcnt(0)
	ds_read_b64 v[6:7], v0 offset:160
	ds_read_b64 v[4:5], v21 offset:16
	s_waitcnt lgkmcnt(1)
	v_cmp_neq_f32_e32 vcc, 0, v6
	v_cmp_neq_f32_e64 s[2:3], 0, v7
	s_or_b64 vcc, vcc, s[2:3]
	v_cndmask_b32_e32 v6, 1.0, v6, vcc
	s_nor_b64 s[24:25], vcc, s[0:1]
	v_cndmask_b32_e32 v8, 0, v7, vcc
	s_and_saveexec_b64 s[2:3], s[24:25]
	s_cbranch_execz .LBB47_59
; %bb.56:                               ;   in Loop: Header=BB47_21 Depth=1
	v_mbcnt_lo_u32_b32 v1, exec_lo, 0
	v_mbcnt_hi_u32_b32 v1, exec_hi, v1
	v_cmp_eq_u32_e32 vcc, 0, v1
	s_and_saveexec_b64 s[24:25], vcc
	s_cbranch_execz .LBB47_58
; %bb.57:                               ;   in Loop: Header=BB47_21 Depth=1
	v_mov_b32_e32 v1, s23
	global_atomic_smin v0, v1, s[10:11]
.LBB47_58:                              ;   in Loop: Header=BB47_21 Depth=1
	s_or_b64 exec, exec, s[24:25]
	v_mov_b32_e32 v8, 0
	v_mov_b32_e32 v6, 1.0
.LBB47_59:                              ;   in Loop: Header=BB47_21 Depth=1
	s_or_b64 exec, exec, s[2:3]
	ds_read_b64 v[10:11], v24 offset:16
	s_mov_b32 s2, 0
.LBB47_60:                              ;   Parent Loop BB47_21 Depth=1
                                        ; =>  This Inner Loop Header: Depth=2
	v_add_u32_e32 v1, s2, v21
	v_mov_b32_e32 v7, s2
	ds_read_b64 v[28:29], v1
	ds_read_b64 v[30:31], v7 offset:144
	s_add_i32 s2, s2, 8
	s_cmp_lg_u32 s2, 16
	s_waitcnt lgkmcnt(0)
	v_pk_fma_f32 v[10:11], v[30:31], v[28:29], v[10:11] op_sel_hi:[1,0,1]
	s_nop 0
	v_pk_fma_f32 v[10:11], v[30:31], v[28:29], v[10:11] op_sel:[1,1,0] op_sel_hi:[0,1,1] neg_hi:[0,1,0]
	s_cbranch_scc1 .LBB47_60
; %bb.61:                               ;   in Loop: Header=BB47_21 Depth=1
	v_mul_f32_e32 v1, v8, v8
	v_fmac_f32_e32 v1, v6, v6
	v_div_scale_f32 v7, s[2:3], v1, v1, 1.0
	v_rcp_f32_e32 v9, v7
	v_div_scale_f32 v28, vcc, 1.0, v1, 1.0
	v_pk_add_f32 v[4:5], v[4:5], v[10:11] neg_lo:[0,1] neg_hi:[0,1]
	v_fma_f32 v29, -v7, v9, 1.0
	v_fmac_f32_e32 v9, v29, v9
	v_mul_f32_e32 v29, v28, v9
	v_fma_f32 v30, -v7, v29, v28
	v_fmac_f32_e32 v29, v30, v9
	v_fma_f32 v7, -v7, v29, v28
	v_xor_b32_e32 v11, 0x80000000, v4
	v_mov_b32_e32 v10, v5
	v_div_fmas_f32 v7, v7, v9, v29
	v_pk_mul_f32 v[8:9], v[8:9], v[10:11] op_sel_hi:[0,1]
	v_div_fixup_f32 v28, v7, v1, 1.0
	v_pk_fma_f32 v[4:5], v[4:5], v[6:7], v[8:9] op_sel_hi:[1,0,1]
	s_nop 0
	v_pk_mul_f32 v[4:5], v[28:29], v[4:5] op_sel_hi:[0,1]
	ds_write_b64 v21, v[4:5] offset:16
	s_waitcnt lgkmcnt(0)
	ds_read_b64 v[6:7], v26 offset:16
	ds_read_b64 v[8:9], v14
	s_waitcnt lgkmcnt(0)
	v_pk_fma_f32 v[8:9], v[4:5], v[6:7], v[8:9] op_sel_hi:[1,0,1]
	s_nop 0
	v_pk_fma_f32 v[4:5], v[4:5], v[6:7], v[8:9] op_sel:[0,1,1] op_sel_hi:[1,1,0] neg_lo:[0,1,0]
	s_nop 0
	v_pk_mov_b32 v[4:5], v[4:5], v[4:5] op_sel:[1,0]
	ds_write_b64 v14, v[4:5]
	s_waitcnt lgkmcnt(0)
	ds_read_b64 v[6:7], v0 offset:240
	ds_read_b64 v[4:5], v21 offset:24
	s_waitcnt lgkmcnt(1)
	v_cmp_neq_f32_e32 vcc, 0, v6
	v_cmp_neq_f32_e64 s[2:3], 0, v7
	s_or_b64 vcc, vcc, s[2:3]
	v_cndmask_b32_e32 v6, 1.0, v6, vcc
	s_nor_b64 s[24:25], vcc, s[0:1]
	v_cndmask_b32_e32 v8, 0, v7, vcc
	s_and_saveexec_b64 s[2:3], s[24:25]
	s_cbranch_execz .LBB47_65
; %bb.62:                               ;   in Loop: Header=BB47_21 Depth=1
	v_mbcnt_lo_u32_b32 v1, exec_lo, 0
	v_mbcnt_hi_u32_b32 v1, exec_hi, v1
	v_cmp_eq_u32_e32 vcc, 0, v1
	s_and_saveexec_b64 s[24:25], vcc
	s_cbranch_execz .LBB47_64
; %bb.63:                               ;   in Loop: Header=BB47_21 Depth=1
	v_mov_b32_e32 v1, s23
	global_atomic_smin v0, v1, s[10:11]
.LBB47_64:                              ;   in Loop: Header=BB47_21 Depth=1
	s_or_b64 exec, exec, s[24:25]
	v_mov_b32_e32 v8, 0
	v_mov_b32_e32 v6, 1.0
.LBB47_65:                              ;   in Loop: Header=BB47_21 Depth=1
	s_or_b64 exec, exec, s[2:3]
	ds_read_b64 v[10:11], v24 offset:24
	s_mov_b32 s2, 0
.LBB47_66:                              ;   Parent Loop BB47_21 Depth=1
                                        ; =>  This Inner Loop Header: Depth=2
	v_add_u32_e32 v1, s2, v21
	v_mov_b32_e32 v7, s2
	ds_read_b64 v[28:29], v1
	ds_read_b64 v[30:31], v7 offset:216
	s_add_i32 s2, s2, 8
	s_cmp_lg_u32 s2, 24
	s_waitcnt lgkmcnt(0)
	v_pk_fma_f32 v[10:11], v[30:31], v[28:29], v[10:11] op_sel_hi:[1,0,1]
	s_nop 0
	v_pk_fma_f32 v[10:11], v[30:31], v[28:29], v[10:11] op_sel:[1,1,0] op_sel_hi:[0,1,1] neg_hi:[0,1,0]
	s_cbranch_scc1 .LBB47_66
; %bb.67:                               ;   in Loop: Header=BB47_21 Depth=1
	v_mul_f32_e32 v1, v8, v8
	v_fmac_f32_e32 v1, v6, v6
	v_div_scale_f32 v7, s[2:3], v1, v1, 1.0
	v_rcp_f32_e32 v9, v7
	v_div_scale_f32 v28, vcc, 1.0, v1, 1.0
	v_pk_add_f32 v[4:5], v[4:5], v[10:11] neg_lo:[0,1] neg_hi:[0,1]
	v_fma_f32 v29, -v7, v9, 1.0
	v_fmac_f32_e32 v9, v29, v9
	v_mul_f32_e32 v29, v28, v9
	v_fma_f32 v30, -v7, v29, v28
	v_fmac_f32_e32 v29, v30, v9
	v_fma_f32 v7, -v7, v29, v28
	v_xor_b32_e32 v11, 0x80000000, v4
	v_mov_b32_e32 v10, v5
	v_div_fmas_f32 v7, v7, v9, v29
	v_pk_mul_f32 v[8:9], v[8:9], v[10:11] op_sel_hi:[0,1]
	v_div_fixup_f32 v28, v7, v1, 1.0
	v_pk_fma_f32 v[4:5], v[4:5], v[6:7], v[8:9] op_sel_hi:[1,0,1]
	s_nop 0
	v_pk_mul_f32 v[4:5], v[28:29], v[4:5] op_sel_hi:[0,1]
	ds_write_b64 v21, v[4:5] offset:24
	s_waitcnt lgkmcnt(0)
	ds_read_b64 v[6:7], v26 offset:24
	ds_read_b64 v[8:9], v14
	s_waitcnt lgkmcnt(0)
	v_pk_fma_f32 v[8:9], v[4:5], v[6:7], v[8:9] op_sel_hi:[1,0,1]
	s_nop 0
	v_pk_fma_f32 v[4:5], v[4:5], v[6:7], v[8:9] op_sel:[0,1,1] op_sel_hi:[1,1,0] neg_lo:[0,1,0]
	s_nop 0
	v_pk_mov_b32 v[4:5], v[4:5], v[4:5] op_sel:[1,0]
	ds_write_b64 v14, v[4:5]
	s_waitcnt lgkmcnt(0)
	ds_read_b64 v[6:7], v0 offset:320
	ds_read_b64 v[4:5], v21 offset:32
	s_waitcnt lgkmcnt(1)
	v_cmp_neq_f32_e32 vcc, 0, v6
	v_cmp_neq_f32_e64 s[2:3], 0, v7
	s_or_b64 vcc, vcc, s[2:3]
	v_cndmask_b32_e32 v6, 1.0, v6, vcc
	s_nor_b64 s[24:25], vcc, s[0:1]
	v_cndmask_b32_e32 v8, 0, v7, vcc
	s_and_saveexec_b64 s[2:3], s[24:25]
	s_cbranch_execz .LBB47_71
; %bb.68:                               ;   in Loop: Header=BB47_21 Depth=1
	v_mbcnt_lo_u32_b32 v1, exec_lo, 0
	v_mbcnt_hi_u32_b32 v1, exec_hi, v1
	v_cmp_eq_u32_e32 vcc, 0, v1
	s_and_saveexec_b64 s[24:25], vcc
	s_cbranch_execz .LBB47_70
; %bb.69:                               ;   in Loop: Header=BB47_21 Depth=1
	v_mov_b32_e32 v1, s23
	global_atomic_smin v0, v1, s[10:11]
.LBB47_70:                              ;   in Loop: Header=BB47_21 Depth=1
	s_or_b64 exec, exec, s[24:25]
	v_mov_b32_e32 v8, 0
	v_mov_b32_e32 v6, 1.0
.LBB47_71:                              ;   in Loop: Header=BB47_21 Depth=1
	s_or_b64 exec, exec, s[2:3]
	ds_read_b64 v[10:11], v24 offset:32
	s_mov_b32 s2, 0
.LBB47_72:                              ;   Parent Loop BB47_21 Depth=1
                                        ; =>  This Inner Loop Header: Depth=2
	v_add_u32_e32 v1, s2, v21
	v_mov_b32_e32 v7, s2
	ds_read_b64 v[28:29], v1
	ds_read_b64 v[30:31], v7 offset:288
	s_add_i32 s2, s2, 8
	s_cmp_lg_u32 s2, 32
	s_waitcnt lgkmcnt(0)
	v_pk_fma_f32 v[10:11], v[30:31], v[28:29], v[10:11] op_sel_hi:[1,0,1]
	s_nop 0
	v_pk_fma_f32 v[10:11], v[30:31], v[28:29], v[10:11] op_sel:[1,1,0] op_sel_hi:[0,1,1] neg_hi:[0,1,0]
	s_cbranch_scc1 .LBB47_72
; %bb.73:                               ;   in Loop: Header=BB47_21 Depth=1
	v_mul_f32_e32 v1, v8, v8
	v_fmac_f32_e32 v1, v6, v6
	v_div_scale_f32 v7, s[2:3], v1, v1, 1.0
	v_rcp_f32_e32 v9, v7
	v_div_scale_f32 v28, vcc, 1.0, v1, 1.0
	v_pk_add_f32 v[4:5], v[4:5], v[10:11] neg_lo:[0,1] neg_hi:[0,1]
	v_fma_f32 v29, -v7, v9, 1.0
	v_fmac_f32_e32 v9, v29, v9
	v_mul_f32_e32 v29, v28, v9
	v_fma_f32 v30, -v7, v29, v28
	v_fmac_f32_e32 v29, v30, v9
	v_fma_f32 v7, -v7, v29, v28
	v_xor_b32_e32 v11, 0x80000000, v4
	v_mov_b32_e32 v10, v5
	v_div_fmas_f32 v7, v7, v9, v29
	v_pk_mul_f32 v[8:9], v[8:9], v[10:11] op_sel_hi:[0,1]
	v_div_fixup_f32 v28, v7, v1, 1.0
	v_pk_fma_f32 v[4:5], v[4:5], v[6:7], v[8:9] op_sel_hi:[1,0,1]
	s_nop 0
	v_pk_mul_f32 v[4:5], v[28:29], v[4:5] op_sel_hi:[0,1]
	ds_write_b64 v21, v[4:5] offset:32
	s_waitcnt lgkmcnt(0)
	ds_read_b64 v[6:7], v26 offset:32
	ds_read_b64 v[8:9], v14
	s_waitcnt lgkmcnt(0)
	v_pk_fma_f32 v[8:9], v[4:5], v[6:7], v[8:9] op_sel_hi:[1,0,1]
	s_nop 0
	v_pk_fma_f32 v[4:5], v[4:5], v[6:7], v[8:9] op_sel:[0,1,1] op_sel_hi:[1,1,0] neg_lo:[0,1,0]
	s_nop 0
	v_pk_mov_b32 v[4:5], v[4:5], v[4:5] op_sel:[1,0]
	ds_write_b64 v14, v[4:5]
	s_waitcnt lgkmcnt(0)
	ds_read_b64 v[6:7], v0 offset:400
	ds_read_b64 v[4:5], v21 offset:40
	s_waitcnt lgkmcnt(1)
	v_cmp_neq_f32_e32 vcc, 0, v6
	v_cmp_neq_f32_e64 s[2:3], 0, v7
	s_or_b64 vcc, vcc, s[2:3]
	v_cndmask_b32_e32 v6, 1.0, v6, vcc
	s_nor_b64 s[24:25], vcc, s[0:1]
	v_cndmask_b32_e32 v8, 0, v7, vcc
	s_and_saveexec_b64 s[2:3], s[24:25]
	s_cbranch_execz .LBB47_77
; %bb.74:                               ;   in Loop: Header=BB47_21 Depth=1
	v_mbcnt_lo_u32_b32 v1, exec_lo, 0
	v_mbcnt_hi_u32_b32 v1, exec_hi, v1
	v_cmp_eq_u32_e32 vcc, 0, v1
	s_and_saveexec_b64 s[24:25], vcc
	s_cbranch_execz .LBB47_76
; %bb.75:                               ;   in Loop: Header=BB47_21 Depth=1
	v_mov_b32_e32 v1, s23
	global_atomic_smin v0, v1, s[10:11]
.LBB47_76:                              ;   in Loop: Header=BB47_21 Depth=1
	s_or_b64 exec, exec, s[24:25]
	v_mov_b32_e32 v8, 0
	v_mov_b32_e32 v6, 1.0
.LBB47_77:                              ;   in Loop: Header=BB47_21 Depth=1
	s_or_b64 exec, exec, s[2:3]
	ds_read_b64 v[10:11], v24 offset:40
	s_mov_b32 s2, 0
.LBB47_78:                              ;   Parent Loop BB47_21 Depth=1
                                        ; =>  This Inner Loop Header: Depth=2
	v_add_u32_e32 v1, s2, v21
	v_mov_b32_e32 v7, s2
	ds_read_b64 v[28:29], v1
	ds_read_b64 v[30:31], v7 offset:360
	s_add_i32 s2, s2, 8
	s_cmp_lg_u32 s2, 40
	s_waitcnt lgkmcnt(0)
	v_pk_fma_f32 v[10:11], v[30:31], v[28:29], v[10:11] op_sel_hi:[1,0,1]
	s_nop 0
	v_pk_fma_f32 v[10:11], v[30:31], v[28:29], v[10:11] op_sel:[1,1,0] op_sel_hi:[0,1,1] neg_hi:[0,1,0]
	s_cbranch_scc1 .LBB47_78
; %bb.79:                               ;   in Loop: Header=BB47_21 Depth=1
	v_mul_f32_e32 v1, v8, v8
	v_fmac_f32_e32 v1, v6, v6
	v_div_scale_f32 v7, s[2:3], v1, v1, 1.0
	v_rcp_f32_e32 v9, v7
	v_div_scale_f32 v28, vcc, 1.0, v1, 1.0
	v_pk_add_f32 v[4:5], v[4:5], v[10:11] neg_lo:[0,1] neg_hi:[0,1]
	v_fma_f32 v29, -v7, v9, 1.0
	v_fmac_f32_e32 v9, v29, v9
	v_mul_f32_e32 v29, v28, v9
	v_fma_f32 v30, -v7, v29, v28
	v_fmac_f32_e32 v29, v30, v9
	v_fma_f32 v7, -v7, v29, v28
	v_xor_b32_e32 v11, 0x80000000, v4
	v_mov_b32_e32 v10, v5
	v_div_fmas_f32 v7, v7, v9, v29
	v_pk_mul_f32 v[8:9], v[8:9], v[10:11] op_sel_hi:[0,1]
	v_div_fixup_f32 v28, v7, v1, 1.0
	v_pk_fma_f32 v[4:5], v[4:5], v[6:7], v[8:9] op_sel_hi:[1,0,1]
	s_nop 0
	v_pk_mul_f32 v[4:5], v[28:29], v[4:5] op_sel_hi:[0,1]
	ds_write_b64 v21, v[4:5] offset:40
	s_waitcnt lgkmcnt(0)
	ds_read_b64 v[6:7], v26 offset:40
	ds_read_b64 v[8:9], v14
	s_waitcnt lgkmcnt(0)
	v_pk_fma_f32 v[8:9], v[4:5], v[6:7], v[8:9] op_sel_hi:[1,0,1]
	s_nop 0
	v_pk_fma_f32 v[4:5], v[4:5], v[6:7], v[8:9] op_sel:[0,1,1] op_sel_hi:[1,1,0] neg_lo:[0,1,0]
	s_nop 0
	v_pk_mov_b32 v[4:5], v[4:5], v[4:5] op_sel:[1,0]
	ds_write_b64 v14, v[4:5]
	s_waitcnt lgkmcnt(0)
	ds_read_b64 v[6:7], v0 offset:480
	ds_read_b64 v[4:5], v21 offset:48
	s_waitcnt lgkmcnt(1)
	v_cmp_neq_f32_e32 vcc, 0, v6
	v_cmp_neq_f32_e64 s[2:3], 0, v7
	s_or_b64 vcc, vcc, s[2:3]
	v_cndmask_b32_e32 v6, 1.0, v6, vcc
	s_nor_b64 s[24:25], vcc, s[0:1]
	v_cndmask_b32_e32 v8, 0, v7, vcc
	s_and_saveexec_b64 s[2:3], s[24:25]
	s_cbranch_execz .LBB47_83
; %bb.80:                               ;   in Loop: Header=BB47_21 Depth=1
	v_mbcnt_lo_u32_b32 v1, exec_lo, 0
	v_mbcnt_hi_u32_b32 v1, exec_hi, v1
	v_cmp_eq_u32_e32 vcc, 0, v1
	s_and_saveexec_b64 s[24:25], vcc
	s_cbranch_execz .LBB47_82
; %bb.81:                               ;   in Loop: Header=BB47_21 Depth=1
	v_mov_b32_e32 v1, s23
	global_atomic_smin v0, v1, s[10:11]
.LBB47_82:                              ;   in Loop: Header=BB47_21 Depth=1
	s_or_b64 exec, exec, s[24:25]
	v_mov_b32_e32 v8, 0
	v_mov_b32_e32 v6, 1.0
.LBB47_83:                              ;   in Loop: Header=BB47_21 Depth=1
	s_or_b64 exec, exec, s[2:3]
	ds_read_b64 v[10:11], v24 offset:48
	s_mov_b32 s2, 0
.LBB47_84:                              ;   Parent Loop BB47_21 Depth=1
                                        ; =>  This Inner Loop Header: Depth=2
	v_add_u32_e32 v1, s2, v21
	v_mov_b32_e32 v7, s2
	ds_read_b64 v[28:29], v1
	ds_read_b64 v[30:31], v7 offset:432
	s_add_i32 s2, s2, 8
	s_cmp_lg_u32 s2, 48
	s_waitcnt lgkmcnt(0)
	v_pk_fma_f32 v[10:11], v[30:31], v[28:29], v[10:11] op_sel_hi:[1,0,1]
	s_nop 0
	v_pk_fma_f32 v[10:11], v[30:31], v[28:29], v[10:11] op_sel:[1,1,0] op_sel_hi:[0,1,1] neg_hi:[0,1,0]
	s_cbranch_scc1 .LBB47_84
; %bb.85:                               ;   in Loop: Header=BB47_21 Depth=1
	v_mul_f32_e32 v1, v8, v8
	v_fmac_f32_e32 v1, v6, v6
	v_div_scale_f32 v7, s[2:3], v1, v1, 1.0
	v_rcp_f32_e32 v9, v7
	v_div_scale_f32 v28, vcc, 1.0, v1, 1.0
	v_pk_add_f32 v[4:5], v[4:5], v[10:11] neg_lo:[0,1] neg_hi:[0,1]
	v_fma_f32 v29, -v7, v9, 1.0
	v_fmac_f32_e32 v9, v29, v9
	v_mul_f32_e32 v29, v28, v9
	v_fma_f32 v30, -v7, v29, v28
	v_fmac_f32_e32 v29, v30, v9
	v_fma_f32 v7, -v7, v29, v28
	v_xor_b32_e32 v11, 0x80000000, v4
	v_mov_b32_e32 v10, v5
	v_div_fmas_f32 v7, v7, v9, v29
	v_pk_mul_f32 v[8:9], v[8:9], v[10:11] op_sel_hi:[0,1]
	v_div_fixup_f32 v28, v7, v1, 1.0
	v_pk_fma_f32 v[4:5], v[4:5], v[6:7], v[8:9] op_sel_hi:[1,0,1]
	s_nop 0
	v_pk_mul_f32 v[4:5], v[28:29], v[4:5] op_sel_hi:[0,1]
	ds_write_b64 v21, v[4:5] offset:48
	s_waitcnt lgkmcnt(0)
	ds_read_b64 v[6:7], v26 offset:48
	ds_read_b64 v[8:9], v14
	s_waitcnt lgkmcnt(0)
	v_pk_fma_f32 v[8:9], v[4:5], v[6:7], v[8:9] op_sel_hi:[1,0,1]
	s_nop 0
	v_pk_fma_f32 v[4:5], v[4:5], v[6:7], v[8:9] op_sel:[0,1,1] op_sel_hi:[1,1,0] neg_lo:[0,1,0]
	s_nop 0
	v_pk_mov_b32 v[4:5], v[4:5], v[4:5] op_sel:[1,0]
	ds_write_b64 v14, v[4:5]
	s_waitcnt lgkmcnt(0)
	ds_read_b64 v[6:7], v0 offset:560
	ds_read_b64 v[4:5], v21 offset:56
	s_waitcnt lgkmcnt(1)
	v_cmp_neq_f32_e32 vcc, 0, v6
	v_cmp_neq_f32_e64 s[2:3], 0, v7
	s_or_b64 vcc, vcc, s[2:3]
	v_cndmask_b32_e32 v6, 1.0, v6, vcc
	s_nor_b64 s[24:25], vcc, s[0:1]
	v_cndmask_b32_e32 v8, 0, v7, vcc
	s_and_saveexec_b64 s[2:3], s[24:25]
	s_cbranch_execz .LBB47_89
; %bb.86:                               ;   in Loop: Header=BB47_21 Depth=1
	v_mbcnt_lo_u32_b32 v1, exec_lo, 0
	v_mbcnt_hi_u32_b32 v1, exec_hi, v1
	v_cmp_eq_u32_e32 vcc, 0, v1
	s_and_saveexec_b64 s[24:25], vcc
	s_cbranch_execz .LBB47_88
; %bb.87:                               ;   in Loop: Header=BB47_21 Depth=1
	v_mov_b32_e32 v1, s23
	global_atomic_smin v0, v1, s[10:11]
.LBB47_88:                              ;   in Loop: Header=BB47_21 Depth=1
	s_or_b64 exec, exec, s[24:25]
	v_mov_b32_e32 v8, 0
	v_mov_b32_e32 v6, 1.0
.LBB47_89:                              ;   in Loop: Header=BB47_21 Depth=1
	s_or_b64 exec, exec, s[2:3]
	ds_read_b64 v[10:11], v24 offset:56
	s_mov_b32 s2, 0
.LBB47_90:                              ;   Parent Loop BB47_21 Depth=1
                                        ; =>  This Inner Loop Header: Depth=2
	v_add_u32_e32 v1, s2, v21
	v_mov_b32_e32 v7, s2
	ds_read_b64 v[28:29], v1
	ds_read_b64 v[30:31], v7 offset:504
	s_add_i32 s2, s2, 8
	s_cmp_lg_u32 s2, 56
	s_waitcnt lgkmcnt(0)
	v_pk_fma_f32 v[10:11], v[30:31], v[28:29], v[10:11] op_sel_hi:[1,0,1]
	s_nop 0
	v_pk_fma_f32 v[10:11], v[30:31], v[28:29], v[10:11] op_sel:[1,1,0] op_sel_hi:[0,1,1] neg_hi:[0,1,0]
	s_cbranch_scc1 .LBB47_90
; %bb.91:                               ;   in Loop: Header=BB47_21 Depth=1
	v_mul_f32_e32 v1, v8, v8
	v_fmac_f32_e32 v1, v6, v6
	v_div_scale_f32 v7, s[2:3], v1, v1, 1.0
	v_rcp_f32_e32 v9, v7
	v_div_scale_f32 v28, vcc, 1.0, v1, 1.0
	v_pk_add_f32 v[4:5], v[4:5], v[10:11] neg_lo:[0,1] neg_hi:[0,1]
	v_fma_f32 v29, -v7, v9, 1.0
	v_fmac_f32_e32 v9, v29, v9
	v_mul_f32_e32 v29, v28, v9
	v_fma_f32 v30, -v7, v29, v28
	v_fmac_f32_e32 v29, v30, v9
	v_fma_f32 v7, -v7, v29, v28
	v_xor_b32_e32 v11, 0x80000000, v4
	v_mov_b32_e32 v10, v5
	v_div_fmas_f32 v7, v7, v9, v29
	v_pk_mul_f32 v[8:9], v[8:9], v[10:11] op_sel_hi:[0,1]
	v_div_fixup_f32 v28, v7, v1, 1.0
	v_pk_fma_f32 v[4:5], v[4:5], v[6:7], v[8:9] op_sel_hi:[1,0,1]
	s_add_i32 s22, s22, 1
	v_pk_mul_f32 v[4:5], v[28:29], v[4:5] op_sel_hi:[0,1]
	ds_write_b64 v21, v[4:5] offset:56
	s_waitcnt lgkmcnt(0)
	ds_read_b64 v[6:7], v26 offset:56
	ds_read_b64 v[8:9], v14
	s_cmp_ge_i32 s22, s30
	s_cselect_b64 s[2:3], -1, 0
	s_waitcnt lgkmcnt(0)
	v_pk_fma_f32 v[8:9], v[4:5], v[6:7], v[8:9] op_sel_hi:[1,0,1]
	s_nop 0
	v_pk_fma_f32 v[4:5], v[4:5], v[6:7], v[8:9] op_sel:[0,1,1] op_sel_hi:[1,1,0] neg_lo:[0,1,0]
	s_nop 0
	v_pk_mov_b32 v[4:5], v[4:5], v[4:5] op_sel:[1,0]
	ds_write_b64 v14, v[4:5]
	s_waitcnt lgkmcnt(0)
	ds_read_b64 v[4:5], v22
	s_waitcnt lgkmcnt(0)
	global_store_dwordx2 v[2:3], v[4:5], off
	buffer_wbl2 sc1
	s_waitcnt vmcnt(0)
	buffer_inv sc1
	s_and_b64 vcc, exec, s[2:3]
	s_cbranch_vccz .LBB47_21
.LBB47_92:
	s_waitcnt lgkmcnt(0)
	s_cmp_eq_u32 s33, 0
	s_cselect_b64 vcc, -1, 0
	v_cndmask_b32_e32 v0, v19, v17, vcc
	v_lshl_add_u32 v0, s30, 6, v0
	v_ashrrev_i32_e32 v1, 31, v0
	v_lshl_add_u64 v[0:1], v[0:1], 3, s[18:19]
	global_load_dwordx2 v[6:7], v[0:1], off
	s_movk_i32 s0, 0x48
	v_mov_b32_e32 v2, 0x480
	v_mad_u32_u24 v5, v13, s0, v2
	v_cmp_ne_u32_e64 s[2:3], 0, v13
	v_lshl_add_u32 v3, v12, 3, v5
	v_cmp_eq_u32_e32 vcc, 0, v13
	s_waitcnt vmcnt(0)
	ds_write_b64 v3, v[6:7]
	s_waitcnt lgkmcnt(0)
	s_and_saveexec_b64 s[4:5], vcc
	s_cbranch_execz .LBB47_100
; %bb.93:
	v_mov_b32_e32 v6, 0
	ds_read2_b64 v[8:11], v6 offset0:144 offset1:216
	s_waitcnt lgkmcnt(0)
	v_sub_f32_e32 v2, v8, v10
	v_sub_f32_e32 v7, v9, v11
	v_cmp_gt_f32_e32 vcc, 0, v2
	s_nop 1
	v_cndmask_b32_e64 v2, v2, -v2, vcc
	v_cmp_gt_f32_e32 vcc, 0, v7
	s_nop 1
	v_cndmask_b32_e64 v4, v7, -v7, vcc
	v_cmp_ngt_f32_e32 vcc, v2, v4
	s_cbranch_vccz .LBB47_97
; %bb.94:
	v_cmp_eq_f32_e32 vcc, 0, v7
	s_cbranch_vccnz .LBB47_96
; %bb.95:
	v_div_scale_f32 v6, s[0:1], v4, v4, v2
	v_rcp_f32_e32 v7, v6
	v_div_scale_f32 v8, vcc, v2, v4, v2
	s_mov_b32 s0, 0xf800000
	v_fma_f32 v9, -v6, v7, 1.0
	v_fmac_f32_e32 v7, v9, v7
	v_mul_f32_e32 v9, v8, v7
	v_fma_f32 v10, -v6, v9, v8
	v_fmac_f32_e32 v9, v10, v7
	v_fma_f32 v6, -v6, v9, v8
	v_div_fmas_f32 v6, v6, v7, v9
	v_div_fixup_f32 v6, v6, v4, v2
	v_fma_f32 v6, v6, v6, 1.0
	v_mul_f32_e32 v7, 0x4f800000, v6
	v_cmp_gt_f32_e32 vcc, s0, v6
	s_nop 1
	v_cndmask_b32_e32 v6, v6, v7, vcc
	v_sqrt_f32_e32 v7, v6
	s_nop 0
	v_add_u32_e32 v8, -1, v7
	v_fma_f32 v9, -v8, v7, v6
	v_cmp_ge_f32_e64 s[0:1], 0, v9
	v_add_u32_e32 v9, 1, v7
	s_nop 0
	v_cndmask_b32_e64 v8, v7, v8, s[0:1]
	v_fma_f32 v7, -v9, v7, v6
	v_cmp_lt_f32_e64 s[0:1], 0, v7
	s_nop 1
	v_cndmask_b32_e64 v7, v8, v9, s[0:1]
	v_mul_f32_e32 v8, 0x37800000, v7
	v_cndmask_b32_e32 v7, v7, v8, vcc
	v_mov_b32_e32 v8, 0x260
	v_cmp_class_f32_e32 vcc, v6, v8
	s_nop 1
	v_cndmask_b32_e32 v6, v7, v6, vcc
	v_mul_f32_e32 v6, v4, v6
.LBB47_96:
	s_cbranch_execz .LBB47_98
	s_branch .LBB47_99
.LBB47_97:
                                        ; implicit-def: $vgpr6
.LBB47_98:
	v_div_scale_f32 v6, s[0:1], v2, v2, v4
	v_rcp_f32_e32 v7, v6
	v_div_scale_f32 v8, vcc, v4, v2, v4
	s_mov_b32 s0, 0xf800000
	v_fma_f32 v9, -v6, v7, 1.0
	v_fmac_f32_e32 v7, v9, v7
	v_mul_f32_e32 v9, v8, v7
	v_fma_f32 v10, -v6, v9, v8
	v_fmac_f32_e32 v9, v10, v7
	v_fma_f32 v6, -v6, v9, v8
	v_div_fmas_f32 v6, v6, v7, v9
	v_div_fixup_f32 v4, v6, v2, v4
	v_fma_f32 v4, v4, v4, 1.0
	v_mul_f32_e32 v6, 0x4f800000, v4
	v_cmp_gt_f32_e32 vcc, s0, v4
	s_nop 1
	v_cndmask_b32_e32 v4, v4, v6, vcc
	v_sqrt_f32_e32 v6, v4
	s_nop 0
	v_add_u32_e32 v7, -1, v6
	v_fma_f32 v8, -v7, v6, v4
	v_cmp_ge_f32_e64 s[0:1], 0, v8
	v_add_u32_e32 v8, 1, v6
	s_nop 0
	v_cndmask_b32_e64 v7, v6, v7, s[0:1]
	v_fma_f32 v6, -v8, v6, v4
	v_cmp_lt_f32_e64 s[0:1], 0, v6
	s_nop 1
	v_cndmask_b32_e64 v6, v7, v8, s[0:1]
	v_mul_f32_e32 v7, 0x37800000, v6
	v_cndmask_b32_e32 v6, v6, v7, vcc
	v_mov_b32_e32 v7, 0x260
	v_cmp_class_f32_e32 vcc, v4, v7
	s_nop 1
	v_cndmask_b32_e32 v4, v6, v4, vcc
	v_mul_f32_e32 v6, v2, v4
.LBB47_99:
	s_mov_b32 s0, 0xf800000
	v_mul_f32_e32 v2, 0x4f800000, v6
	v_cmp_gt_f32_e32 vcc, s0, v6
	s_nop 1
	v_cndmask_b32_e32 v2, v6, v2, vcc
	v_sqrt_f32_e32 v4, v2
	s_nop 0
	v_add_u32_e32 v6, -1, v4
	v_fma_f32 v7, -v6, v4, v2
	v_cmp_ge_f32_e64 s[0:1], 0, v7
	v_add_u32_e32 v7, 1, v4
	s_nop 0
	v_cndmask_b32_e64 v6, v4, v6, s[0:1]
	v_fma_f32 v4, -v7, v4, v2
	v_cmp_lt_f32_e64 s[0:1], 0, v4
	s_nop 1
	v_cndmask_b32_e64 v4, v6, v7, s[0:1]
	v_mul_f32_e32 v6, 0x37800000, v4
	v_cndmask_b32_e32 v4, v4, v6, vcc
	v_mov_b32_e32 v6, 0x260
	v_cmp_class_f32_e32 vcc, v2, v6
	v_mov_b32_e32 v7, 0
	s_nop 0
	v_cndmask_b32_e32 v6, v4, v2, vcc
	ds_write_b64 v7, v[6:7] offset:1152
.LBB47_100:
	s_or_b64 exec, exec, s[4:5]
	v_mov_b32_e32 v2, 0
	s_waitcnt lgkmcnt(0)
	ds_read_b64 v[6:7], v2 offset:1152
	v_cmp_ne_u32_e64 s[0:1], 0, v16
	s_add_i32 s14, s16, s17
	s_waitcnt lgkmcnt(0)
	v_cmp_neq_f32_e32 vcc, 0, v6
	v_cmp_neq_f32_e64 s[4:5], 0, v7
	s_or_b64 vcc, vcc, s[4:5]
	v_cndmask_b32_e32 v2, 1.0, v6, vcc
	s_nor_b64 s[12:13], vcc, s[0:1]
	v_cndmask_b32_e32 v4, 0, v7, vcc
	s_and_saveexec_b64 s[4:5], s[12:13]
	s_cbranch_execz .LBB47_104
; %bb.101:
	v_mbcnt_lo_u32_b32 v2, exec_lo, 0
	v_mbcnt_hi_u32_b32 v2, exec_hi, v2
	v_cmp_eq_u32_e32 vcc, 0, v2
	s_and_saveexec_b64 s[12:13], vcc
	s_cbranch_execz .LBB47_103
; %bb.102:
	v_mov_b32_e32 v2, 0
	v_mov_b32_e32 v4, s14
	global_atomic_smin v2, v4, s[10:11]
.LBB47_103:
	s_or_b64 exec, exec, s[12:13]
	v_mov_b32_e32 v4, 0
	v_mov_b32_e32 v2, 1.0
.LBB47_104:
	s_or_b64 exec, exec, s[4:5]
	s_movk_i32 s4, 0x48
	v_mov_b32_e32 v6, 0x480
	v_mad_u32_u24 v6, v12, s4, v6
	s_and_saveexec_b64 s[4:5], s[2:3]
	s_cbranch_execz .LBB47_106
; %bb.105:
	v_mul_f32_e32 v7, v4, v4
	v_fmac_f32_e32 v7, v2, v2
	v_div_scale_f32 v17, s[2:3], v7, v7, 1.0
	v_rcp_f32_e32 v18, v17
	v_div_scale_f32 v19, vcc, 1.0, v7, 1.0
	v_fma_f32 v8, -v17, v18, 1.0
	v_fmac_f32_e32 v18, v8, v18
	v_mul_f32_e32 v20, v19, v18
	v_fma_f32 v8, -v17, v20, v19
	v_fmac_f32_e32 v20, v8, v18
	ds_read_b64 v[8:9], v5
	ds_read_b64 v[10:11], v15
	v_fma_f32 v17, -v17, v20, v19
	v_div_fmas_f32 v17, v17, v18, v20
	v_div_fixup_f32 v18, v17, v7, 1.0
	s_waitcnt lgkmcnt(0)
	v_pk_add_f32 v[8:9], v[8:9], v[10:11] op_sel:[1,1] op_sel_hi:[0,0] neg_lo:[0,1] neg_hi:[0,1]
	v_xor_b32_e32 v10, 0x80000000, v9
	v_mov_b32_e32 v11, v8
	v_pk_mul_f32 v[10:11], v[4:5], v[10:11] op_sel_hi:[0,1]
	v_pk_fma_f32 v[8:9], v[8:9], v[2:3], v[10:11] op_sel_hi:[1,0,1]
	s_nop 0
	v_pk_mul_f32 v[8:9], v[18:19], v[8:9] op_sel_hi:[0,1]
	v_pk_mov_b32 v[10:11], v[8:9], v[8:9] op_sel:[1,0]
	ds_write_b64 v5, v[10:11]
	s_waitcnt lgkmcnt(0)
	ds_read_b64 v[10:11], v6
	ds_read_b64 v[18:19], v14
	s_waitcnt lgkmcnt(0)
	v_pk_fma_f32 v[18:19], v[8:9], v[10:11], v[18:19] op_sel:[1,0,0] op_sel_hi:[0,0,1]
	v_pk_fma_f32 v[8:9], v[8:9], v[10:11], v[18:19] op_sel:[0,1,0] neg_hi:[0,1,0]
	ds_write_b64 v14, v[8:9]
.LBB47_106:
	s_or_b64 exec, exec, s[4:5]
	v_cmp_eq_u32_e32 vcc, 1, v13
	s_waitcnt lgkmcnt(0)
	s_and_saveexec_b64 s[4:5], vcc
	s_cbranch_execz .LBB47_114
; %bb.107:
	v_mov_b32_e32 v7, 0
	ds_read2_b64 v[8:11], v7 offset0:154 offset1:226
	s_waitcnt lgkmcnt(0)
	v_sub_f32_e32 v2, v8, v10
	v_sub_f32_e32 v8, v9, v11
	v_cmp_gt_f32_e32 vcc, 0, v2
	s_nop 1
	v_cndmask_b32_e64 v2, v2, -v2, vcc
	v_cmp_gt_f32_e32 vcc, 0, v8
	s_nop 1
	v_cndmask_b32_e64 v4, v8, -v8, vcc
	v_cmp_gt_f32_e32 vcc, v2, v4
	s_cbranch_vccnz .LBB47_111
; %bb.108:
	v_cmp_eq_f32_e32 vcc, 0, v8
	s_cbranch_vccnz .LBB47_110
; %bb.109:
	v_div_scale_f32 v7, s[2:3], v4, v4, v2
	v_rcp_f32_e32 v8, v7
	v_div_scale_f32 v9, vcc, v2, v4, v2
	s_mov_b32 s2, 0xf800000
	v_fma_f32 v10, -v7, v8, 1.0
	v_fmac_f32_e32 v8, v10, v8
	v_mul_f32_e32 v10, v9, v8
	v_fma_f32 v11, -v7, v10, v9
	v_fmac_f32_e32 v10, v11, v8
	v_fma_f32 v7, -v7, v10, v9
	v_div_fmas_f32 v7, v7, v8, v10
	v_div_fixup_f32 v7, v7, v4, v2
	v_fma_f32 v7, v7, v7, 1.0
	v_mul_f32_e32 v8, 0x4f800000, v7
	v_cmp_gt_f32_e32 vcc, s2, v7
	s_nop 1
	v_cndmask_b32_e32 v7, v7, v8, vcc
	v_sqrt_f32_e32 v8, v7
	s_nop 0
	v_add_u32_e32 v9, -1, v8
	v_fma_f32 v10, -v9, v8, v7
	v_cmp_ge_f32_e64 s[2:3], 0, v10
	v_add_u32_e32 v10, 1, v8
	s_nop 0
	v_cndmask_b32_e64 v9, v8, v9, s[2:3]
	v_fma_f32 v8, -v10, v8, v7
	v_cmp_lt_f32_e64 s[2:3], 0, v8
	s_nop 1
	v_cndmask_b32_e64 v8, v9, v10, s[2:3]
	v_mul_f32_e32 v9, 0x37800000, v8
	v_cndmask_b32_e32 v8, v8, v9, vcc
	v_mov_b32_e32 v9, 0x260
	v_cmp_class_f32_e32 vcc, v7, v9
	s_nop 1
	v_cndmask_b32_e32 v7, v8, v7, vcc
	v_mul_f32_e32 v7, v4, v7
.LBB47_110:
	s_cbranch_execz .LBB47_112
	s_branch .LBB47_113
.LBB47_111:
                                        ; implicit-def: $vgpr7
.LBB47_112:
	v_div_scale_f32 v7, s[2:3], v2, v2, v4
	v_rcp_f32_e32 v8, v7
	v_div_scale_f32 v9, vcc, v4, v2, v4
	s_mov_b32 s2, 0xf800000
	v_fma_f32 v10, -v7, v8, 1.0
	v_fmac_f32_e32 v8, v10, v8
	v_mul_f32_e32 v10, v9, v8
	v_fma_f32 v11, -v7, v10, v9
	v_fmac_f32_e32 v10, v11, v8
	v_fma_f32 v7, -v7, v10, v9
	v_div_fmas_f32 v7, v7, v8, v10
	v_div_fixup_f32 v4, v7, v2, v4
	v_fma_f32 v4, v4, v4, 1.0
	v_mul_f32_e32 v7, 0x4f800000, v4
	v_cmp_gt_f32_e32 vcc, s2, v4
	s_nop 1
	v_cndmask_b32_e32 v4, v4, v7, vcc
	v_sqrt_f32_e32 v7, v4
	s_nop 0
	v_add_u32_e32 v8, -1, v7
	v_fma_f32 v9, -v8, v7, v4
	v_cmp_ge_f32_e64 s[2:3], 0, v9
	v_add_u32_e32 v9, 1, v7
	s_nop 0
	v_cndmask_b32_e64 v8, v7, v8, s[2:3]
	v_fma_f32 v7, -v9, v7, v4
	v_cmp_lt_f32_e64 s[2:3], 0, v7
	s_nop 1
	v_cndmask_b32_e64 v7, v8, v9, s[2:3]
	v_mul_f32_e32 v8, 0x37800000, v7
	v_cndmask_b32_e32 v7, v7, v8, vcc
	v_mov_b32_e32 v8, 0x260
	v_cmp_class_f32_e32 vcc, v4, v8
	s_nop 1
	v_cndmask_b32_e32 v4, v7, v4, vcc
	v_mul_f32_e32 v7, v2, v4
.LBB47_113:
	s_mov_b32 s2, 0xf800000
	v_mul_f32_e32 v2, 0x4f800000, v7
	v_cmp_gt_f32_e32 vcc, s2, v7
	v_mov_b32_e32 v9, 0
	s_nop 0
	v_cndmask_b32_e32 v2, v7, v2, vcc
	v_sqrt_f32_e32 v4, v2
	s_nop 0
	v_add_u32_e32 v7, -1, v4
	v_fma_f32 v8, -v7, v4, v2
	v_cmp_ge_f32_e64 s[2:3], 0, v8
	v_add_u32_e32 v8, 1, v4
	s_nop 0
	v_cndmask_b32_e64 v7, v4, v7, s[2:3]
	v_fma_f32 v4, -v8, v4, v2
	v_cmp_lt_f32_e64 s[2:3], 0, v4
	s_nop 1
	v_cndmask_b32_e64 v4, v7, v8, s[2:3]
	v_mul_f32_e32 v7, 0x37800000, v4
	v_cndmask_b32_e32 v4, v4, v7, vcc
	v_mov_b32_e32 v7, 0x260
	v_cmp_class_f32_e32 vcc, v2, v7
	s_nop 1
	v_cndmask_b32_e32 v8, v4, v2, vcc
	ds_write_b64 v9, v[8:9] offset:1232
.LBB47_114:
	s_or_b64 exec, exec, s[4:5]
	v_mov_b32_e32 v2, 0
	s_waitcnt lgkmcnt(0)
	ds_read_b64 v[8:9], v2 offset:1232
	s_waitcnt lgkmcnt(0)
	v_cmp_neq_f32_e32 vcc, 0, v8
	v_cmp_neq_f32_e64 s[2:3], 0, v9
	s_or_b64 vcc, vcc, s[2:3]
	v_cndmask_b32_e32 v2, 1.0, v8, vcc
	s_nor_b64 s[4:5], vcc, s[0:1]
	v_cndmask_b32_e32 v4, 0, v9, vcc
	s_and_saveexec_b64 s[2:3], s[4:5]
	s_cbranch_execz .LBB47_118
; %bb.115:
	v_mbcnt_lo_u32_b32 v2, exec_lo, 0
	v_mbcnt_hi_u32_b32 v2, exec_hi, v2
	v_cmp_eq_u32_e32 vcc, 0, v2
	s_and_saveexec_b64 s[4:5], vcc
	s_cbranch_execz .LBB47_117
; %bb.116:
	v_mov_b32_e32 v2, 0
	v_mov_b32_e32 v4, s14
	global_atomic_smin v2, v4, s[10:11]
.LBB47_117:
	s_or_b64 exec, exec, s[4:5]
	v_mov_b32_e32 v4, 0
	v_mov_b32_e32 v2, 1.0
.LBB47_118:
	s_or_b64 exec, exec, s[2:3]
	v_cmp_lt_u32_e32 vcc, 1, v13
	s_and_saveexec_b64 s[2:3], vcc
	s_cbranch_execz .LBB47_120
; %bb.119:
	v_mul_f32_e32 v7, v4, v4
	v_fmac_f32_e32 v7, v2, v2
	v_div_scale_f32 v17, s[4:5], v7, v7, 1.0
	v_rcp_f32_e32 v18, v17
	v_div_scale_f32 v19, vcc, 1.0, v7, 1.0
	v_fma_f32 v8, -v17, v18, 1.0
	v_fmac_f32_e32 v18, v8, v18
	v_mul_f32_e32 v20, v19, v18
	v_fma_f32 v8, -v17, v20, v19
	v_fmac_f32_e32 v20, v8, v18
	ds_read_b64 v[8:9], v5 offset:8
	ds_read_b64 v[10:11], v15 offset:8
	v_fma_f32 v17, -v17, v20, v19
	v_div_fmas_f32 v17, v17, v18, v20
	v_div_fixup_f32 v18, v17, v7, 1.0
	s_waitcnt lgkmcnt(0)
	v_pk_add_f32 v[8:9], v[8:9], v[10:11] op_sel:[1,1] op_sel_hi:[0,0] neg_lo:[0,1] neg_hi:[0,1]
	v_xor_b32_e32 v10, 0x80000000, v9
	v_mov_b32_e32 v11, v8
	v_pk_mul_f32 v[10:11], v[4:5], v[10:11] op_sel_hi:[0,1]
	v_pk_fma_f32 v[8:9], v[8:9], v[2:3], v[10:11] op_sel_hi:[1,0,1]
	s_nop 0
	v_pk_mul_f32 v[8:9], v[18:19], v[8:9] op_sel_hi:[0,1]
	v_pk_mov_b32 v[10:11], v[8:9], v[8:9] op_sel:[1,0]
	ds_write_b64 v5, v[10:11] offset:8
	s_waitcnt lgkmcnt(0)
	ds_read_b64 v[10:11], v6 offset:8
	ds_read_b64 v[18:19], v14
	s_waitcnt lgkmcnt(0)
	v_pk_fma_f32 v[18:19], v[8:9], v[10:11], v[18:19] op_sel:[1,0,0] op_sel_hi:[0,0,1]
	v_pk_fma_f32 v[8:9], v[8:9], v[10:11], v[18:19] op_sel:[0,1,0] neg_hi:[0,1,0]
	ds_write_b64 v14, v[8:9]
.LBB47_120:
	s_or_b64 exec, exec, s[2:3]
	v_cmp_eq_u32_e32 vcc, 2, v13
	s_waitcnt lgkmcnt(0)
	s_and_saveexec_b64 s[4:5], vcc
	s_cbranch_execz .LBB47_128
; %bb.121:
	v_mov_b32_e32 v7, 0
	ds_read2_b64 v[8:11], v7 offset0:164 offset1:236
	s_waitcnt lgkmcnt(0)
	v_sub_f32_e32 v2, v8, v10
	v_sub_f32_e32 v8, v9, v11
	v_cmp_gt_f32_e32 vcc, 0, v2
	s_nop 1
	v_cndmask_b32_e64 v2, v2, -v2, vcc
	v_cmp_gt_f32_e32 vcc, 0, v8
	s_nop 1
	v_cndmask_b32_e64 v4, v8, -v8, vcc
	v_cmp_gt_f32_e32 vcc, v2, v4
	s_cbranch_vccnz .LBB47_125
; %bb.122:
	v_cmp_eq_f32_e32 vcc, 0, v8
	s_cbranch_vccnz .LBB47_124
; %bb.123:
	v_div_scale_f32 v7, s[2:3], v4, v4, v2
	v_rcp_f32_e32 v8, v7
	v_div_scale_f32 v9, vcc, v2, v4, v2
	s_mov_b32 s2, 0xf800000
	v_fma_f32 v10, -v7, v8, 1.0
	v_fmac_f32_e32 v8, v10, v8
	v_mul_f32_e32 v10, v9, v8
	v_fma_f32 v11, -v7, v10, v9
	v_fmac_f32_e32 v10, v11, v8
	v_fma_f32 v7, -v7, v10, v9
	v_div_fmas_f32 v7, v7, v8, v10
	v_div_fixup_f32 v7, v7, v4, v2
	v_fma_f32 v7, v7, v7, 1.0
	v_mul_f32_e32 v8, 0x4f800000, v7
	v_cmp_gt_f32_e32 vcc, s2, v7
	s_nop 1
	v_cndmask_b32_e32 v7, v7, v8, vcc
	v_sqrt_f32_e32 v8, v7
	s_nop 0
	v_add_u32_e32 v9, -1, v8
	v_fma_f32 v10, -v9, v8, v7
	v_cmp_ge_f32_e64 s[2:3], 0, v10
	v_add_u32_e32 v10, 1, v8
	s_nop 0
	v_cndmask_b32_e64 v9, v8, v9, s[2:3]
	v_fma_f32 v8, -v10, v8, v7
	v_cmp_lt_f32_e64 s[2:3], 0, v8
	s_nop 1
	v_cndmask_b32_e64 v8, v9, v10, s[2:3]
	v_mul_f32_e32 v9, 0x37800000, v8
	v_cndmask_b32_e32 v8, v8, v9, vcc
	v_mov_b32_e32 v9, 0x260
	v_cmp_class_f32_e32 vcc, v7, v9
	s_nop 1
	v_cndmask_b32_e32 v7, v8, v7, vcc
	v_mul_f32_e32 v7, v4, v7
.LBB47_124:
	s_cbranch_execz .LBB47_126
	s_branch .LBB47_127
.LBB47_125:
                                        ; implicit-def: $vgpr7
.LBB47_126:
	v_div_scale_f32 v7, s[2:3], v2, v2, v4
	v_rcp_f32_e32 v8, v7
	v_div_scale_f32 v9, vcc, v4, v2, v4
	s_mov_b32 s2, 0xf800000
	v_fma_f32 v10, -v7, v8, 1.0
	v_fmac_f32_e32 v8, v10, v8
	v_mul_f32_e32 v10, v9, v8
	v_fma_f32 v11, -v7, v10, v9
	v_fmac_f32_e32 v10, v11, v8
	v_fma_f32 v7, -v7, v10, v9
	v_div_fmas_f32 v7, v7, v8, v10
	v_div_fixup_f32 v4, v7, v2, v4
	v_fma_f32 v4, v4, v4, 1.0
	v_mul_f32_e32 v7, 0x4f800000, v4
	v_cmp_gt_f32_e32 vcc, s2, v4
	s_nop 1
	v_cndmask_b32_e32 v4, v4, v7, vcc
	v_sqrt_f32_e32 v7, v4
	s_nop 0
	v_add_u32_e32 v8, -1, v7
	v_fma_f32 v9, -v8, v7, v4
	v_cmp_ge_f32_e64 s[2:3], 0, v9
	v_add_u32_e32 v9, 1, v7
	s_nop 0
	v_cndmask_b32_e64 v8, v7, v8, s[2:3]
	v_fma_f32 v7, -v9, v7, v4
	v_cmp_lt_f32_e64 s[2:3], 0, v7
	s_nop 1
	v_cndmask_b32_e64 v7, v8, v9, s[2:3]
	v_mul_f32_e32 v8, 0x37800000, v7
	v_cndmask_b32_e32 v7, v7, v8, vcc
	v_mov_b32_e32 v8, 0x260
	v_cmp_class_f32_e32 vcc, v4, v8
	s_nop 1
	v_cndmask_b32_e32 v4, v7, v4, vcc
	v_mul_f32_e32 v7, v2, v4
.LBB47_127:
	s_mov_b32 s2, 0xf800000
	v_mul_f32_e32 v2, 0x4f800000, v7
	v_cmp_gt_f32_e32 vcc, s2, v7
	v_mov_b32_e32 v9, 0
	s_nop 0
	v_cndmask_b32_e32 v2, v7, v2, vcc
	v_sqrt_f32_e32 v4, v2
	s_nop 0
	v_add_u32_e32 v7, -1, v4
	v_fma_f32 v8, -v7, v4, v2
	v_cmp_ge_f32_e64 s[2:3], 0, v8
	v_add_u32_e32 v8, 1, v4
	s_nop 0
	v_cndmask_b32_e64 v7, v4, v7, s[2:3]
	v_fma_f32 v4, -v8, v4, v2
	v_cmp_lt_f32_e64 s[2:3], 0, v4
	s_nop 1
	v_cndmask_b32_e64 v4, v7, v8, s[2:3]
	v_mul_f32_e32 v7, 0x37800000, v4
	v_cndmask_b32_e32 v4, v4, v7, vcc
	v_mov_b32_e32 v7, 0x260
	v_cmp_class_f32_e32 vcc, v2, v7
	s_nop 1
	v_cndmask_b32_e32 v8, v4, v2, vcc
	ds_write_b64 v9, v[8:9] offset:1312
.LBB47_128:
	s_or_b64 exec, exec, s[4:5]
	v_mov_b32_e32 v2, 0
	s_waitcnt lgkmcnt(0)
	ds_read_b64 v[8:9], v2 offset:1312
	s_waitcnt lgkmcnt(0)
	v_cmp_neq_f32_e32 vcc, 0, v8
	v_cmp_neq_f32_e64 s[2:3], 0, v9
	s_or_b64 vcc, vcc, s[2:3]
	v_cndmask_b32_e32 v2, 1.0, v8, vcc
	s_nor_b64 s[4:5], vcc, s[0:1]
	v_cndmask_b32_e32 v4, 0, v9, vcc
	s_and_saveexec_b64 s[2:3], s[4:5]
	s_cbranch_execz .LBB47_132
; %bb.129:
	v_mbcnt_lo_u32_b32 v2, exec_lo, 0
	v_mbcnt_hi_u32_b32 v2, exec_hi, v2
	v_cmp_eq_u32_e32 vcc, 0, v2
	s_and_saveexec_b64 s[4:5], vcc
	s_cbranch_execz .LBB47_131
; %bb.130:
	v_mov_b32_e32 v2, 0
	v_mov_b32_e32 v4, s14
	global_atomic_smin v2, v4, s[10:11]
.LBB47_131:
	s_or_b64 exec, exec, s[4:5]
	v_mov_b32_e32 v4, 0
	v_mov_b32_e32 v2, 1.0
.LBB47_132:
	s_or_b64 exec, exec, s[2:3]
	v_cmp_lt_u32_e32 vcc, 2, v13
	s_and_saveexec_b64 s[2:3], vcc
	s_cbranch_execz .LBB47_134
; %bb.133:
	v_mul_f32_e32 v7, v4, v4
	v_fmac_f32_e32 v7, v2, v2
	v_div_scale_f32 v17, s[4:5], v7, v7, 1.0
	v_rcp_f32_e32 v18, v17
	v_div_scale_f32 v19, vcc, 1.0, v7, 1.0
	v_fma_f32 v8, -v17, v18, 1.0
	v_fmac_f32_e32 v18, v8, v18
	v_mul_f32_e32 v20, v19, v18
	v_fma_f32 v8, -v17, v20, v19
	v_fmac_f32_e32 v20, v8, v18
	ds_read_b64 v[8:9], v5 offset:16
	ds_read_b64 v[10:11], v15 offset:16
	v_fma_f32 v17, -v17, v20, v19
	v_div_fmas_f32 v17, v17, v18, v20
	v_div_fixup_f32 v18, v17, v7, 1.0
	s_waitcnt lgkmcnt(0)
	v_pk_add_f32 v[8:9], v[8:9], v[10:11] op_sel:[1,1] op_sel_hi:[0,0] neg_lo:[0,1] neg_hi:[0,1]
	v_xor_b32_e32 v10, 0x80000000, v9
	v_mov_b32_e32 v11, v8
	v_pk_mul_f32 v[10:11], v[4:5], v[10:11] op_sel_hi:[0,1]
	v_pk_fma_f32 v[8:9], v[8:9], v[2:3], v[10:11] op_sel_hi:[1,0,1]
	s_nop 0
	v_pk_mul_f32 v[8:9], v[18:19], v[8:9] op_sel_hi:[0,1]
	v_pk_mov_b32 v[10:11], v[8:9], v[8:9] op_sel:[1,0]
	ds_write_b64 v5, v[10:11] offset:16
	s_waitcnt lgkmcnt(0)
	ds_read_b64 v[10:11], v6 offset:16
	ds_read_b64 v[18:19], v14
	s_waitcnt lgkmcnt(0)
	v_pk_fma_f32 v[18:19], v[8:9], v[10:11], v[18:19] op_sel:[1,0,0] op_sel_hi:[0,0,1]
	v_pk_fma_f32 v[8:9], v[8:9], v[10:11], v[18:19] op_sel:[0,1,0] neg_hi:[0,1,0]
	ds_write_b64 v14, v[8:9]
.LBB47_134:
	s_or_b64 exec, exec, s[2:3]
	v_cmp_eq_u32_e32 vcc, 3, v13
	s_waitcnt lgkmcnt(0)
	s_and_saveexec_b64 s[4:5], vcc
	s_cbranch_execz .LBB47_142
; %bb.135:
	v_mov_b32_e32 v7, 0
	ds_read2_b64 v[8:11], v7 offset0:174 offset1:246
	s_waitcnt lgkmcnt(0)
	v_sub_f32_e32 v2, v8, v10
	v_sub_f32_e32 v8, v9, v11
	v_cmp_gt_f32_e32 vcc, 0, v2
	s_nop 1
	v_cndmask_b32_e64 v2, v2, -v2, vcc
	v_cmp_gt_f32_e32 vcc, 0, v8
	s_nop 1
	v_cndmask_b32_e64 v4, v8, -v8, vcc
	v_cmp_gt_f32_e32 vcc, v2, v4
	s_cbranch_vccnz .LBB47_139
; %bb.136:
	v_cmp_eq_f32_e32 vcc, 0, v8
	s_cbranch_vccnz .LBB47_138
; %bb.137:
	v_div_scale_f32 v7, s[2:3], v4, v4, v2
	v_rcp_f32_e32 v8, v7
	v_div_scale_f32 v9, vcc, v2, v4, v2
	s_mov_b32 s2, 0xf800000
	v_fma_f32 v10, -v7, v8, 1.0
	v_fmac_f32_e32 v8, v10, v8
	v_mul_f32_e32 v10, v9, v8
	v_fma_f32 v11, -v7, v10, v9
	v_fmac_f32_e32 v10, v11, v8
	v_fma_f32 v7, -v7, v10, v9
	v_div_fmas_f32 v7, v7, v8, v10
	v_div_fixup_f32 v7, v7, v4, v2
	v_fma_f32 v7, v7, v7, 1.0
	v_mul_f32_e32 v8, 0x4f800000, v7
	v_cmp_gt_f32_e32 vcc, s2, v7
	s_nop 1
	v_cndmask_b32_e32 v7, v7, v8, vcc
	v_sqrt_f32_e32 v8, v7
	s_nop 0
	v_add_u32_e32 v9, -1, v8
	v_fma_f32 v10, -v9, v8, v7
	v_cmp_ge_f32_e64 s[2:3], 0, v10
	v_add_u32_e32 v10, 1, v8
	s_nop 0
	v_cndmask_b32_e64 v9, v8, v9, s[2:3]
	v_fma_f32 v8, -v10, v8, v7
	v_cmp_lt_f32_e64 s[2:3], 0, v8
	s_nop 1
	v_cndmask_b32_e64 v8, v9, v10, s[2:3]
	v_mul_f32_e32 v9, 0x37800000, v8
	v_cndmask_b32_e32 v8, v8, v9, vcc
	v_mov_b32_e32 v9, 0x260
	v_cmp_class_f32_e32 vcc, v7, v9
	s_nop 1
	v_cndmask_b32_e32 v7, v8, v7, vcc
	v_mul_f32_e32 v7, v4, v7
.LBB47_138:
	s_cbranch_execz .LBB47_140
	s_branch .LBB47_141
.LBB47_139:
                                        ; implicit-def: $vgpr7
.LBB47_140:
	v_div_scale_f32 v7, s[2:3], v2, v2, v4
	v_rcp_f32_e32 v8, v7
	v_div_scale_f32 v9, vcc, v4, v2, v4
	s_mov_b32 s2, 0xf800000
	v_fma_f32 v10, -v7, v8, 1.0
	v_fmac_f32_e32 v8, v10, v8
	v_mul_f32_e32 v10, v9, v8
	v_fma_f32 v11, -v7, v10, v9
	v_fmac_f32_e32 v10, v11, v8
	v_fma_f32 v7, -v7, v10, v9
	v_div_fmas_f32 v7, v7, v8, v10
	v_div_fixup_f32 v4, v7, v2, v4
	v_fma_f32 v4, v4, v4, 1.0
	v_mul_f32_e32 v7, 0x4f800000, v4
	v_cmp_gt_f32_e32 vcc, s2, v4
	s_nop 1
	v_cndmask_b32_e32 v4, v4, v7, vcc
	v_sqrt_f32_e32 v7, v4
	s_nop 0
	v_add_u32_e32 v8, -1, v7
	v_fma_f32 v9, -v8, v7, v4
	v_cmp_ge_f32_e64 s[2:3], 0, v9
	v_add_u32_e32 v9, 1, v7
	s_nop 0
	v_cndmask_b32_e64 v8, v7, v8, s[2:3]
	v_fma_f32 v7, -v9, v7, v4
	v_cmp_lt_f32_e64 s[2:3], 0, v7
	s_nop 1
	v_cndmask_b32_e64 v7, v8, v9, s[2:3]
	v_mul_f32_e32 v8, 0x37800000, v7
	v_cndmask_b32_e32 v7, v7, v8, vcc
	v_mov_b32_e32 v8, 0x260
	v_cmp_class_f32_e32 vcc, v4, v8
	s_nop 1
	v_cndmask_b32_e32 v4, v7, v4, vcc
	v_mul_f32_e32 v7, v2, v4
.LBB47_141:
	s_mov_b32 s2, 0xf800000
	v_mul_f32_e32 v2, 0x4f800000, v7
	v_cmp_gt_f32_e32 vcc, s2, v7
	v_mov_b32_e32 v9, 0
	s_nop 0
	v_cndmask_b32_e32 v2, v7, v2, vcc
	v_sqrt_f32_e32 v4, v2
	s_nop 0
	v_add_u32_e32 v7, -1, v4
	v_fma_f32 v8, -v7, v4, v2
	v_cmp_ge_f32_e64 s[2:3], 0, v8
	v_add_u32_e32 v8, 1, v4
	s_nop 0
	v_cndmask_b32_e64 v7, v4, v7, s[2:3]
	v_fma_f32 v4, -v8, v4, v2
	v_cmp_lt_f32_e64 s[2:3], 0, v4
	s_nop 1
	v_cndmask_b32_e64 v4, v7, v8, s[2:3]
	v_mul_f32_e32 v7, 0x37800000, v4
	v_cndmask_b32_e32 v4, v4, v7, vcc
	v_mov_b32_e32 v7, 0x260
	v_cmp_class_f32_e32 vcc, v2, v7
	s_nop 1
	v_cndmask_b32_e32 v8, v4, v2, vcc
	ds_write_b64 v9, v[8:9] offset:1392
.LBB47_142:
	s_or_b64 exec, exec, s[4:5]
	v_mov_b32_e32 v2, 0
	s_waitcnt lgkmcnt(0)
	ds_read_b64 v[8:9], v2 offset:1392
	s_waitcnt lgkmcnt(0)
	v_cmp_neq_f32_e32 vcc, 0, v8
	v_cmp_neq_f32_e64 s[2:3], 0, v9
	s_or_b64 vcc, vcc, s[2:3]
	v_cndmask_b32_e32 v2, 1.0, v8, vcc
	s_nor_b64 s[4:5], vcc, s[0:1]
	v_cndmask_b32_e32 v4, 0, v9, vcc
	s_and_saveexec_b64 s[2:3], s[4:5]
	s_cbranch_execz .LBB47_146
; %bb.143:
	v_mbcnt_lo_u32_b32 v2, exec_lo, 0
	v_mbcnt_hi_u32_b32 v2, exec_hi, v2
	v_cmp_eq_u32_e32 vcc, 0, v2
	s_and_saveexec_b64 s[4:5], vcc
	s_cbranch_execz .LBB47_145
; %bb.144:
	v_mov_b32_e32 v2, 0
	v_mov_b32_e32 v4, s14
	global_atomic_smin v2, v4, s[10:11]
.LBB47_145:
	s_or_b64 exec, exec, s[4:5]
	v_mov_b32_e32 v4, 0
	v_mov_b32_e32 v2, 1.0
.LBB47_146:
	s_or_b64 exec, exec, s[2:3]
	v_cmp_lt_u32_e32 vcc, 3, v13
	s_and_saveexec_b64 s[2:3], vcc
	s_cbranch_execz .LBB47_148
; %bb.147:
	v_mul_f32_e32 v7, v4, v4
	v_fmac_f32_e32 v7, v2, v2
	v_div_scale_f32 v17, s[4:5], v7, v7, 1.0
	v_rcp_f32_e32 v18, v17
	v_div_scale_f32 v19, vcc, 1.0, v7, 1.0
	v_fma_f32 v8, -v17, v18, 1.0
	v_fmac_f32_e32 v18, v8, v18
	v_mul_f32_e32 v20, v19, v18
	v_fma_f32 v8, -v17, v20, v19
	v_fmac_f32_e32 v20, v8, v18
	ds_read_b64 v[8:9], v5 offset:24
	ds_read_b64 v[10:11], v15 offset:24
	v_fma_f32 v17, -v17, v20, v19
	v_div_fmas_f32 v17, v17, v18, v20
	v_div_fixup_f32 v18, v17, v7, 1.0
	s_waitcnt lgkmcnt(0)
	v_pk_add_f32 v[8:9], v[8:9], v[10:11] op_sel:[1,1] op_sel_hi:[0,0] neg_lo:[0,1] neg_hi:[0,1]
	v_xor_b32_e32 v10, 0x80000000, v9
	v_mov_b32_e32 v11, v8
	v_pk_mul_f32 v[10:11], v[4:5], v[10:11] op_sel_hi:[0,1]
	v_pk_fma_f32 v[8:9], v[8:9], v[2:3], v[10:11] op_sel_hi:[1,0,1]
	s_nop 0
	v_pk_mul_f32 v[8:9], v[18:19], v[8:9] op_sel_hi:[0,1]
	v_pk_mov_b32 v[10:11], v[8:9], v[8:9] op_sel:[1,0]
	ds_write_b64 v5, v[10:11] offset:24
	s_waitcnt lgkmcnt(0)
	ds_read_b64 v[10:11], v6 offset:24
	ds_read_b64 v[18:19], v14
	s_waitcnt lgkmcnt(0)
	v_pk_fma_f32 v[18:19], v[8:9], v[10:11], v[18:19] op_sel:[1,0,0] op_sel_hi:[0,0,1]
	v_pk_fma_f32 v[8:9], v[8:9], v[10:11], v[18:19] op_sel:[0,1,0] neg_hi:[0,1,0]
	ds_write_b64 v14, v[8:9]
.LBB47_148:
	s_or_b64 exec, exec, s[2:3]
	v_cmp_eq_u32_e32 vcc, 4, v13
	s_waitcnt lgkmcnt(0)
	s_and_saveexec_b64 s[4:5], vcc
	s_cbranch_execz .LBB47_156
; %bb.149:
	s_movk_i32 s2, 0x400
	v_add_u32_e64 v2, s2, 0
	ds_read2_b64 v[8:11], v2 offset0:56 offset1:128
	v_mov_b32_e32 v7, 0
	s_waitcnt lgkmcnt(0)
	v_sub_f32_e32 v2, v8, v10
	v_sub_f32_e32 v8, v9, v11
	v_cmp_gt_f32_e32 vcc, 0, v2
	s_nop 1
	v_cndmask_b32_e64 v2, v2, -v2, vcc
	v_cmp_gt_f32_e32 vcc, 0, v8
	s_nop 1
	v_cndmask_b32_e64 v4, v8, -v8, vcc
	v_cmp_gt_f32_e32 vcc, v2, v4
	s_cbranch_vccnz .LBB47_153
; %bb.150:
	v_cmp_eq_f32_e32 vcc, 0, v8
	s_cbranch_vccnz .LBB47_152
; %bb.151:
	v_div_scale_f32 v7, s[2:3], v4, v4, v2
	v_rcp_f32_e32 v8, v7
	v_div_scale_f32 v9, vcc, v2, v4, v2
	s_mov_b32 s2, 0xf800000
	v_fma_f32 v10, -v7, v8, 1.0
	v_fmac_f32_e32 v8, v10, v8
	v_mul_f32_e32 v10, v9, v8
	v_fma_f32 v11, -v7, v10, v9
	v_fmac_f32_e32 v10, v11, v8
	v_fma_f32 v7, -v7, v10, v9
	v_div_fmas_f32 v7, v7, v8, v10
	v_div_fixup_f32 v7, v7, v4, v2
	v_fma_f32 v7, v7, v7, 1.0
	v_mul_f32_e32 v8, 0x4f800000, v7
	v_cmp_gt_f32_e32 vcc, s2, v7
	s_nop 1
	v_cndmask_b32_e32 v7, v7, v8, vcc
	v_sqrt_f32_e32 v8, v7
	s_nop 0
	v_add_u32_e32 v9, -1, v8
	v_fma_f32 v10, -v9, v8, v7
	v_cmp_ge_f32_e64 s[2:3], 0, v10
	v_add_u32_e32 v10, 1, v8
	s_nop 0
	v_cndmask_b32_e64 v9, v8, v9, s[2:3]
	v_fma_f32 v8, -v10, v8, v7
	v_cmp_lt_f32_e64 s[2:3], 0, v8
	s_nop 1
	v_cndmask_b32_e64 v8, v9, v10, s[2:3]
	v_mul_f32_e32 v9, 0x37800000, v8
	v_cndmask_b32_e32 v8, v8, v9, vcc
	v_mov_b32_e32 v9, 0x260
	v_cmp_class_f32_e32 vcc, v7, v9
	s_nop 1
	v_cndmask_b32_e32 v7, v8, v7, vcc
	v_mul_f32_e32 v7, v4, v7
.LBB47_152:
	s_cbranch_execz .LBB47_154
	s_branch .LBB47_155
.LBB47_153:
                                        ; implicit-def: $vgpr7
.LBB47_154:
	v_div_scale_f32 v7, s[2:3], v2, v2, v4
	v_rcp_f32_e32 v8, v7
	v_div_scale_f32 v9, vcc, v4, v2, v4
	s_mov_b32 s2, 0xf800000
	v_fma_f32 v10, -v7, v8, 1.0
	v_fmac_f32_e32 v8, v10, v8
	v_mul_f32_e32 v10, v9, v8
	v_fma_f32 v11, -v7, v10, v9
	v_fmac_f32_e32 v10, v11, v8
	v_fma_f32 v7, -v7, v10, v9
	v_div_fmas_f32 v7, v7, v8, v10
	v_div_fixup_f32 v4, v7, v2, v4
	v_fma_f32 v4, v4, v4, 1.0
	v_mul_f32_e32 v7, 0x4f800000, v4
	v_cmp_gt_f32_e32 vcc, s2, v4
	s_nop 1
	v_cndmask_b32_e32 v4, v4, v7, vcc
	v_sqrt_f32_e32 v7, v4
	s_nop 0
	v_add_u32_e32 v8, -1, v7
	v_fma_f32 v9, -v8, v7, v4
	v_cmp_ge_f32_e64 s[2:3], 0, v9
	v_add_u32_e32 v9, 1, v7
	s_nop 0
	v_cndmask_b32_e64 v8, v7, v8, s[2:3]
	v_fma_f32 v7, -v9, v7, v4
	v_cmp_lt_f32_e64 s[2:3], 0, v7
	s_nop 1
	v_cndmask_b32_e64 v7, v8, v9, s[2:3]
	v_mul_f32_e32 v8, 0x37800000, v7
	v_cndmask_b32_e32 v7, v7, v8, vcc
	v_mov_b32_e32 v8, 0x260
	v_cmp_class_f32_e32 vcc, v4, v8
	s_nop 1
	v_cndmask_b32_e32 v4, v7, v4, vcc
	v_mul_f32_e32 v7, v2, v4
.LBB47_155:
	s_mov_b32 s2, 0xf800000
	v_mul_f32_e32 v2, 0x4f800000, v7
	v_cmp_gt_f32_e32 vcc, s2, v7
	v_mov_b32_e32 v9, 0
	s_nop 0
	v_cndmask_b32_e32 v2, v7, v2, vcc
	v_sqrt_f32_e32 v4, v2
	s_nop 0
	v_add_u32_e32 v7, -1, v4
	v_fma_f32 v8, -v7, v4, v2
	v_cmp_ge_f32_e64 s[2:3], 0, v8
	v_add_u32_e32 v8, 1, v4
	s_nop 0
	v_cndmask_b32_e64 v7, v4, v7, s[2:3]
	v_fma_f32 v4, -v8, v4, v2
	v_cmp_lt_f32_e64 s[2:3], 0, v4
	s_nop 1
	v_cndmask_b32_e64 v4, v7, v8, s[2:3]
	v_mul_f32_e32 v7, 0x37800000, v4
	v_cndmask_b32_e32 v4, v4, v7, vcc
	v_mov_b32_e32 v7, 0x260
	v_cmp_class_f32_e32 vcc, v2, v7
	s_nop 1
	v_cndmask_b32_e32 v8, v4, v2, vcc
	ds_write_b64 v9, v[8:9] offset:1472
.LBB47_156:
	s_or_b64 exec, exec, s[4:5]
	v_mov_b32_e32 v2, 0
	s_waitcnt lgkmcnt(0)
	ds_read_b64 v[8:9], v2 offset:1472
	s_waitcnt lgkmcnt(0)
	v_cmp_neq_f32_e32 vcc, 0, v8
	v_cmp_neq_f32_e64 s[2:3], 0, v9
	s_or_b64 vcc, vcc, s[2:3]
	v_cndmask_b32_e32 v2, 1.0, v8, vcc
	s_nor_b64 s[4:5], vcc, s[0:1]
	v_cndmask_b32_e32 v4, 0, v9, vcc
	s_and_saveexec_b64 s[2:3], s[4:5]
	s_cbranch_execz .LBB47_160
; %bb.157:
	v_mbcnt_lo_u32_b32 v2, exec_lo, 0
	v_mbcnt_hi_u32_b32 v2, exec_hi, v2
	v_cmp_eq_u32_e32 vcc, 0, v2
	s_and_saveexec_b64 s[4:5], vcc
	s_cbranch_execz .LBB47_159
; %bb.158:
	v_mov_b32_e32 v2, 0
	v_mov_b32_e32 v4, s14
	global_atomic_smin v2, v4, s[10:11]
.LBB47_159:
	s_or_b64 exec, exec, s[4:5]
	v_mov_b32_e32 v4, 0
	v_mov_b32_e32 v2, 1.0
.LBB47_160:
	s_or_b64 exec, exec, s[2:3]
	v_cmp_lt_u32_e32 vcc, 4, v13
	s_and_saveexec_b64 s[2:3], vcc
	s_cbranch_execz .LBB47_162
; %bb.161:
	v_mul_f32_e32 v7, v4, v4
	v_fmac_f32_e32 v7, v2, v2
	v_div_scale_f32 v17, s[4:5], v7, v7, 1.0
	v_rcp_f32_e32 v18, v17
	v_div_scale_f32 v19, vcc, 1.0, v7, 1.0
	v_fma_f32 v8, -v17, v18, 1.0
	v_fmac_f32_e32 v18, v8, v18
	v_mul_f32_e32 v20, v19, v18
	v_fma_f32 v8, -v17, v20, v19
	v_fmac_f32_e32 v20, v8, v18
	ds_read_b64 v[8:9], v5 offset:32
	ds_read_b64 v[10:11], v15 offset:32
	v_fma_f32 v17, -v17, v20, v19
	v_div_fmas_f32 v17, v17, v18, v20
	v_div_fixup_f32 v18, v17, v7, 1.0
	s_waitcnt lgkmcnt(0)
	v_pk_add_f32 v[8:9], v[8:9], v[10:11] op_sel:[1,1] op_sel_hi:[0,0] neg_lo:[0,1] neg_hi:[0,1]
	v_xor_b32_e32 v10, 0x80000000, v9
	v_mov_b32_e32 v11, v8
	v_pk_mul_f32 v[10:11], v[4:5], v[10:11] op_sel_hi:[0,1]
	v_pk_fma_f32 v[8:9], v[8:9], v[2:3], v[10:11] op_sel_hi:[1,0,1]
	s_nop 0
	v_pk_mul_f32 v[8:9], v[18:19], v[8:9] op_sel_hi:[0,1]
	v_pk_mov_b32 v[10:11], v[8:9], v[8:9] op_sel:[1,0]
	ds_write_b64 v5, v[10:11] offset:32
	s_waitcnt lgkmcnt(0)
	ds_read_b64 v[10:11], v6 offset:32
	ds_read_b64 v[18:19], v14
	s_waitcnt lgkmcnt(0)
	v_pk_fma_f32 v[18:19], v[8:9], v[10:11], v[18:19] op_sel:[1,0,0] op_sel_hi:[0,0,1]
	v_pk_fma_f32 v[8:9], v[8:9], v[10:11], v[18:19] op_sel:[0,1,0] neg_hi:[0,1,0]
	ds_write_b64 v14, v[8:9]
.LBB47_162:
	s_or_b64 exec, exec, s[2:3]
	v_cmp_eq_u32_e32 vcc, 5, v13
	s_waitcnt lgkmcnt(0)
	s_and_saveexec_b64 s[4:5], vcc
	s_cbranch_execz .LBB47_170
; %bb.163:
	s_movk_i32 s2, 0x400
	v_add_u32_e64 v2, s2, 0
	ds_read2_b64 v[8:11], v2 offset0:66 offset1:138
	v_mov_b32_e32 v7, 0
	s_waitcnt lgkmcnt(0)
	v_sub_f32_e32 v2, v8, v10
	v_sub_f32_e32 v8, v9, v11
	v_cmp_gt_f32_e32 vcc, 0, v2
	s_nop 1
	v_cndmask_b32_e64 v2, v2, -v2, vcc
	v_cmp_gt_f32_e32 vcc, 0, v8
	s_nop 1
	v_cndmask_b32_e64 v4, v8, -v8, vcc
	v_cmp_gt_f32_e32 vcc, v2, v4
	s_cbranch_vccnz .LBB47_167
; %bb.164:
	v_cmp_eq_f32_e32 vcc, 0, v8
	s_cbranch_vccnz .LBB47_166
; %bb.165:
	v_div_scale_f32 v7, s[2:3], v4, v4, v2
	v_rcp_f32_e32 v8, v7
	v_div_scale_f32 v9, vcc, v2, v4, v2
	s_mov_b32 s2, 0xf800000
	v_fma_f32 v10, -v7, v8, 1.0
	v_fmac_f32_e32 v8, v10, v8
	v_mul_f32_e32 v10, v9, v8
	v_fma_f32 v11, -v7, v10, v9
	v_fmac_f32_e32 v10, v11, v8
	v_fma_f32 v7, -v7, v10, v9
	v_div_fmas_f32 v7, v7, v8, v10
	v_div_fixup_f32 v7, v7, v4, v2
	v_fma_f32 v7, v7, v7, 1.0
	v_mul_f32_e32 v8, 0x4f800000, v7
	v_cmp_gt_f32_e32 vcc, s2, v7
	s_nop 1
	v_cndmask_b32_e32 v7, v7, v8, vcc
	v_sqrt_f32_e32 v8, v7
	s_nop 0
	v_add_u32_e32 v9, -1, v8
	v_fma_f32 v10, -v9, v8, v7
	v_cmp_ge_f32_e64 s[2:3], 0, v10
	v_add_u32_e32 v10, 1, v8
	s_nop 0
	v_cndmask_b32_e64 v9, v8, v9, s[2:3]
	v_fma_f32 v8, -v10, v8, v7
	v_cmp_lt_f32_e64 s[2:3], 0, v8
	s_nop 1
	v_cndmask_b32_e64 v8, v9, v10, s[2:3]
	v_mul_f32_e32 v9, 0x37800000, v8
	v_cndmask_b32_e32 v8, v8, v9, vcc
	v_mov_b32_e32 v9, 0x260
	v_cmp_class_f32_e32 vcc, v7, v9
	s_nop 1
	v_cndmask_b32_e32 v7, v8, v7, vcc
	v_mul_f32_e32 v7, v4, v7
.LBB47_166:
	s_cbranch_execz .LBB47_168
	s_branch .LBB47_169
.LBB47_167:
                                        ; implicit-def: $vgpr7
.LBB47_168:
	v_div_scale_f32 v7, s[2:3], v2, v2, v4
	v_rcp_f32_e32 v8, v7
	v_div_scale_f32 v9, vcc, v4, v2, v4
	s_mov_b32 s2, 0xf800000
	v_fma_f32 v10, -v7, v8, 1.0
	v_fmac_f32_e32 v8, v10, v8
	v_mul_f32_e32 v10, v9, v8
	v_fma_f32 v11, -v7, v10, v9
	v_fmac_f32_e32 v10, v11, v8
	v_fma_f32 v7, -v7, v10, v9
	v_div_fmas_f32 v7, v7, v8, v10
	v_div_fixup_f32 v4, v7, v2, v4
	v_fma_f32 v4, v4, v4, 1.0
	v_mul_f32_e32 v7, 0x4f800000, v4
	v_cmp_gt_f32_e32 vcc, s2, v4
	s_nop 1
	v_cndmask_b32_e32 v4, v4, v7, vcc
	v_sqrt_f32_e32 v7, v4
	s_nop 0
	v_add_u32_e32 v8, -1, v7
	v_fma_f32 v9, -v8, v7, v4
	v_cmp_ge_f32_e64 s[2:3], 0, v9
	v_add_u32_e32 v9, 1, v7
	s_nop 0
	v_cndmask_b32_e64 v8, v7, v8, s[2:3]
	v_fma_f32 v7, -v9, v7, v4
	v_cmp_lt_f32_e64 s[2:3], 0, v7
	s_nop 1
	v_cndmask_b32_e64 v7, v8, v9, s[2:3]
	v_mul_f32_e32 v8, 0x37800000, v7
	v_cndmask_b32_e32 v7, v7, v8, vcc
	v_mov_b32_e32 v8, 0x260
	v_cmp_class_f32_e32 vcc, v4, v8
	s_nop 1
	v_cndmask_b32_e32 v4, v7, v4, vcc
	v_mul_f32_e32 v7, v2, v4
.LBB47_169:
	s_mov_b32 s2, 0xf800000
	v_mul_f32_e32 v2, 0x4f800000, v7
	v_cmp_gt_f32_e32 vcc, s2, v7
	v_mov_b32_e32 v9, 0
	s_nop 0
	v_cndmask_b32_e32 v2, v7, v2, vcc
	v_sqrt_f32_e32 v4, v2
	s_nop 0
	v_add_u32_e32 v7, -1, v4
	v_fma_f32 v8, -v7, v4, v2
	v_cmp_ge_f32_e64 s[2:3], 0, v8
	v_add_u32_e32 v8, 1, v4
	s_nop 0
	v_cndmask_b32_e64 v7, v4, v7, s[2:3]
	v_fma_f32 v4, -v8, v4, v2
	v_cmp_lt_f32_e64 s[2:3], 0, v4
	s_nop 1
	v_cndmask_b32_e64 v4, v7, v8, s[2:3]
	v_mul_f32_e32 v7, 0x37800000, v4
	v_cndmask_b32_e32 v4, v4, v7, vcc
	v_mov_b32_e32 v7, 0x260
	v_cmp_class_f32_e32 vcc, v2, v7
	s_nop 1
	v_cndmask_b32_e32 v8, v4, v2, vcc
	ds_write_b64 v9, v[8:9] offset:1552
.LBB47_170:
	s_or_b64 exec, exec, s[4:5]
	v_mov_b32_e32 v2, 0
	s_waitcnt lgkmcnt(0)
	ds_read_b64 v[8:9], v2 offset:1552
	s_waitcnt lgkmcnt(0)
	v_cmp_neq_f32_e32 vcc, 0, v8
	v_cmp_neq_f32_e64 s[2:3], 0, v9
	s_or_b64 vcc, vcc, s[2:3]
	v_cndmask_b32_e32 v2, 1.0, v8, vcc
	s_nor_b64 s[4:5], vcc, s[0:1]
	v_cndmask_b32_e32 v4, 0, v9, vcc
	s_and_saveexec_b64 s[2:3], s[4:5]
	s_cbranch_execz .LBB47_174
; %bb.171:
	v_mbcnt_lo_u32_b32 v2, exec_lo, 0
	v_mbcnt_hi_u32_b32 v2, exec_hi, v2
	v_cmp_eq_u32_e32 vcc, 0, v2
	s_and_saveexec_b64 s[4:5], vcc
	s_cbranch_execz .LBB47_173
; %bb.172:
	v_mov_b32_e32 v2, 0
	v_mov_b32_e32 v4, s14
	global_atomic_smin v2, v4, s[10:11]
.LBB47_173:
	s_or_b64 exec, exec, s[4:5]
	v_mov_b32_e32 v4, 0
	v_mov_b32_e32 v2, 1.0
.LBB47_174:
	s_or_b64 exec, exec, s[2:3]
	v_cmp_lt_u32_e32 vcc, 5, v13
	s_and_saveexec_b64 s[2:3], vcc
	s_cbranch_execz .LBB47_176
; %bb.175:
	v_mul_f32_e32 v7, v4, v4
	v_fmac_f32_e32 v7, v2, v2
	v_div_scale_f32 v17, s[4:5], v7, v7, 1.0
	v_rcp_f32_e32 v18, v17
	v_div_scale_f32 v19, vcc, 1.0, v7, 1.0
	v_fma_f32 v8, -v17, v18, 1.0
	v_fmac_f32_e32 v18, v8, v18
	v_mul_f32_e32 v20, v19, v18
	v_fma_f32 v8, -v17, v20, v19
	v_fmac_f32_e32 v20, v8, v18
	ds_read_b64 v[8:9], v5 offset:40
	ds_read_b64 v[10:11], v15 offset:40
	v_fma_f32 v17, -v17, v20, v19
	v_div_fmas_f32 v17, v17, v18, v20
	v_div_fixup_f32 v18, v17, v7, 1.0
	s_waitcnt lgkmcnt(0)
	v_pk_add_f32 v[8:9], v[8:9], v[10:11] op_sel:[1,1] op_sel_hi:[0,0] neg_lo:[0,1] neg_hi:[0,1]
	v_xor_b32_e32 v10, 0x80000000, v9
	v_mov_b32_e32 v11, v8
	v_pk_mul_f32 v[10:11], v[4:5], v[10:11] op_sel_hi:[0,1]
	v_pk_fma_f32 v[8:9], v[8:9], v[2:3], v[10:11] op_sel_hi:[1,0,1]
	s_nop 0
	v_pk_mul_f32 v[8:9], v[18:19], v[8:9] op_sel_hi:[0,1]
	v_pk_mov_b32 v[10:11], v[8:9], v[8:9] op_sel:[1,0]
	ds_write_b64 v5, v[10:11] offset:40
	s_waitcnt lgkmcnt(0)
	ds_read_b64 v[10:11], v6 offset:40
	ds_read_b64 v[18:19], v14
	s_waitcnt lgkmcnt(0)
	v_pk_fma_f32 v[18:19], v[8:9], v[10:11], v[18:19] op_sel:[1,0,0] op_sel_hi:[0,0,1]
	v_pk_fma_f32 v[8:9], v[8:9], v[10:11], v[18:19] op_sel:[0,1,0] neg_hi:[0,1,0]
	ds_write_b64 v14, v[8:9]
.LBB47_176:
	s_or_b64 exec, exec, s[2:3]
	v_cmp_eq_u32_e32 vcc, 6, v13
	s_waitcnt lgkmcnt(0)
	s_and_saveexec_b64 s[4:5], vcc
	s_cbranch_execz .LBB47_184
; %bb.177:
	s_movk_i32 s2, 0x400
	v_add_u32_e64 v2, s2, 0
	ds_read2_b64 v[8:11], v2 offset0:76 offset1:148
	v_mov_b32_e32 v7, 0
	s_waitcnt lgkmcnt(0)
	v_sub_f32_e32 v2, v8, v10
	v_sub_f32_e32 v8, v9, v11
	v_cmp_gt_f32_e32 vcc, 0, v2
	s_nop 1
	v_cndmask_b32_e64 v2, v2, -v2, vcc
	v_cmp_gt_f32_e32 vcc, 0, v8
	s_nop 1
	v_cndmask_b32_e64 v4, v8, -v8, vcc
	v_cmp_gt_f32_e32 vcc, v2, v4
	s_cbranch_vccnz .LBB47_181
; %bb.178:
	v_cmp_eq_f32_e32 vcc, 0, v8
	s_cbranch_vccnz .LBB47_180
; %bb.179:
	v_div_scale_f32 v7, s[2:3], v4, v4, v2
	v_rcp_f32_e32 v8, v7
	v_div_scale_f32 v9, vcc, v2, v4, v2
	s_mov_b32 s2, 0xf800000
	v_fma_f32 v10, -v7, v8, 1.0
	v_fmac_f32_e32 v8, v10, v8
	v_mul_f32_e32 v10, v9, v8
	v_fma_f32 v11, -v7, v10, v9
	v_fmac_f32_e32 v10, v11, v8
	v_fma_f32 v7, -v7, v10, v9
	v_div_fmas_f32 v7, v7, v8, v10
	v_div_fixup_f32 v7, v7, v4, v2
	v_fma_f32 v7, v7, v7, 1.0
	v_mul_f32_e32 v8, 0x4f800000, v7
	v_cmp_gt_f32_e32 vcc, s2, v7
	s_nop 1
	v_cndmask_b32_e32 v7, v7, v8, vcc
	v_sqrt_f32_e32 v8, v7
	s_nop 0
	v_add_u32_e32 v9, -1, v8
	v_fma_f32 v10, -v9, v8, v7
	v_cmp_ge_f32_e64 s[2:3], 0, v10
	v_add_u32_e32 v10, 1, v8
	s_nop 0
	v_cndmask_b32_e64 v9, v8, v9, s[2:3]
	v_fma_f32 v8, -v10, v8, v7
	v_cmp_lt_f32_e64 s[2:3], 0, v8
	s_nop 1
	v_cndmask_b32_e64 v8, v9, v10, s[2:3]
	v_mul_f32_e32 v9, 0x37800000, v8
	v_cndmask_b32_e32 v8, v8, v9, vcc
	v_mov_b32_e32 v9, 0x260
	v_cmp_class_f32_e32 vcc, v7, v9
	s_nop 1
	v_cndmask_b32_e32 v7, v8, v7, vcc
	v_mul_f32_e32 v7, v4, v7
.LBB47_180:
	s_cbranch_execz .LBB47_182
	s_branch .LBB47_183
.LBB47_181:
                                        ; implicit-def: $vgpr7
.LBB47_182:
	v_div_scale_f32 v7, s[2:3], v2, v2, v4
	v_rcp_f32_e32 v8, v7
	v_div_scale_f32 v9, vcc, v4, v2, v4
	s_mov_b32 s2, 0xf800000
	v_fma_f32 v10, -v7, v8, 1.0
	v_fmac_f32_e32 v8, v10, v8
	v_mul_f32_e32 v10, v9, v8
	v_fma_f32 v11, -v7, v10, v9
	v_fmac_f32_e32 v10, v11, v8
	v_fma_f32 v7, -v7, v10, v9
	v_div_fmas_f32 v7, v7, v8, v10
	v_div_fixup_f32 v4, v7, v2, v4
	v_fma_f32 v4, v4, v4, 1.0
	v_mul_f32_e32 v7, 0x4f800000, v4
	v_cmp_gt_f32_e32 vcc, s2, v4
	s_nop 1
	v_cndmask_b32_e32 v4, v4, v7, vcc
	v_sqrt_f32_e32 v7, v4
	s_nop 0
	v_add_u32_e32 v8, -1, v7
	v_fma_f32 v9, -v8, v7, v4
	v_cmp_ge_f32_e64 s[2:3], 0, v9
	v_add_u32_e32 v9, 1, v7
	s_nop 0
	v_cndmask_b32_e64 v8, v7, v8, s[2:3]
	v_fma_f32 v7, -v9, v7, v4
	v_cmp_lt_f32_e64 s[2:3], 0, v7
	s_nop 1
	v_cndmask_b32_e64 v7, v8, v9, s[2:3]
	v_mul_f32_e32 v8, 0x37800000, v7
	v_cndmask_b32_e32 v7, v7, v8, vcc
	v_mov_b32_e32 v8, 0x260
	v_cmp_class_f32_e32 vcc, v4, v8
	s_nop 1
	v_cndmask_b32_e32 v4, v7, v4, vcc
	v_mul_f32_e32 v7, v2, v4
.LBB47_183:
	s_mov_b32 s2, 0xf800000
	v_mul_f32_e32 v2, 0x4f800000, v7
	v_cmp_gt_f32_e32 vcc, s2, v7
	v_mov_b32_e32 v9, 0
	s_nop 0
	v_cndmask_b32_e32 v2, v7, v2, vcc
	v_sqrt_f32_e32 v4, v2
	s_nop 0
	v_add_u32_e32 v7, -1, v4
	v_fma_f32 v8, -v7, v4, v2
	v_cmp_ge_f32_e64 s[2:3], 0, v8
	v_add_u32_e32 v8, 1, v4
	s_nop 0
	v_cndmask_b32_e64 v7, v4, v7, s[2:3]
	v_fma_f32 v4, -v8, v4, v2
	v_cmp_lt_f32_e64 s[2:3], 0, v4
	s_nop 1
	v_cndmask_b32_e64 v4, v7, v8, s[2:3]
	v_mul_f32_e32 v7, 0x37800000, v4
	v_cndmask_b32_e32 v4, v4, v7, vcc
	v_mov_b32_e32 v7, 0x260
	v_cmp_class_f32_e32 vcc, v2, v7
	s_nop 1
	v_cndmask_b32_e32 v8, v4, v2, vcc
	ds_write_b64 v9, v[8:9] offset:1632
.LBB47_184:
	s_or_b64 exec, exec, s[4:5]
	v_mov_b32_e32 v2, 0
	s_waitcnt lgkmcnt(0)
	ds_read_b64 v[8:9], v2 offset:1632
	s_waitcnt lgkmcnt(0)
	v_cmp_neq_f32_e32 vcc, 0, v8
	v_cmp_neq_f32_e64 s[2:3], 0, v9
	s_or_b64 vcc, vcc, s[2:3]
	v_cndmask_b32_e32 v2, 1.0, v8, vcc
	s_nor_b64 s[4:5], vcc, s[0:1]
	v_cndmask_b32_e32 v4, 0, v9, vcc
	s_and_saveexec_b64 s[2:3], s[4:5]
	s_cbranch_execz .LBB47_188
; %bb.185:
	v_mbcnt_lo_u32_b32 v2, exec_lo, 0
	v_mbcnt_hi_u32_b32 v2, exec_hi, v2
	v_cmp_eq_u32_e32 vcc, 0, v2
	s_and_saveexec_b64 s[4:5], vcc
	s_cbranch_execz .LBB47_187
; %bb.186:
	v_mov_b32_e32 v2, 0
	v_mov_b32_e32 v4, s14
	global_atomic_smin v2, v4, s[10:11]
.LBB47_187:
	s_or_b64 exec, exec, s[4:5]
	v_mov_b32_e32 v4, 0
	v_mov_b32_e32 v2, 1.0
.LBB47_188:
	s_or_b64 exec, exec, s[2:3]
	v_cmp_lt_u32_e32 vcc, 6, v13
	s_and_saveexec_b64 s[2:3], vcc
	s_cbranch_execz .LBB47_190
; %bb.189:
	v_mul_f32_e32 v7, v4, v4
	v_fmac_f32_e32 v7, v2, v2
	v_div_scale_f32 v17, s[4:5], v7, v7, 1.0
	v_rcp_f32_e32 v18, v17
	v_div_scale_f32 v19, vcc, 1.0, v7, 1.0
	v_fma_f32 v8, -v17, v18, 1.0
	v_fmac_f32_e32 v18, v8, v18
	v_mul_f32_e32 v20, v19, v18
	v_fma_f32 v8, -v17, v20, v19
	v_fmac_f32_e32 v20, v8, v18
	ds_read_b64 v[8:9], v5 offset:48
	ds_read_b64 v[10:11], v15 offset:48
	v_fma_f32 v17, -v17, v20, v19
	v_div_fmas_f32 v17, v17, v18, v20
	v_div_fixup_f32 v18, v17, v7, 1.0
	s_waitcnt lgkmcnt(0)
	v_pk_add_f32 v[8:9], v[8:9], v[10:11] op_sel:[1,1] op_sel_hi:[0,0] neg_lo:[0,1] neg_hi:[0,1]
	v_xor_b32_e32 v10, 0x80000000, v9
	v_mov_b32_e32 v11, v8
	v_pk_mul_f32 v[10:11], v[4:5], v[10:11] op_sel_hi:[0,1]
	v_pk_fma_f32 v[8:9], v[8:9], v[2:3], v[10:11] op_sel_hi:[1,0,1]
	s_nop 0
	v_pk_mul_f32 v[8:9], v[18:19], v[8:9] op_sel_hi:[0,1]
	v_pk_mov_b32 v[10:11], v[8:9], v[8:9] op_sel:[1,0]
	ds_write_b64 v5, v[10:11] offset:48
	s_waitcnt lgkmcnt(0)
	ds_read_b64 v[10:11], v6 offset:48
	ds_read_b64 v[18:19], v14
	s_waitcnt lgkmcnt(0)
	v_pk_fma_f32 v[18:19], v[8:9], v[10:11], v[18:19] op_sel:[1,0,0] op_sel_hi:[0,0,1]
	v_pk_fma_f32 v[8:9], v[8:9], v[10:11], v[18:19] op_sel:[0,1,0] neg_hi:[0,1,0]
	ds_write_b64 v14, v[8:9]
.LBB47_190:
	s_or_b64 exec, exec, s[2:3]
	v_cmp_eq_u32_e32 vcc, 7, v13
	s_waitcnt lgkmcnt(0)
	s_and_saveexec_b64 s[4:5], vcc
	s_cbranch_execz .LBB47_198
; %bb.191:
	s_movk_i32 s2, 0x400
	v_add_u32_e64 v2, s2, 0
	ds_read2_b64 v[8:11], v2 offset0:86 offset1:158
	v_mov_b32_e32 v7, 0
	s_waitcnt lgkmcnt(0)
	v_sub_f32_e32 v2, v8, v10
	v_sub_f32_e32 v8, v9, v11
	v_cmp_gt_f32_e32 vcc, 0, v2
	s_nop 1
	v_cndmask_b32_e64 v2, v2, -v2, vcc
	v_cmp_gt_f32_e32 vcc, 0, v8
	s_nop 1
	v_cndmask_b32_e64 v4, v8, -v8, vcc
	v_cmp_gt_f32_e32 vcc, v2, v4
	s_cbranch_vccnz .LBB47_195
; %bb.192:
	v_cmp_eq_f32_e32 vcc, 0, v8
	s_cbranch_vccnz .LBB47_194
; %bb.193:
	v_div_scale_f32 v7, s[2:3], v4, v4, v2
	v_rcp_f32_e32 v8, v7
	v_div_scale_f32 v9, vcc, v2, v4, v2
	s_mov_b32 s2, 0xf800000
	v_fma_f32 v10, -v7, v8, 1.0
	v_fmac_f32_e32 v8, v10, v8
	v_mul_f32_e32 v10, v9, v8
	v_fma_f32 v11, -v7, v10, v9
	v_fmac_f32_e32 v10, v11, v8
	v_fma_f32 v7, -v7, v10, v9
	v_div_fmas_f32 v7, v7, v8, v10
	v_div_fixup_f32 v7, v7, v4, v2
	v_fma_f32 v7, v7, v7, 1.0
	v_mul_f32_e32 v8, 0x4f800000, v7
	v_cmp_gt_f32_e32 vcc, s2, v7
	s_nop 1
	v_cndmask_b32_e32 v7, v7, v8, vcc
	v_sqrt_f32_e32 v8, v7
	s_nop 0
	v_add_u32_e32 v9, -1, v8
	v_fma_f32 v10, -v9, v8, v7
	v_cmp_ge_f32_e64 s[2:3], 0, v10
	v_add_u32_e32 v10, 1, v8
	s_nop 0
	v_cndmask_b32_e64 v9, v8, v9, s[2:3]
	v_fma_f32 v8, -v10, v8, v7
	v_cmp_lt_f32_e64 s[2:3], 0, v8
	s_nop 1
	v_cndmask_b32_e64 v8, v9, v10, s[2:3]
	v_mul_f32_e32 v9, 0x37800000, v8
	v_cndmask_b32_e32 v8, v8, v9, vcc
	v_mov_b32_e32 v9, 0x260
	v_cmp_class_f32_e32 vcc, v7, v9
	s_nop 1
	v_cndmask_b32_e32 v7, v8, v7, vcc
	v_mul_f32_e32 v7, v4, v7
.LBB47_194:
	s_cbranch_execz .LBB47_196
	s_branch .LBB47_197
.LBB47_195:
                                        ; implicit-def: $vgpr7
.LBB47_196:
	v_div_scale_f32 v7, s[2:3], v2, v2, v4
	v_rcp_f32_e32 v8, v7
	v_div_scale_f32 v9, vcc, v4, v2, v4
	s_mov_b32 s2, 0xf800000
	v_fma_f32 v10, -v7, v8, 1.0
	v_fmac_f32_e32 v8, v10, v8
	v_mul_f32_e32 v10, v9, v8
	v_fma_f32 v11, -v7, v10, v9
	v_fmac_f32_e32 v10, v11, v8
	v_fma_f32 v7, -v7, v10, v9
	v_div_fmas_f32 v7, v7, v8, v10
	v_div_fixup_f32 v4, v7, v2, v4
	v_fma_f32 v4, v4, v4, 1.0
	v_mul_f32_e32 v7, 0x4f800000, v4
	v_cmp_gt_f32_e32 vcc, s2, v4
	s_nop 1
	v_cndmask_b32_e32 v4, v4, v7, vcc
	v_sqrt_f32_e32 v7, v4
	s_nop 0
	v_add_u32_e32 v8, -1, v7
	v_fma_f32 v9, -v8, v7, v4
	v_cmp_ge_f32_e64 s[2:3], 0, v9
	v_add_u32_e32 v9, 1, v7
	s_nop 0
	v_cndmask_b32_e64 v8, v7, v8, s[2:3]
	v_fma_f32 v7, -v9, v7, v4
	v_cmp_lt_f32_e64 s[2:3], 0, v7
	s_nop 1
	v_cndmask_b32_e64 v7, v8, v9, s[2:3]
	v_mul_f32_e32 v8, 0x37800000, v7
	v_cndmask_b32_e32 v7, v7, v8, vcc
	v_mov_b32_e32 v8, 0x260
	v_cmp_class_f32_e32 vcc, v4, v8
	s_nop 1
	v_cndmask_b32_e32 v4, v7, v4, vcc
	v_mul_f32_e32 v7, v2, v4
.LBB47_197:
	s_mov_b32 s2, 0xf800000
	v_mul_f32_e32 v2, 0x4f800000, v7
	v_cmp_gt_f32_e32 vcc, s2, v7
	v_mov_b32_e32 v9, 0
	s_nop 0
	v_cndmask_b32_e32 v2, v7, v2, vcc
	v_sqrt_f32_e32 v4, v2
	s_nop 0
	v_add_u32_e32 v7, -1, v4
	v_fma_f32 v8, -v7, v4, v2
	v_cmp_ge_f32_e64 s[2:3], 0, v8
	v_add_u32_e32 v8, 1, v4
	s_nop 0
	v_cndmask_b32_e64 v7, v4, v7, s[2:3]
	v_fma_f32 v4, -v8, v4, v2
	v_cmp_lt_f32_e64 s[2:3], 0, v4
	s_nop 1
	v_cndmask_b32_e64 v4, v7, v8, s[2:3]
	v_mul_f32_e32 v7, 0x37800000, v4
	v_cndmask_b32_e32 v4, v4, v7, vcc
	v_mov_b32_e32 v7, 0x260
	v_cmp_class_f32_e32 vcc, v2, v7
	s_nop 1
	v_cndmask_b32_e32 v8, v4, v2, vcc
	ds_write_b64 v9, v[8:9] offset:1712
.LBB47_198:
	s_or_b64 exec, exec, s[4:5]
	v_mov_b32_e32 v2, 0
	s_waitcnt lgkmcnt(0)
	ds_read_b64 v[8:9], v2 offset:1712
	s_waitcnt lgkmcnt(0)
	v_cmp_neq_f32_e32 vcc, 0, v8
	v_cmp_neq_f32_e64 s[2:3], 0, v9
	s_or_b64 vcc, vcc, s[2:3]
	v_cndmask_b32_e32 v2, 1.0, v8, vcc
	s_nor_b64 s[2:3], vcc, s[0:1]
	v_cndmask_b32_e32 v4, 0, v9, vcc
	s_and_saveexec_b64 s[0:1], s[2:3]
	s_cbranch_execz .LBB47_202
; %bb.199:
	v_mbcnt_lo_u32_b32 v2, exec_lo, 0
	v_mbcnt_hi_u32_b32 v2, exec_hi, v2
	v_cmp_eq_u32_e32 vcc, 0, v2
	s_and_saveexec_b64 s[2:3], vcc
	s_cbranch_execz .LBB47_201
; %bb.200:
	v_mov_b32_e32 v2, 0
	v_mov_b32_e32 v4, s14
	global_atomic_smin v2, v4, s[10:11]
.LBB47_201:
	s_or_b64 exec, exec, s[2:3]
	v_mov_b32_e32 v4, 0
	v_mov_b32_e32 v2, 1.0
.LBB47_202:
	s_or_b64 exec, exec, s[0:1]
	v_cmp_lt_u32_e32 vcc, 7, v13
	s_and_saveexec_b64 s[0:1], vcc
	s_cbranch_execz .LBB47_204
; %bb.203:
	v_mul_f32_e32 v7, v4, v4
	v_fmac_f32_e32 v7, v2, v2
	v_div_scale_f32 v17, s[2:3], v7, v7, 1.0
	v_rcp_f32_e32 v18, v17
	v_div_scale_f32 v19, vcc, 1.0, v7, 1.0
	v_fma_f32 v8, -v17, v18, 1.0
	v_fmac_f32_e32 v18, v8, v18
	v_mul_f32_e32 v20, v19, v18
	v_fma_f32 v8, -v17, v20, v19
	v_fmac_f32_e32 v20, v8, v18
	ds_read_b64 v[8:9], v5 offset:56
	ds_read_b64 v[10:11], v15 offset:56
	v_fma_f32 v15, -v17, v20, v19
	v_div_fmas_f32 v15, v15, v18, v20
	v_div_fixup_f32 v18, v15, v7, 1.0
	s_waitcnt lgkmcnt(0)
	v_pk_add_f32 v[8:9], v[8:9], v[10:11] op_sel:[1,1] op_sel_hi:[0,0] neg_lo:[0,1] neg_hi:[0,1]
	v_xor_b32_e32 v10, 0x80000000, v9
	v_mov_b32_e32 v11, v8
	v_pk_mul_f32 v[10:11], v[4:5], v[10:11] op_sel_hi:[0,1]
	v_pk_fma_f32 v[8:9], v[8:9], v[2:3], v[10:11] op_sel_hi:[1,0,1]
	s_nop 0
	v_pk_mul_f32 v[8:9], v[18:19], v[8:9] op_sel_hi:[0,1]
	v_pk_mov_b32 v[10:11], v[8:9], v[8:9] op_sel:[1,0]
	ds_write_b64 v5, v[10:11] offset:56
	s_waitcnt lgkmcnt(0)
	ds_read_b64 v[4:5], v6 offset:56
	ds_read_b64 v[6:7], v14
	s_waitcnt lgkmcnt(0)
	v_pk_fma_f32 v[6:7], v[8:9], v[4:5], v[6:7] op_sel:[1,0,0] op_sel_hi:[0,0,1]
	v_pk_fma_f32 v[4:5], v[8:9], v[4:5], v[6:7] op_sel:[0,1,0] neg_hi:[0,1,0]
	ds_write_b64 v14, v[4:5]
.LBB47_204:
	s_or_b64 exec, exec, s[0:1]
	s_waitcnt lgkmcnt(0)
	ds_read_b64 v[2:3], v3
	v_cmp_eq_u32_e32 vcc, 0, v16
	s_waitcnt lgkmcnt(0)
	global_store_dwordx2 v[0:1], v[2:3], off
	s_and_saveexec_b64 s[0:1], vcc
	s_cbranch_execz .LBB47_206
; %bb.205:
	s_add_u32 s2, s6, s8
	s_addc_u32 s3, s7, s9
	v_mov_b32_e32 v0, 0
	v_mov_b32_e32 v1, 1
	buffer_wbl2 sc1
	s_waitcnt vmcnt(0)
	global_store_dword v0, v1, s[2:3] sc1
.LBB47_206:
	s_or_b64 exec, exec, s[0:1]
	s_branch .LBB47_17
.LBB47_207:
	v_or_b32_e32 v0, v12, v13
	v_cmp_eq_u32_e32 vcc, 0, v0
	s_and_saveexec_b64 s[0:1], vcc
	s_cbranch_execz .LBB47_17
; %bb.208:
	v_mbcnt_lo_u32_b32 v0, exec_lo, 0
	v_mbcnt_hi_u32_b32 v0, exec_hi, v0
	v_cmp_eq_u32_e32 vcc, 0, v0
	s_and_saveexec_b64 s[0:1], vcc
	s_cbranch_execz .LBB47_210
; %bb.209:
	s_add_i32 s2, s16, s17
	v_mov_b32_e32 v0, 0
	v_mov_b32_e32 v1, s2
	global_atomic_smin v0, v1, s[10:11]
.LBB47_210:
	s_or_b64 exec, exec, s[0:1]
	s_add_u32 s0, s6, s8
	s_addc_u32 s1, s7, s9
	v_mov_b32_e32 v0, 0
	v_mov_b32_e32 v1, 1
	buffer_wbl2 sc1
	s_waitcnt vmcnt(0)
	global_store_dword v0, v1, s[0:1] sc1
	s_endpgm
	.section	.rodata,"a",@progbits
	.p2align	6, 0x0
	.amdhsa_kernel _ZN9rocsparseL26bsric0_2_8_unrolled_kernelILi64ELi32ELi8E21rocsparse_complex_numIfEEEv20rocsparse_direction_iiPKiS5_PT2_S5_PiS5_S8_21rocsparse_index_base_
		.amdhsa_group_segment_fixed_size 2688
		.amdhsa_private_segment_fixed_size 0
		.amdhsa_kernarg_size 76
		.amdhsa_user_sgpr_count 2
		.amdhsa_user_sgpr_dispatch_ptr 0
		.amdhsa_user_sgpr_queue_ptr 0
		.amdhsa_user_sgpr_kernarg_segment_ptr 1
		.amdhsa_user_sgpr_dispatch_id 0
		.amdhsa_user_sgpr_kernarg_preload_length 0
		.amdhsa_user_sgpr_kernarg_preload_offset 0
		.amdhsa_user_sgpr_private_segment_size 0
		.amdhsa_uses_dynamic_stack 0
		.amdhsa_enable_private_segment 0
		.amdhsa_system_sgpr_workgroup_id_x 1
		.amdhsa_system_sgpr_workgroup_id_y 0
		.amdhsa_system_sgpr_workgroup_id_z 0
		.amdhsa_system_sgpr_workgroup_info 0
		.amdhsa_system_vgpr_workitem_id 1
		.amdhsa_next_free_vgpr 80
		.amdhsa_next_free_sgpr 40
		.amdhsa_accum_offset 80
		.amdhsa_reserve_vcc 1
		.amdhsa_float_round_mode_32 0
		.amdhsa_float_round_mode_16_64 0
		.amdhsa_float_denorm_mode_32 3
		.amdhsa_float_denorm_mode_16_64 3
		.amdhsa_dx10_clamp 1
		.amdhsa_ieee_mode 1
		.amdhsa_fp16_overflow 0
		.amdhsa_tg_split 0
		.amdhsa_exception_fp_ieee_invalid_op 0
		.amdhsa_exception_fp_denorm_src 0
		.amdhsa_exception_fp_ieee_div_zero 0
		.amdhsa_exception_fp_ieee_overflow 0
		.amdhsa_exception_fp_ieee_underflow 0
		.amdhsa_exception_fp_ieee_inexact 0
		.amdhsa_exception_int_div_zero 0
	.end_amdhsa_kernel
	.section	.text._ZN9rocsparseL26bsric0_2_8_unrolled_kernelILi64ELi32ELi8E21rocsparse_complex_numIfEEEv20rocsparse_direction_iiPKiS5_PT2_S5_PiS5_S8_21rocsparse_index_base_,"axG",@progbits,_ZN9rocsparseL26bsric0_2_8_unrolled_kernelILi64ELi32ELi8E21rocsparse_complex_numIfEEEv20rocsparse_direction_iiPKiS5_PT2_S5_PiS5_S8_21rocsparse_index_base_,comdat
.Lfunc_end47:
	.size	_ZN9rocsparseL26bsric0_2_8_unrolled_kernelILi64ELi32ELi8E21rocsparse_complex_numIfEEEv20rocsparse_direction_iiPKiS5_PT2_S5_PiS5_S8_21rocsparse_index_base_, .Lfunc_end47-_ZN9rocsparseL26bsric0_2_8_unrolled_kernelILi64ELi32ELi8E21rocsparse_complex_numIfEEEv20rocsparse_direction_iiPKiS5_PT2_S5_PiS5_S8_21rocsparse_index_base_
                                        ; -- End function
	.set _ZN9rocsparseL26bsric0_2_8_unrolled_kernelILi64ELi32ELi8E21rocsparse_complex_numIfEEEv20rocsparse_direction_iiPKiS5_PT2_S5_PiS5_S8_21rocsparse_index_base_.num_vgpr, 80
	.set _ZN9rocsparseL26bsric0_2_8_unrolled_kernelILi64ELi32ELi8E21rocsparse_complex_numIfEEEv20rocsparse_direction_iiPKiS5_PT2_S5_PiS5_S8_21rocsparse_index_base_.num_agpr, 0
	.set _ZN9rocsparseL26bsric0_2_8_unrolled_kernelILi64ELi32ELi8E21rocsparse_complex_numIfEEEv20rocsparse_direction_iiPKiS5_PT2_S5_PiS5_S8_21rocsparse_index_base_.numbered_sgpr, 40
	.set _ZN9rocsparseL26bsric0_2_8_unrolled_kernelILi64ELi32ELi8E21rocsparse_complex_numIfEEEv20rocsparse_direction_iiPKiS5_PT2_S5_PiS5_S8_21rocsparse_index_base_.num_named_barrier, 0
	.set _ZN9rocsparseL26bsric0_2_8_unrolled_kernelILi64ELi32ELi8E21rocsparse_complex_numIfEEEv20rocsparse_direction_iiPKiS5_PT2_S5_PiS5_S8_21rocsparse_index_base_.private_seg_size, 0
	.set _ZN9rocsparseL26bsric0_2_8_unrolled_kernelILi64ELi32ELi8E21rocsparse_complex_numIfEEEv20rocsparse_direction_iiPKiS5_PT2_S5_PiS5_S8_21rocsparse_index_base_.uses_vcc, 1
	.set _ZN9rocsparseL26bsric0_2_8_unrolled_kernelILi64ELi32ELi8E21rocsparse_complex_numIfEEEv20rocsparse_direction_iiPKiS5_PT2_S5_PiS5_S8_21rocsparse_index_base_.uses_flat_scratch, 0
	.set _ZN9rocsparseL26bsric0_2_8_unrolled_kernelILi64ELi32ELi8E21rocsparse_complex_numIfEEEv20rocsparse_direction_iiPKiS5_PT2_S5_PiS5_S8_21rocsparse_index_base_.has_dyn_sized_stack, 0
	.set _ZN9rocsparseL26bsric0_2_8_unrolled_kernelILi64ELi32ELi8E21rocsparse_complex_numIfEEEv20rocsparse_direction_iiPKiS5_PT2_S5_PiS5_S8_21rocsparse_index_base_.has_recursion, 0
	.set _ZN9rocsparseL26bsric0_2_8_unrolled_kernelILi64ELi32ELi8E21rocsparse_complex_numIfEEEv20rocsparse_direction_iiPKiS5_PT2_S5_PiS5_S8_21rocsparse_index_base_.has_indirect_call, 0
	.section	.AMDGPU.csdata,"",@progbits
; Kernel info:
; codeLenInByte = 14708
; TotalNumSgprs: 46
; NumVgprs: 80
; NumAgprs: 0
; TotalNumVgprs: 80
; ScratchSize: 0
; MemoryBound: 0
; FloatMode: 240
; IeeeMode: 1
; LDSByteSize: 2688 bytes/workgroup (compile time only)
; SGPRBlocks: 5
; VGPRBlocks: 9
; NumSGPRsForWavesPerEU: 46
; NumVGPRsForWavesPerEU: 80
; AccumOffset: 80
; Occupancy: 6
; WaveLimiterHint : 1
; COMPUTE_PGM_RSRC2:SCRATCH_EN: 0
; COMPUTE_PGM_RSRC2:USER_SGPR: 2
; COMPUTE_PGM_RSRC2:TRAP_HANDLER: 0
; COMPUTE_PGM_RSRC2:TGID_X_EN: 1
; COMPUTE_PGM_RSRC2:TGID_Y_EN: 0
; COMPUTE_PGM_RSRC2:TGID_Z_EN: 0
; COMPUTE_PGM_RSRC2:TIDIG_COMP_CNT: 1
; COMPUTE_PGM_RSRC3_GFX90A:ACCUM_OFFSET: 19
; COMPUTE_PGM_RSRC3_GFX90A:TG_SPLIT: 0
	.section	.text._ZN9rocsparseL18bsric0_9_16_kernelILi64ELi32ELi16E21rocsparse_complex_numIfEEEv20rocsparse_direction_iiPKiS5_PT2_S5_PiS5_S8_21rocsparse_index_base_,"axG",@progbits,_ZN9rocsparseL18bsric0_9_16_kernelILi64ELi32ELi16E21rocsparse_complex_numIfEEEv20rocsparse_direction_iiPKiS5_PT2_S5_PiS5_S8_21rocsparse_index_base_,comdat
	.globl	_ZN9rocsparseL18bsric0_9_16_kernelILi64ELi32ELi16E21rocsparse_complex_numIfEEEv20rocsparse_direction_iiPKiS5_PT2_S5_PiS5_S8_21rocsparse_index_base_ ; -- Begin function _ZN9rocsparseL18bsric0_9_16_kernelILi64ELi32ELi16E21rocsparse_complex_numIfEEEv20rocsparse_direction_iiPKiS5_PT2_S5_PiS5_S8_21rocsparse_index_base_
	.p2align	8
	.type	_ZN9rocsparseL18bsric0_9_16_kernelILi64ELi32ELi16E21rocsparse_complex_numIfEEEv20rocsparse_direction_iiPKiS5_PT2_S5_PiS5_S8_21rocsparse_index_base_,@function
_ZN9rocsparseL18bsric0_9_16_kernelILi64ELi32ELi16E21rocsparse_complex_numIfEEEv20rocsparse_direction_iiPKiS5_PT2_S5_PiS5_S8_21rocsparse_index_base_: ; @_ZN9rocsparseL18bsric0_9_16_kernelILi64ELi32ELi16E21rocsparse_complex_numIfEEEv20rocsparse_direction_iiPKiS5_PT2_S5_PiS5_S8_21rocsparse_index_base_
; %bb.0:
	s_load_dwordx8 s[12:19], s[0:1], 0x28
	s_mov_b32 s3, 0
	s_lshl_b64 s[2:3], s[2:3], 2
	v_and_b32_e32 v1, 0x3ff, v0
	v_bfe_u32 v0, v0, 10, 10
	s_waitcnt lgkmcnt(0)
	s_add_u32 s2, s16, s2
	s_addc_u32 s3, s17, s3
	s_load_dword s24, s[2:3], 0x0
	s_waitcnt lgkmcnt(0)
	s_ashr_i32 s25, s24, 31
	s_lshl_b64 s[16:17], s[24:25], 2
	s_add_u32 s2, s12, s16
	s_addc_u32 s3, s13, s17
	s_load_dword s33, s[2:3], 0x0
	s_load_dword s25, s[0:1], 0x48
	s_waitcnt lgkmcnt(0)
	s_cmp_lg_u32 s33, -1
	s_cbranch_scc0 .LBB48_148
; %bb.1:
	s_load_dwordx4 s[20:23], s[0:1], 0x10
	s_load_dwordx2 s[26:27], s[0:1], 0x20
	v_lshlrev_b32_e32 v2, 2, v0
	s_waitcnt lgkmcnt(0)
	s_add_u32 s2, s20, s16
	s_addc_u32 s3, s21, s17
	s_load_dword s2, s[2:3], 0x0
	s_waitcnt lgkmcnt(0)
	s_sub_i32 s50, s2, s25
	v_add3_u32 v2, v2, v1, s50
	v_cmp_ge_i32_e32 vcc, s33, v2
	s_and_saveexec_b64 s[2:3], vcc
	s_cbranch_execz .LBB48_4
; %bb.2:
	v_lshlrev_b32_e32 v3, 4, v0
	v_lshlrev_b32_e32 v4, 2, v1
	s_movk_i32 s4, 0x2300
	v_add3_u32 v4, v3, v4, s4
	s_mov_b64 s[4:5], 0
.LBB48_3:                               ; =>This Inner Loop Header: Depth=1
	v_ashrrev_i32_e32 v3, 31, v2
	v_lshl_add_u64 v[6:7], v[2:3], 2, s[22:23]
	global_load_dword v3, v[6:7], off
	v_add_u32_e32 v2, 64, v2
	v_cmp_lt_i32_e32 vcc, s33, v2
	s_or_b64 s[4:5], vcc, s[4:5]
	s_waitcnt vmcnt(0)
	v_subrev_u32_e32 v3, s25, v3
	ds_write_b32 v4, v3
	v_add_u32_e32 v4, 0x100, v4
	s_andn2_b64 exec, exec, s[4:5]
	s_cbranch_execnz .LBB48_3
.LBB48_4:
	s_or_b64 exec, exec, s[2:3]
	v_cmp_gt_u32_e32 vcc, 16, v1
	v_lshlrev_b32_e32 v16, 3, v1
	s_and_saveexec_b64 s[2:3], vcc
	s_cbranch_execz .LBB48_7
; %bb.5:
	v_mul_u32_u24_e32 v3, 0x88, v0
	v_lshlrev_b32_e32 v4, 3, v1
	s_movk_i32 s4, 0x1980
	v_add3_u32 v3, v3, v4, s4
	v_mov_b32_e32 v4, 0
	v_add_u32_e32 v2, -4, v1
	s_mov_b64 s[4:5], 0
	v_mov_b32_e32 v5, v4
.LBB48_6:                               ; =>This Inner Loop Header: Depth=1
	v_add_u32_e32 v2, 4, v2
	v_cmp_lt_u32_e32 vcc, 11, v2
	ds_write_b64 v3, v[4:5]
	s_or_b64 s[4:5], vcc, s[4:5]
	v_add_u32_e32 v3, 32, v3
	s_andn2_b64 exec, exec, s[4:5]
	s_cbranch_execnz .LBB48_6
.LBB48_7:
	s_or_b64 exec, exec, s[2:3]
	s_load_dword s48, s[0:1], 0x8
	s_load_dword s49, s[0:1], 0x0
	s_cmp_ge_i32 s50, s33
	s_waitcnt lgkmcnt(0)
	v_cmp_gt_i32_e64 s[0:1], s48, v1
	v_xad_u32 v17, v1, -1, s48
	s_cbranch_scc1 .LBB48_96
; %bb.8:
	s_movk_i32 s51, 0x88
	v_mov_b32_e32 v3, 0x880
	v_mad_u32_u24 v19, v0, s51, v3
	v_or_b32_e32 v3, v1, v0
	v_cmp_ne_u32_e64 s[4:5], 0, v3
	v_lshrrev_b32_e32 v3, 2, v17
	v_mov_b32_e32 v2, 0x1100
	v_add_u32_e32 v3, 1, v3
	s_cmp_lg_u32 s49, 0
	v_mad_u32_u24 v18, v0, s51, v2
	v_and_b32_e32 v21, 0x7ffffffe, v3
	v_lshlrev_b32_e32 v23, 3, v1
	s_mul_i32 s10, s48, s50
	v_mad_u32_u24 v29, v1, s51, v2
	v_mov_b32_e32 v2, 0x1980
	s_cselect_b64 s[28:29], -1, 0
	s_cmp_gt_i32 s48, 0
	v_cmp_ne_u32_e64 s[8:9], v3, v21
	v_mad_u32_u24 v24, v0, s51, v23
	v_add_u32_e32 v3, s10, v0
	v_mad_u32_u24 v31, v0, s51, v2
	v_mov_b32_e32 v2, 0
	v_cmp_gt_i32_e64 s[2:3], s48, v0
	s_mul_i32 s52, s48, s48
	v_mul_lo_u32 v20, s48, v0
	s_cselect_b64 s[30:31], -1, 0
	v_cmp_lt_u32_e64 s[6:7], 3, v17
	v_lshl_add_u32 v22, v21, 2, v1
	v_add_u32_e32 v25, 0x880, v24
	v_mul_lo_u32 v27, s48, v3
	v_mul_lo_u32 v26, v1, s48
	s_lshl_b32 s53, s48, 2
	v_mul_u32_u24_e32 v28, 0x88, v1
	v_add_u32_e32 v30, 0x1980, v24
	v_add_u32_e32 v32, 0x1100, v24
	v_mov_b32_e32 v4, 0
	v_mov_b32_e32 v5, v2
	s_mov_b32 s34, s50
	s_branch .LBB48_10
.LBB48_9:                               ;   in Loop: Header=BB48_10 Depth=1
	s_or_b64 exec, exec, s[10:11]
	s_add_i32 s34, s34, 1
	s_cmp_ge_i32 s34, s33
	buffer_wbl2 sc1
	s_waitcnt vmcnt(0)
	buffer_inv sc1
	v_add_u32_e32 v27, s52, v27
	s_cselect_b64 s[10:11], -1, 0
	s_and_b64 vcc, exec, s[10:11]
	s_cbranch_vccnz .LBB48_96
.LBB48_10:                              ; =>This Loop Header: Depth=1
                                        ;     Child Loop BB48_14 Depth 2
                                        ;     Child Loop BB48_26 Depth 2
	;; [unrolled: 1-line block ×5, first 2 shown]
                                        ;       Child Loop BB48_56 Depth 3
                                        ;     Child Loop BB48_70 Depth 2
                                        ;       Child Loop BB48_75 Depth 3
                                        ;       Child Loop BB48_79 Depth 3
	;; [unrolled: 1-line block ×3, first 2 shown]
                                        ;     Child Loop BB48_91 Depth 2
	s_ashr_i32 s35, s34, 31
	s_lshl_b64 s[10:11], s[34:35], 2
	s_add_u32 s10, s22, s10
	s_addc_u32 s11, s23, s11
	s_load_dword s54, s[10:11], 0x0
	s_waitcnt lgkmcnt(0)
	s_sub_i32 s36, s54, s25
	s_ashr_i32 s37, s36, 31
	s_lshl_b64 s[10:11], s[36:37], 2
	s_add_u32 s38, s12, s10
	s_addc_u32 s39, s13, s11
	s_load_dword s37, s[38:39], 0x0
	s_waitcnt lgkmcnt(0)
	s_cmp_eq_u32 s37, -1
	s_cbranch_scc1 .LBB48_95
; %bb.11:                               ;   in Loop: Header=BB48_10 Depth=1
	s_add_u32 s38, s20, s10
	s_addc_u32 s39, s21, s11
	s_load_dword s55, s[38:39], 0x0
	s_mul_i32 s35, s34, s48
	s_and_saveexec_b64 s[38:39], s[0:1]
	s_cbranch_execz .LBB48_24
; %bb.12:                               ;   in Loop: Header=BB48_10 Depth=1
	s_mov_b64 s[40:41], 0
	v_mov_b32_e32 v3, v25
	v_mov_b32_e32 v8, v1
	s_branch .LBB48_14
.LBB48_13:                              ;   in Loop: Header=BB48_14 Depth=2
	s_or_b64 exec, exec, s[44:45]
	v_add_u32_e32 v8, 4, v8
	v_cmp_le_i32_e32 vcc, s48, v8
	s_waitcnt vmcnt(0)
	ds_write_b64 v3, v[10:11] offset:2176
	ds_write_b64 v3, v[4:5]
	s_or_b64 s[40:41], vcc, s[40:41]
	v_add_u32_e32 v3, 32, v3
	s_andn2_b64 exec, exec, s[40:41]
	s_cbranch_execz .LBB48_24
.LBB48_14:                              ;   Parent Loop BB48_10 Depth=1
                                        ; =>  This Inner Loop Header: Depth=2
	s_and_b64 vcc, exec, s[28:29]
	s_cbranch_vccz .LBB48_21
; %bb.15:                               ;   in Loop: Header=BB48_14 Depth=2
	s_mov_b64 s[44:45], 0
	s_mov_b64 s[42:43], 0
                                        ; implicit-def: $vgpr6
	s_and_saveexec_b64 s[46:47], s[2:3]
	s_xor_b64 s[46:47], exec, s[46:47]
; %bb.16:                               ;   in Loop: Header=BB48_14 Depth=2
	v_add_u32_e32 v6, s35, v8
	s_mov_b64 s[42:43], exec
	v_mad_u64_u32 v[6:7], s[56:57], v6, s48, v[0:1]
; %bb.17:                               ;   in Loop: Header=BB48_14 Depth=2
	s_or_b64 exec, exec, s[46:47]
	s_and_b64 vcc, exec, s[44:45]
	s_cbranch_vccz .LBB48_22
.LBB48_18:                              ;   in Loop: Header=BB48_14 Depth=2
                                        ; implicit-def: $vgpr6
	s_and_saveexec_b64 s[44:45], s[2:3]
; %bb.19:                               ;   in Loop: Header=BB48_14 Depth=2
	v_add_u32_e32 v6, v27, v8
	s_or_b64 s[42:43], s[42:43], exec
; %bb.20:                               ;   in Loop: Header=BB48_14 Depth=2
	s_or_b64 exec, exec, s[44:45]
	v_mov_b32_e32 v10, 0
	v_mov_b32_e32 v11, 0
	s_and_saveexec_b64 s[44:45], s[42:43]
	s_cbranch_execz .LBB48_13
	s_branch .LBB48_23
.LBB48_21:                              ;   in Loop: Header=BB48_14 Depth=2
	s_mov_b64 s[42:43], 0
                                        ; implicit-def: $vgpr6
	s_cbranch_execnz .LBB48_18
.LBB48_22:                              ;   in Loop: Header=BB48_14 Depth=2
	v_mov_b32_e32 v10, 0
	v_mov_b32_e32 v11, 0
	s_and_saveexec_b64 s[44:45], s[42:43]
	s_cbranch_execz .LBB48_13
.LBB48_23:                              ;   in Loop: Header=BB48_14 Depth=2
	v_ashrrev_i32_e32 v7, 31, v6
	v_lshl_add_u64 v[6:7], v[6:7], 3, s[26:27]
	global_load_dwordx2 v[10:11], v[6:7], off
	s_branch .LBB48_13
.LBB48_24:                              ;   in Loop: Header=BB48_10 Depth=1
	s_or_b64 exec, exec, s[38:39]
	ds_read_b32 v3, v2 offset:8960
	s_waitcnt lgkmcnt(0)
	s_sub_i32 s38, s55, s25
	s_cmp_le_i32 s38, s37
	s_cselect_b64 s[40:41], -1, 0
	s_mov_b32 s44, 0
	v_cmp_ge_i32_e32 vcc, s36, v3
	s_and_b64 s[40:41], s[40:41], vcc
	s_andn2_b64 vcc, exec, s[40:41]
	s_cbranch_vccnz .LBB48_36
; %bb.25:                               ;   in Loop: Header=BB48_10 Depth=1
	s_mov_b32 s42, 0
	s_mov_b32 s43, 0
.LBB48_26:                              ;   Parent Loop BB48_10 Depth=1
                                        ; =>  This Inner Loop Header: Depth=2
	s_ashr_i32 s39, s38, 31
	s_lshl_b64 s[40:41], s[38:39], 2
	s_add_u32 s40, s22, s40
	s_addc_u32 s41, s23, s41
	s_load_dword s39, s[40:41], 0x0
	s_lshl_b32 s40, s43, 2
	v_mov_b32_e32 v3, s40
	ds_read_b32 v3, v3 offset:8960
	s_mov_b64 s[40:41], -1
	s_waitcnt lgkmcnt(0)
	s_sub_i32 s47, s39, s25
                                        ; implicit-def: $sgpr44
                                        ; implicit-def: $sgpr46
                                        ; implicit-def: $sgpr45
	v_cmp_ge_i32_e32 vcc, s47, v3
	v_readfirstlane_b32 s39, v3
	s_cbranch_vccz .LBB48_32
; %bb.27:                               ;   in Loop: Header=BB48_26 Depth=2
	s_cmp_le_i32 s47, s39
                                        ; implicit-def: $sgpr44
                                        ; implicit-def: $sgpr46
                                        ; implicit-def: $sgpr45
	s_cbranch_scc0 .LBB48_29
; %bb.28:                               ;   in Loop: Header=BB48_26 Depth=2
	s_add_i32 s40, s43, s50
	s_mul_i32 s40, s40, s52
	s_lshl_b32 s41, s42, 2
	v_mov_b32_e32 v3, s41
	v_mov_b32_e32 v6, s40
	s_mul_i32 s40, s38, s52
	v_mov_b32_e32 v7, s40
	v_add_u32_e32 v3, 0x2000, v3
	ds_write2_b32 v3, v7, v6 offset0:128 offset1:160
	s_add_i32 s45, s43, 1
	s_add_i32 s46, s38, 1
	;; [unrolled: 1-line block ×3, first 2 shown]
	s_mov_b64 s[40:41], 0
.LBB48_29:                              ;   in Loop: Header=BB48_26 Depth=2
	s_andn2_b64 vcc, exec, s[40:41]
	s_cbranch_vccnz .LBB48_31
; %bb.30:                               ;   in Loop: Header=BB48_26 Depth=2
	s_add_i32 s45, s43, 1
	s_mov_b32 s44, s42
	s_mov_b32 s46, s38
.LBB48_31:                              ;   in Loop: Header=BB48_26 Depth=2
	s_mov_b64 s[40:41], 0
.LBB48_32:                              ;   in Loop: Header=BB48_26 Depth=2
	s_andn2_b64 vcc, exec, s[40:41]
	s_cbranch_vccnz .LBB48_34
; %bb.33:                               ;   in Loop: Header=BB48_26 Depth=2
	s_add_i32 s46, s38, 1
	s_mov_b32 s45, s43
	s_mov_b32 s44, s42
.LBB48_34:                              ;   in Loop: Header=BB48_26 Depth=2
	s_cmp_le_i32 s46, s37
	s_cselect_b64 s[40:41], -1, 0
	s_cmp_le_i32 s39, s36
	s_cselect_b64 s[38:39], -1, 0
	s_and_b64 s[38:39], s[40:41], s[38:39]
	s_and_b64 vcc, exec, s[38:39]
	s_cbranch_vccz .LBB48_36
; %bb.35:                               ;   in Loop: Header=BB48_26 Depth=2
	s_mov_b32 s42, s44
	s_mov_b32 s38, s46
	;; [unrolled: 1-line block ×3, first 2 shown]
	s_branch .LBB48_26
.LBB48_36:                              ;   in Loop: Header=BB48_10 Depth=1
	s_add_u32 s10, s14, s10
	s_addc_u32 s11, s15, s11
	s_waitcnt lgkmcnt(0)
.LBB48_37:                              ;   Parent Loop BB48_10 Depth=1
                                        ; =>  This Inner Loop Header: Depth=2
	global_load_dword v3, v2, s[10:11] sc1
	s_waitcnt vmcnt(0)
	v_cmp_eq_u32_e32 vcc, 0, v3
	s_cbranch_vccnz .LBB48_37
; %bb.38:                               ;   in Loop: Header=BB48_10 Depth=1
	buffer_inv sc1
	s_and_saveexec_b64 s[10:11], s[0:1]
	s_cbranch_execz .LBB48_51
; %bb.39:                               ;   in Loop: Header=BB48_10 Depth=1
	s_mul_i32 s45, s37, s48
	v_add_u32_e32 v3, s45, v0
	v_mul_lo_u32 v3, v3, s48
	s_mov_b64 s[36:37], 0
	v_mov_b32_e32 v8, v24
	v_mov_b32_e32 v9, v1
	s_branch .LBB48_41
.LBB48_40:                              ;   in Loop: Header=BB48_41 Depth=2
	s_or_b64 exec, exec, s[40:41]
	v_add_u32_e32 v9, 4, v9
	v_cmp_le_i32_e32 vcc, s48, v9
	s_waitcnt vmcnt(0)
	ds_write_b64 v8, v[10:11]
	s_or_b64 s[36:37], vcc, s[36:37]
	v_add_u32_e32 v8, 32, v8
	s_andn2_b64 exec, exec, s[36:37]
	s_cbranch_execz .LBB48_51
.LBB48_41:                              ;   Parent Loop BB48_10 Depth=1
                                        ; =>  This Inner Loop Header: Depth=2
	s_and_b64 vcc, exec, s[28:29]
	s_cbranch_vccz .LBB48_48
; %bb.42:                               ;   in Loop: Header=BB48_41 Depth=2
	s_mov_b64 s[40:41], 0
	s_mov_b64 s[38:39], 0
                                        ; implicit-def: $vgpr6
	s_and_saveexec_b64 s[42:43], s[2:3]
	s_xor_b64 s[42:43], exec, s[42:43]
; %bb.43:                               ;   in Loop: Header=BB48_41 Depth=2
	v_add_u32_e32 v6, s45, v9
	s_mov_b64 s[38:39], exec
	v_mad_u64_u32 v[6:7], s[46:47], v6, s48, v[0:1]
; %bb.44:                               ;   in Loop: Header=BB48_41 Depth=2
	s_or_b64 exec, exec, s[42:43]
	s_and_b64 vcc, exec, s[40:41]
	s_cbranch_vccz .LBB48_49
.LBB48_45:                              ;   in Loop: Header=BB48_41 Depth=2
                                        ; implicit-def: $vgpr6
	s_and_saveexec_b64 s[40:41], s[2:3]
; %bb.46:                               ;   in Loop: Header=BB48_41 Depth=2
	v_add_u32_e32 v6, v3, v9
	s_or_b64 s[38:39], s[38:39], exec
; %bb.47:                               ;   in Loop: Header=BB48_41 Depth=2
	s_or_b64 exec, exec, s[40:41]
	v_mov_b32_e32 v10, 0
	v_mov_b32_e32 v11, 0
	s_and_saveexec_b64 s[40:41], s[38:39]
	s_cbranch_execz .LBB48_40
	s_branch .LBB48_50
.LBB48_48:                              ;   in Loop: Header=BB48_41 Depth=2
	s_mov_b64 s[38:39], 0
                                        ; implicit-def: $vgpr6
	s_cbranch_execnz .LBB48_45
.LBB48_49:                              ;   in Loop: Header=BB48_41 Depth=2
	v_mov_b32_e32 v10, 0
	v_mov_b32_e32 v11, 0
	s_and_saveexec_b64 s[40:41], s[38:39]
	s_cbranch_execz .LBB48_40
.LBB48_50:                              ;   in Loop: Header=BB48_41 Depth=2
	v_ashrrev_i32_e32 v7, 31, v6
	v_lshl_add_u64 v[6:7], v[6:7], 3, s[26:27]
	global_load_dwordx2 v[10:11], v[6:7], off
	s_branch .LBB48_40
.LBB48_51:                              ;   in Loop: Header=BB48_10 Depth=1
	s_or_b64 exec, exec, s[10:11]
	s_cmp_lt_i32 s44, 2
	s_cbranch_scc1 .LBB48_67
; %bb.52:                               ;   in Loop: Header=BB48_10 Depth=1
	s_add_i32 s40, s44, -2
	s_mov_b32 s41, 0
	s_branch .LBB48_54
.LBB48_53:                              ;   in Loop: Header=BB48_54 Depth=2
	s_or_b64 exec, exec, s[10:11]
	s_add_i32 s10, s41, 1
	s_cmp_eq_u32 s41, s40
	s_mov_b32 s41, s10
	s_cbranch_scc1 .LBB48_67
.LBB48_54:                              ;   Parent Loop BB48_10 Depth=1
                                        ; =>  This Loop Header: Depth=2
                                        ;       Child Loop BB48_56 Depth 3
	s_and_saveexec_b64 s[10:11], s[0:1]
	s_cbranch_execz .LBB48_53
; %bb.55:                               ;   in Loop: Header=BB48_54 Depth=2
	s_lshl_b32 s36, s41, 2
	v_mov_b32_e32 v3, s36
	v_add_u32_e32 v3, 0x2000, v3
	ds_read2_b32 v[6:7], v3 offset0:128 offset1:160
	s_mov_b64 s[36:37], 0
	v_mov_b32_e32 v37, v1
	s_waitcnt lgkmcnt(0)
	v_add_u32_e32 v33, v7, v20
	v_add_u32_e32 v34, v0, v7
	;; [unrolled: 1-line block ×4, first 2 shown]
.LBB48_56:                              ;   Parent Loop BB48_10 Depth=1
                                        ;     Parent Loop BB48_54 Depth=2
                                        ; =>    This Inner Loop Header: Depth=3
	v_mov_b32_e32 v3, v2
	s_mov_b32 s42, 0
	v_mov_b32_e32 v6, v35
	v_mov_b32_e32 v8, v34
	v_mov_b64_e32 v[10:11], v[2:3]
	s_and_b64 vcc, exec, s[28:29]
	s_cbranch_vccnz .LBB48_59
	s_branch .LBB48_58
.LBB48_57:                              ;   in Loop: Header=BB48_56 Depth=3
	v_mov_b64_e32 v[10:11], v[12:13]
	s_and_b64 vcc, exec, s[28:29]
	s_cbranch_vccnz .LBB48_59
.LBB48_58:                              ;   in Loop: Header=BB48_56 Depth=3
                                        ; implicit-def: $vgpr12_vgpr13
	s_cbranch_execz .LBB48_65
	s_branch .LBB48_62
.LBB48_59:                              ;   in Loop: Header=BB48_56 Depth=3
	v_ashrrev_i32_e32 v7, 31, v6
	v_lshl_add_u64 v[12:13], v[6:7], 3, s[26:27]
	global_load_dwordx2 v[12:13], v[12:13], off
	v_mov_b32_e32 v14, 0
	v_mov_b32_e32 v15, 0
	s_and_saveexec_b64 s[38:39], s[2:3]
	s_cbranch_execz .LBB48_61
; %bb.60:                               ;   in Loop: Header=BB48_56 Depth=3
	v_ashrrev_i32_e32 v9, 31, v8
	v_lshl_add_u64 v[14:15], v[8:9], 3, s[26:27]
	global_load_dwordx2 v[14:15], v[14:15], off
.LBB48_61:                              ;   in Loop: Header=BB48_56 Depth=3
	s_or_b64 exec, exec, s[38:39]
	s_waitcnt vmcnt(0)
	v_pk_add_f32 v[40:41], v[14:15], 0 neg_lo:[1,1] neg_hi:[1,1]
	v_pk_fma_f32 v[38:39], v[12:13], v[14:15], v[10:11] op_sel_hi:[1,0,1]
	v_mov_b32_e32 v40, v15
	v_pk_fma_f32 v[12:13], v[12:13], v[40:41], v[38:39] op_sel:[1,0,0] op_sel_hi:[0,1,1]
	s_branch .LBB48_65
.LBB48_62:                              ;   in Loop: Header=BB48_56 Depth=3
	v_add_u32_e32 v12, s42, v36
	v_ashrrev_i32_e32 v13, 31, v12
	v_lshl_add_u64 v[12:13], v[12:13], 3, s[26:27]
	global_load_dwordx2 v[12:13], v[12:13], off
	v_mov_b32_e32 v14, 0
	v_mov_b32_e32 v15, 0
	s_and_saveexec_b64 s[38:39], s[2:3]
	s_cbranch_execz .LBB48_64
; %bb.63:                               ;   in Loop: Header=BB48_56 Depth=3
	v_add_u32_e32 v14, s42, v33
	v_ashrrev_i32_e32 v15, 31, v14
	v_lshl_add_u64 v[14:15], v[14:15], 3, s[26:27]
	global_load_dwordx2 v[14:15], v[14:15], off
.LBB48_64:                              ;   in Loop: Header=BB48_56 Depth=3
	s_or_b64 exec, exec, s[38:39]
	s_waitcnt vmcnt(0)
	v_pk_add_f32 v[38:39], v[14:15], 0 neg_lo:[1,1] neg_hi:[1,1]
	v_pk_fma_f32 v[10:11], v[12:13], v[14:15], v[10:11] op_sel_hi:[1,0,1]
	v_mov_b32_e32 v38, v15
	v_pk_fma_f32 v[12:13], v[12:13], v[38:39], v[10:11] op_sel:[1,0,0] op_sel_hi:[0,1,1]
.LBB48_65:                              ;   in Loop: Header=BB48_56 Depth=3
	s_add_i32 s42, s42, 1
	v_add_u32_e32 v8, s48, v8
	s_cmp_eq_u32 s48, s42
	v_add_u32_e32 v6, s48, v6
	s_cbranch_scc0 .LBB48_57
; %bb.66:                               ;   in Loop: Header=BB48_56 Depth=3
	v_lshl_add_u32 v3, v37, 3, v19
	ds_read_b64 v[6:7], v3
	v_add_u32_e32 v37, 4, v37
	v_cmp_le_i32_e32 vcc, s48, v37
	v_add_u32_e32 v35, 4, v35
	s_or_b64 s[36:37], vcc, s[36:37]
	s_waitcnt lgkmcnt(0)
	v_pk_add_f32 v[6:7], v[12:13], v[6:7]
	v_add_u32_e32 v36, s53, v36
	ds_write_b64 v3, v[6:7]
	s_andn2_b64 exec, exec, s[36:37]
	s_cbranch_execnz .LBB48_56
	s_branch .LBB48_53
.LBB48_67:                              ;   in Loop: Header=BB48_10 Depth=1
	s_andn2_b64 vcc, exec, s[30:31]
	s_waitcnt lgkmcnt(0)
	s_cbranch_vccnz .LBB48_86
; %bb.68:                               ;   in Loop: Header=BB48_10 Depth=1
	s_mov_b32 s42, 0
	v_mov_b32_e32 v15, s54
	v_mov_b32_e32 v3, v29
	s_mov_b32 s43, 0
	s_mov_b32 s44, 0
	s_branch .LBB48_70
.LBB48_69:                              ;   in Loop: Header=BB48_70 Depth=2
	s_or_b64 exec, exec, s[10:11]
	s_add_i32 s44, s44, 1
	s_addk_i32 s43, 0x88
	s_add_i32 s42, s42, 8
	s_cmp_eq_u32 s44, s48
	v_add_u32_e32 v3, 8, v3
	s_waitcnt lgkmcnt(0)
	s_cbranch_scc1 .LBB48_86
.LBB48_70:                              ;   Parent Loop BB48_10 Depth=1
                                        ; =>  This Loop Header: Depth=2
                                        ;       Child Loop BB48_75 Depth 3
                                        ;       Child Loop BB48_79 Depth 3
	;; [unrolled: 1-line block ×3, first 2 shown]
	s_lshl_b32 s10, s44, 3
	s_mul_i32 s11, s44, 0x88
	s_add_i32 s11, s11, s10
	v_mov_b32_e32 v6, s11
	ds_read_b64 v[10:11], v6
	v_add_u32_e32 v9, s10, v18
	ds_read_b64 v[6:7], v9
	s_waitcnt lgkmcnt(1)
	v_cmp_neq_f32_e32 vcc, 0, v10
	v_cmp_neq_f32_e64 s[10:11], 0, v11
	s_or_b64 vcc, vcc, s[10:11]
	v_cndmask_b32_e32 v8, 1.0, v10, vcc
	s_nor_b64 s[36:37], vcc, s[4:5]
	v_cndmask_b32_e32 v10, 0, v11, vcc
	s_and_saveexec_b64 s[10:11], s[36:37]
	s_cbranch_execz .LBB48_74
; %bb.71:                               ;   in Loop: Header=BB48_70 Depth=2
	v_mbcnt_lo_u32_b32 v8, exec_lo, 0
	v_mbcnt_hi_u32_b32 v8, exec_hi, v8
	v_cmp_eq_u32_e32 vcc, 0, v8
	s_and_saveexec_b64 s[36:37], vcc
	s_cbranch_execz .LBB48_73
; %bb.72:                               ;   in Loop: Header=BB48_70 Depth=2
	global_atomic_smin v2, v15, s[18:19]
.LBB48_73:                              ;   in Loop: Header=BB48_70 Depth=2
	s_or_b64 exec, exec, s[36:37]
	v_mov_b32_e32 v10, 0
	v_mov_b32_e32 v8, 1.0
.LBB48_74:                              ;   in Loop: Header=BB48_70 Depth=2
	s_or_b64 exec, exec, s[10:11]
	v_lshl_add_u32 v11, s44, 3, v19
	ds_read_b64 v[12:13], v11
	s_cmp_eq_u32 s44, 0
	v_mov_b32_e32 v11, v18
	s_mov_b32 s10, s43
	s_mov_b32 s11, s44
	s_cbranch_scc1 .LBB48_76
.LBB48_75:                              ;   Parent Loop BB48_10 Depth=1
                                        ;     Parent Loop BB48_70 Depth=2
                                        ; =>    This Inner Loop Header: Depth=3
	v_mov_b32_e32 v14, s10
	ds_read_b64 v[34:35], v11
	ds_read_b64 v[36:37], v14
	s_add_i32 s11, s11, -1
	s_add_i32 s10, s10, 8
	v_add_u32_e32 v11, 8, v11
	s_cmp_eq_u32 s11, 0
	s_waitcnt lgkmcnt(0)
	v_pk_fma_f32 v[12:13], v[36:37], v[34:35], v[12:13] op_sel_hi:[1,0,1]
	s_nop 0
	v_pk_fma_f32 v[12:13], v[36:37], v[34:35], v[12:13] op_sel:[1,1,0] op_sel_hi:[0,1,1] neg_hi:[0,1,0]
	s_cbranch_scc0 .LBB48_75
.LBB48_76:                              ;   in Loop: Header=BB48_70 Depth=2
	v_mul_f32_e32 v11, v10, v10
	v_fmac_f32_e32 v11, v8, v8
	v_div_scale_f32 v14, s[10:11], v11, v11, 1.0
	v_rcp_f32_e32 v33, v14
	v_div_scale_f32 v34, vcc, 1.0, v11, 1.0
	s_waitcnt lgkmcnt(0)
	v_pk_add_f32 v[6:7], v[6:7], v[12:13] neg_lo:[0,1] neg_hi:[0,1]
	v_fma_f32 v35, -v14, v33, 1.0
	v_fmac_f32_e32 v33, v35, v33
	v_mul_f32_e32 v35, v34, v33
	v_fma_f32 v36, -v14, v35, v34
	v_fmac_f32_e32 v35, v36, v33
	v_fma_f32 v14, -v14, v35, v34
	v_div_fmas_f32 v14, v14, v33, v35
	v_xor_b32_e32 v13, 0x80000000, v6
	v_mov_b32_e32 v12, v7
	v_div_fixup_f32 v14, v14, v11, 1.0
	v_pk_mul_f32 v[10:11], v[10:11], v[12:13] op_sel_hi:[0,1]
	v_pk_fma_f32 v[6:7], v[6:7], v[8:9], v[10:11] op_sel_hi:[1,0,1]
	s_nop 0
	v_pk_mul_f32 v[6:7], v[14:15], v[6:7] op_sel_hi:[0,1]
	ds_write_b64 v9, v[6:7]
	s_waitcnt lgkmcnt(0)
	s_and_saveexec_b64 s[10:11], s[0:1]
	s_cbranch_execz .LBB48_69
; %bb.77:                               ;   in Loop: Header=BB48_70 Depth=2
	s_mov_b64 s[38:39], -1
	v_mov_b32_e32 v8, v1
	v_mov_b32_e32 v9, v23
	;; [unrolled: 1-line block ×3, first 2 shown]
	s_and_saveexec_b64 s[36:37], s[6:7]
	s_cbranch_execz .LBB48_83
; %bb.78:                               ;   in Loop: Header=BB48_70 Depth=2
	v_mov_b32_e32 v8, v6
	v_mov_b32_e32 v9, v6
	;; [unrolled: 1-line block ×4, first 2 shown]
	s_mov_b64 s[38:39], 0
	v_mov_b32_e32 v12, v21
	v_mov_b32_e32 v13, v30
	;; [unrolled: 1-line block ×3, first 2 shown]
.LBB48_79:                              ;   Parent Loop BB48_10 Depth=1
                                        ;     Parent Loop BB48_70 Depth=2
                                        ; =>    This Inner Loop Header: Depth=3
	ds_read2_b64 v[34:37], v14 offset1:68
	ds_read2_b64 v[38:41], v13 offset1:4
	v_add_u32_e32 v12, -2, v12
	v_cmp_eq_u32_e32 vcc, 0, v12
	v_add_u32_e32 v14, 0x440, v14
	s_waitcnt lgkmcnt(1)
	v_mov_b32_e32 v42, v34
	v_mov_b32_e32 v43, v36
	;; [unrolled: 1-line block ×3, first 2 shown]
	s_waitcnt lgkmcnt(0)
	v_mov_b32_e32 v34, v38
	v_mov_b32_e32 v35, v40
	;; [unrolled: 1-line block ×3, first 2 shown]
	v_pk_fma_f32 v[34:35], v[8:9], v[42:43], v[34:35]
	v_pk_fma_f32 v[38:39], v[10:11], v[42:43], v[40:41]
	v_pk_fma_f32 v[34:35], v[10:11], v[36:37], v[34:35]
	v_pk_fma_f32 v[36:37], v[8:9], v[36:37], v[38:39] neg_lo:[0,1,0] neg_hi:[0,1,0]
	v_mov_b32_e32 v38, v34
	v_mov_b32_e32 v39, v36
	;; [unrolled: 1-line block ×3, first 2 shown]
	ds_write2_b64 v13, v[38:39], v[36:37] offset1:4
	s_or_b64 s[38:39], vcc, s[38:39]
	v_add_u32_e32 v13, 64, v13
	s_andn2_b64 exec, exec, s[38:39]
	s_cbranch_execnz .LBB48_79
; %bb.80:                               ;   in Loop: Header=BB48_70 Depth=2
	s_or_b64 exec, exec, s[38:39]
	s_mov_b64 s[38:39], 0
                                        ; implicit-def: $vgpr9
                                        ; implicit-def: $vgpr10
	s_and_saveexec_b64 s[40:41], s[8:9]
; %bb.81:                               ;   in Loop: Header=BB48_70 Depth=2
	s_mov_b64 s[38:39], exec
	v_lshlrev_b32_e32 v9, 3, v22
	v_mul_lo_u32 v10, v22, s51
; %bb.82:                               ;   in Loop: Header=BB48_70 Depth=2
	s_or_b64 exec, exec, s[40:41]
	s_orn2_b64 s[38:39], s[38:39], exec
	v_mov_b32_e32 v8, v22
.LBB48_83:                              ;   in Loop: Header=BB48_70 Depth=2
	s_or_b64 exec, exec, s[36:37]
	s_and_b64 exec, exec, s[38:39]
	s_cbranch_execz .LBB48_69
; %bb.84:                               ;   in Loop: Header=BB48_70 Depth=2
	v_add_u32_e32 v9, v31, v9
	v_add_u32_e32 v10, s42, v10
	s_mov_b64 s[36:37], 0
.LBB48_85:                              ;   Parent Loop BB48_10 Depth=1
                                        ;     Parent Loop BB48_70 Depth=2
                                        ; =>    This Inner Loop Header: Depth=3
	ds_read_b64 v[12:13], v10 offset:4352
	ds_read_b64 v[34:35], v9
	v_add_u32_e32 v8, 4, v8
	v_cmp_le_i32_e32 vcc, s48, v8
	s_or_b64 s[36:37], vcc, s[36:37]
	v_add_u32_e32 v10, 0x220, v10
	s_waitcnt lgkmcnt(0)
	v_pk_fma_f32 v[34:35], v[6:7], v[12:13], v[34:35] op_sel_hi:[1,0,1]
	s_nop 0
	v_pk_fma_f32 v[12:13], v[6:7], v[12:13], v[34:35] op_sel:[0,1,1] op_sel_hi:[1,1,0] neg_lo:[0,1,0]
	s_nop 0
	v_pk_mov_b32 v[12:13], v[12:13], v[12:13] op_sel:[1,0]
	ds_write_b64 v9, v[12:13]
	v_add_u32_e32 v9, 32, v9
	s_andn2_b64 exec, exec, s[36:37]
	s_cbranch_execnz .LBB48_85
	s_branch .LBB48_69
.LBB48_86:                              ;   in Loop: Header=BB48_10 Depth=1
	s_and_saveexec_b64 s[10:11], s[0:1]
	s_cbranch_execz .LBB48_9
; %bb.87:                               ;   in Loop: Header=BB48_10 Depth=1
	s_mov_b64 s[36:37], 0
	v_mov_b32_e32 v3, v32
	v_mov_b32_e32 v8, v1
	s_branch .LBB48_91
.LBB48_88:                              ;   in Loop: Header=BB48_91 Depth=2
	v_add_u32_e32 v6, v27, v8
.LBB48_89:                              ;   in Loop: Header=BB48_91 Depth=2
	ds_read_b64 v[10:11], v3
	v_ashrrev_i32_e32 v7, 31, v6
	v_lshl_add_u64 v[6:7], v[6:7], 3, s[26:27]
	s_waitcnt lgkmcnt(0)
	global_store_dwordx2 v[6:7], v[10:11], off
.LBB48_90:                              ;   in Loop: Header=BB48_91 Depth=2
	s_or_b64 exec, exec, s[38:39]
	v_add_u32_e32 v8, 4, v8
	v_cmp_le_i32_e32 vcc, s48, v8
	s_or_b64 s[36:37], vcc, s[36:37]
	v_add_u32_e32 v3, 32, v3
	s_andn2_b64 exec, exec, s[36:37]
	s_cbranch_execz .LBB48_9
.LBB48_91:                              ;   Parent Loop BB48_10 Depth=1
                                        ; =>  This Inner Loop Header: Depth=2
	s_and_saveexec_b64 s[38:39], s[2:3]
	s_cbranch_execz .LBB48_90
; %bb.92:                               ;   in Loop: Header=BB48_91 Depth=2
	s_and_b64 vcc, exec, s[28:29]
	s_cbranch_vccz .LBB48_94
; %bb.93:                               ;   in Loop: Header=BB48_91 Depth=2
	v_add_u32_e32 v6, s35, v8
	v_mad_u64_u32 v[6:7], s[40:41], v6, s48, v[0:1]
	s_cbranch_execnz .LBB48_89
	s_branch .LBB48_88
.LBB48_94:                              ;   in Loop: Header=BB48_91 Depth=2
                                        ; implicit-def: $vgpr6
	s_branch .LBB48_88
.LBB48_95:                              ;   in Loop: Header=BB48_10 Depth=1
                                        ; implicit-def: $sgpr34
                                        ; implicit-def: $vgpr27
	s_cbranch_execz .LBB48_10
.LBB48_96:
	v_cmp_gt_i32_e64 s[0:1], s48, v1
	s_and_saveexec_b64 s[4:5], s[0:1]
	s_cbranch_execz .LBB48_109
; %bb.97:
	s_mul_i32 s22, s33, s48
	v_add_u32_e32 v2, s22, v0
	s_cmp_lg_u32 s49, 0
	v_mul_lo_u32 v4, v2, s48
	v_mul_u32_u24_e32 v2, 0x88, v0
	v_lshlrev_b32_e32 v3, 3, v1
	s_movk_i32 s8, 0x1100
	s_cselect_b64 s[6:7], -1, 0
	v_cmp_gt_i32_e64 s[2:3], s48, v0
	v_add3_u32 v5, v2, v3, s8
	s_mov_b64 s[8:9], 0
	v_mov_b32_e32 v6, v1
	s_branch .LBB48_99
.LBB48_98:                              ;   in Loop: Header=BB48_99 Depth=1
	s_or_b64 exec, exec, s[12:13]
	v_add_u32_e32 v6, 4, v6
	v_cmp_le_i32_e32 vcc, s48, v6
	s_waitcnt vmcnt(0)
	ds_write_b64 v5, v[8:9]
	s_or_b64 s[8:9], vcc, s[8:9]
	v_add_u32_e32 v5, 32, v5
	s_andn2_b64 exec, exec, s[8:9]
	s_cbranch_execz .LBB48_109
.LBB48_99:                              ; =>This Inner Loop Header: Depth=1
	s_and_b64 vcc, exec, s[6:7]
	s_cbranch_vccz .LBB48_106
; %bb.100:                              ;   in Loop: Header=BB48_99 Depth=1
	s_mov_b64 s[12:13], 0
	s_mov_b64 s[10:11], 0
                                        ; implicit-def: $vgpr2
	s_and_saveexec_b64 s[20:21], s[2:3]
	s_xor_b64 s[20:21], exec, s[20:21]
; %bb.101:                              ;   in Loop: Header=BB48_99 Depth=1
	v_add_u32_e32 v2, s22, v6
	s_mov_b64 s[10:11], exec
	v_mad_u64_u32 v[2:3], s[28:29], v2, s48, v[0:1]
; %bb.102:                              ;   in Loop: Header=BB48_99 Depth=1
	s_or_b64 exec, exec, s[20:21]
	s_and_b64 vcc, exec, s[12:13]
	s_cbranch_vccz .LBB48_107
.LBB48_103:                             ;   in Loop: Header=BB48_99 Depth=1
                                        ; implicit-def: $vgpr2
	s_and_saveexec_b64 s[12:13], s[2:3]
; %bb.104:                              ;   in Loop: Header=BB48_99 Depth=1
	v_add_u32_e32 v2, v4, v6
	s_or_b64 s[10:11], s[10:11], exec
; %bb.105:                              ;   in Loop: Header=BB48_99 Depth=1
	s_or_b64 exec, exec, s[12:13]
	v_mov_b32_e32 v8, 0
	v_mov_b32_e32 v9, 0
	s_and_saveexec_b64 s[12:13], s[10:11]
	s_cbranch_execz .LBB48_98
	s_branch .LBB48_108
.LBB48_106:                             ;   in Loop: Header=BB48_99 Depth=1
	s_mov_b64 s[10:11], 0
                                        ; implicit-def: $vgpr2
	s_cbranch_execnz .LBB48_103
.LBB48_107:                             ;   in Loop: Header=BB48_99 Depth=1
	v_mov_b32_e32 v8, 0
	v_mov_b32_e32 v9, 0
	s_and_saveexec_b64 s[12:13], s[10:11]
	s_cbranch_execz .LBB48_98
.LBB48_108:                             ;   in Loop: Header=BB48_99 Depth=1
	v_ashrrev_i32_e32 v3, 31, v2
	v_lshl_add_u64 v[2:3], v[2:3], 3, s[26:27]
	global_load_dwordx2 v[8:9], v[2:3], off
	s_branch .LBB48_98
.LBB48_109:
	s_or_b64 exec, exec, s[4:5]
	s_cmp_lt_i32 s48, 1
	s_waitcnt lgkmcnt(0)
	s_cbranch_scc1 .LBB48_135
; %bb.110:
	v_or_b32_e32 v4, v1, v0
	s_movk_i32 s8, 0x88
	v_mov_b32_e32 v2, 0x1100
	v_cmp_ne_u32_e64 s[2:3], 0, v4
	v_mov_b32_e32 v4, 0x1980
	v_mad_u32_u24 v10, v0, s8, v2
	v_mad_u32_u24 v11, v0, s8, v4
	v_lshlrev_b32_e32 v4, 3, v0
	v_add_u32_e32 v12, v10, v4
	v_add_u32_e32 v13, v11, v4
	v_lshrrev_b32_e32 v4, 2, v17
	v_add_u32_e32 v4, 1, v4
	v_and_b32_e32 v14, 0x7ffffffe, v4
	v_mul_u32_u24_e32 v3, 0x88, v0
	s_add_i32 s9, s24, s25
	s_movk_i32 s10, 0x1980
	v_lshl_add_u32 v15, v14, 2, v1
	s_mov_b32 s22, 0
	v_cmp_lt_u32_e64 s[4:5], 3, v17
	v_cmp_ne_u32_e64 s[6:7], v4, v14
	v_mul_u32_u24_e32 v17, 0x88, v1
	v_mad_u32_u24 v18, v1, s8, v2
	v_add3_u32 v19, v3, v16, s10
	s_mov_b32 s23, 0xf800000
	v_mov_b32_e32 v20, 0x260
	v_mov_b32_e32 v3, 0
	;; [unrolled: 1-line block ×3, first 2 shown]
	v_lshlrev_b32_e32 v21, 3, v15
	v_mul_lo_u32 v22, v15, s8
	s_mov_b32 s28, 0
	s_branch .LBB48_112
.LBB48_111:                             ;   in Loop: Header=BB48_112 Depth=1
	s_or_b64 exec, exec, s[8:9]
	s_add_i32 s28, s28, 1
	s_add_i32 s22, s22, 8
	s_cmp_eq_u32 s28, s48
	v_add_u32_e32 v18, 8, v18
	s_waitcnt lgkmcnt(0)
	s_cbranch_scc1 .LBB48_135
.LBB48_112:                             ; =>This Loop Header: Depth=1
                                        ;     Child Loop BB48_128 Depth 2
                                        ;     Child Loop BB48_134 Depth 2
	v_cmp_eq_u32_e32 vcc, s28, v0
	s_and_saveexec_b64 s[10:11], vcc
	s_cbranch_execz .LBB48_120
; %bb.113:                              ;   in Loop: Header=BB48_112 Depth=1
	ds_read_b64 v[4:5], v12
	ds_read_b64 v[6:7], v13
	s_waitcnt lgkmcnt(0)
	v_sub_f32_e32 v2, v4, v6
	v_sub_f32_e32 v6, v5, v7
	v_cmp_gt_f32_e32 vcc, 0, v2
                                        ; implicit-def: $vgpr5
	s_nop 1
	v_cndmask_b32_e64 v2, v2, -v2, vcc
	v_cmp_gt_f32_e32 vcc, 0, v6
	s_nop 1
	v_cndmask_b32_e64 v4, v6, -v6, vcc
	v_cmp_ngt_f32_e32 vcc, v2, v4
	s_and_saveexec_b64 s[8:9], vcc
	s_xor_b64 s[12:13], exec, s[8:9]
	s_cbranch_execz .LBB48_117
; %bb.114:                              ;   in Loop: Header=BB48_112 Depth=1
	v_mov_b32_e32 v5, 0
	v_cmp_neq_f32_e32 vcc, 0, v6
	s_and_saveexec_b64 s[20:21], vcc
	s_cbranch_execz .LBB48_116
; %bb.115:                              ;   in Loop: Header=BB48_112 Depth=1
	v_div_scale_f32 v5, s[8:9], v4, v4, v2
	v_rcp_f32_e32 v6, v5
	v_div_scale_f32 v7, vcc, v2, v4, v2
	v_fma_f32 v8, -v5, v6, 1.0
	v_fmac_f32_e32 v6, v8, v6
	v_mul_f32_e32 v8, v7, v6
	v_fma_f32 v9, -v5, v8, v7
	v_fmac_f32_e32 v8, v9, v6
	v_fma_f32 v5, -v5, v8, v7
	v_div_fmas_f32 v5, v5, v6, v8
	v_div_fixup_f32 v2, v5, v4, v2
	v_fma_f32 v2, v2, v2, 1.0
	v_mul_f32_e32 v5, 0x4f800000, v2
	v_cmp_gt_f32_e32 vcc, s23, v2
	s_nop 1
	v_cndmask_b32_e32 v2, v2, v5, vcc
	v_sqrt_f32_e32 v5, v2
	s_nop 0
	v_add_u32_e32 v6, -1, v5
	v_fma_f32 v7, -v6, v5, v2
	v_cmp_ge_f32_e64 s[8:9], 0, v7
	v_add_u32_e32 v7, 1, v5
	s_nop 0
	v_cndmask_b32_e64 v6, v5, v6, s[8:9]
	v_fma_f32 v5, -v7, v5, v2
	v_cmp_lt_f32_e64 s[8:9], 0, v5
	s_nop 1
	v_cndmask_b32_e64 v5, v6, v7, s[8:9]
	v_mul_f32_e32 v6, 0x37800000, v5
	v_cndmask_b32_e32 v5, v5, v6, vcc
	v_cmp_class_f32_e32 vcc, v2, v20
	s_nop 1
	v_cndmask_b32_e32 v2, v5, v2, vcc
	v_mul_f32_e32 v5, v4, v2
.LBB48_116:                             ;   in Loop: Header=BB48_112 Depth=1
	s_or_b64 exec, exec, s[20:21]
                                        ; implicit-def: $vgpr2
                                        ; implicit-def: $vgpr4
.LBB48_117:                             ;   in Loop: Header=BB48_112 Depth=1
	s_andn2_saveexec_b64 s[12:13], s[12:13]
	s_cbranch_execz .LBB48_119
; %bb.118:                              ;   in Loop: Header=BB48_112 Depth=1
	v_div_scale_f32 v5, s[8:9], v2, v2, v4
	v_rcp_f32_e32 v6, v5
	v_div_scale_f32 v7, vcc, v4, v2, v4
	v_fma_f32 v8, -v5, v6, 1.0
	v_fmac_f32_e32 v6, v8, v6
	v_mul_f32_e32 v8, v7, v6
	v_fma_f32 v9, -v5, v8, v7
	v_fmac_f32_e32 v8, v9, v6
	v_fma_f32 v5, -v5, v8, v7
	v_div_fmas_f32 v5, v5, v6, v8
	v_div_fixup_f32 v4, v5, v2, v4
	v_fma_f32 v4, v4, v4, 1.0
	v_mul_f32_e32 v5, 0x4f800000, v4
	v_cmp_gt_f32_e32 vcc, s23, v4
	s_nop 1
	v_cndmask_b32_e32 v4, v4, v5, vcc
	v_sqrt_f32_e32 v5, v4
	s_nop 0
	v_add_u32_e32 v6, -1, v5
	v_fma_f32 v7, -v6, v5, v4
	v_cmp_ge_f32_e64 s[8:9], 0, v7
	v_add_u32_e32 v7, 1, v5
	s_nop 0
	v_cndmask_b32_e64 v6, v5, v6, s[8:9]
	v_fma_f32 v5, -v7, v5, v4
	v_cmp_lt_f32_e64 s[8:9], 0, v5
	s_nop 1
	v_cndmask_b32_e64 v5, v6, v7, s[8:9]
	v_mul_f32_e32 v6, 0x37800000, v5
	v_cndmask_b32_e32 v5, v5, v6, vcc
	v_cmp_class_f32_e32 vcc, v4, v20
	s_nop 1
	v_cndmask_b32_e32 v4, v5, v4, vcc
	v_mul_f32_e32 v5, v2, v4
.LBB48_119:                             ;   in Loop: Header=BB48_112 Depth=1
	s_or_b64 exec, exec, s[12:13]
	v_mul_f32_e32 v2, 0x4f800000, v5
	v_cmp_gt_f32_e32 vcc, s23, v5
	s_nop 1
	v_cndmask_b32_e32 v2, v5, v2, vcc
	v_sqrt_f32_e32 v4, v2
	s_nop 0
	v_add_u32_e32 v5, -1, v4
	v_fma_f32 v7, -v5, v4, v2
	v_add_u32_e32 v6, 1, v4
	v_cmp_ge_f32_e64 s[8:9], 0, v7
	s_nop 1
	v_cndmask_b32_e64 v5, v4, v5, s[8:9]
	v_fma_f32 v4, -v6, v4, v2
	v_cmp_lt_f32_e64 s[8:9], 0, v4
	s_nop 1
	v_cndmask_b32_e64 v4, v5, v6, s[8:9]
	v_mul_f32_e32 v5, 0x37800000, v4
	v_cndmask_b32_e32 v4, v4, v5, vcc
	v_cmp_class_f32_e32 vcc, v2, v20
	s_nop 1
	v_cndmask_b32_e32 v2, v4, v2, vcc
	ds_write_b64 v12, v[2:3]
.LBB48_120:                             ;   in Loop: Header=BB48_112 Depth=1
	s_or_b64 exec, exec, s[10:11]
	s_lshl_b32 s8, s28, 3
	s_mul_i32 s9, s28, 0x88
	s_add_i32 s9, s9, s8
	v_mov_b32_e32 v2, s9
	s_waitcnt lgkmcnt(0)
	ds_read_b64 v[26:27], v2 offset:4352
	v_add_u32_e32 v6, s8, v10
	ds_read_b64 v[8:9], v6
	s_waitcnt lgkmcnt(1)
	v_cmp_neq_f32_e32 vcc, 0, v26
	v_cmp_neq_f32_e64 s[8:9], 0, v27
	s_or_b64 vcc, vcc, s[8:9]
	v_cndmask_b32_e32 v4, 0, v27, vcc
	s_nor_b64 s[10:11], vcc, s[2:3]
	v_cndmask_b32_e32 v2, 1.0, v26, vcc
	s_and_saveexec_b64 s[8:9], s[10:11]
	s_cbranch_execz .LBB48_124
; %bb.121:                              ;   in Loop: Header=BB48_112 Depth=1
	v_mbcnt_lo_u32_b32 v2, exec_lo, 0
	v_mbcnt_hi_u32_b32 v2, exec_hi, v2
	v_cmp_eq_u32_e32 vcc, 0, v2
	s_and_saveexec_b64 s[10:11], vcc
	s_cbranch_execz .LBB48_123
; %bb.122:                              ;   in Loop: Header=BB48_112 Depth=1
	global_atomic_smin v3, v25, s[18:19]
.LBB48_123:                             ;   in Loop: Header=BB48_112 Depth=1
	s_or_b64 exec, exec, s[10:11]
	v_mov_b32_e32 v2, 1.0
	v_mov_b32_e32 v4, 0
.LBB48_124:                             ;   in Loop: Header=BB48_112 Depth=1
	s_or_b64 exec, exec, s[8:9]
	v_cmp_lt_u32_e32 vcc, s28, v0
	s_and_saveexec_b64 s[8:9], vcc
	s_cbranch_execz .LBB48_111
; %bb.125:                              ;   in Loop: Header=BB48_112 Depth=1
	v_mul_f32_e32 v5, v4, v4
	v_fmac_f32_e32 v5, v2, v2
	v_div_scale_f32 v7, s[10:11], v5, v5, 1.0
	v_rcp_f32_e32 v23, v7
	v_lshl_add_u32 v24, s28, 3, v11
	s_waitcnt lgkmcnt(0)
	v_mov_b32_e32 v29, v8
	v_fma_f32 v26, -v7, v23, 1.0
	v_fmac_f32_e32 v23, v26, v23
	v_div_scale_f32 v26, vcc, 1.0, v5, 1.0
	v_mul_f32_e32 v28, v26, v23
	v_fma_f32 v27, -v7, v28, v26
	v_fmac_f32_e32 v28, v27, v23
	v_fma_f32 v7, -v7, v28, v26
	ds_read_b64 v[26:27], v24
	v_div_fmas_f32 v7, v7, v23, v28
	v_mov_b32_e32 v28, v9
	v_div_fixup_f32 v24, v7, v5, 1.0
	s_waitcnt lgkmcnt(0)
	v_pk_add_f32 v[8:9], v[28:29], v[26:27] op_sel:[0,1] op_sel_hi:[1,0] neg_lo:[0,1] neg_hi:[0,1]
	s_nop 0
	v_xor_b32_e32 v26, 0x80000000, v9
	v_mov_b32_e32 v27, v8
	v_pk_mul_f32 v[4:5], v[4:5], v[26:27] op_sel_hi:[0,1]
	v_pk_fma_f32 v[4:5], v[8:9], v[2:3], v[4:5] op_sel_hi:[1,0,1]
	s_nop 0
	v_pk_mul_f32 v[4:5], v[24:25], v[4:5] op_sel_hi:[0,1]
	v_pk_mov_b32 v[8:9], v[4:5], v[4:5] op_sel:[1,0]
	ds_write_b64 v6, v[8:9]
	s_waitcnt lgkmcnt(0)
	s_and_b64 exec, exec, s[0:1]
	s_cbranch_execz .LBB48_111
; %bb.126:                              ;   in Loop: Header=BB48_112 Depth=1
	s_mov_b64 s[12:13], -1
	v_mov_b32_e32 v2, v1
	v_mov_b32_e32 v8, v16
	;; [unrolled: 1-line block ×3, first 2 shown]
	s_and_saveexec_b64 s[10:11], s[4:5]
	s_cbranch_execz .LBB48_132
; %bb.127:                              ;   in Loop: Header=BB48_112 Depth=1
	v_mov_b32_e32 v6, v5
	v_mov_b32_e32 v7, v5
	;; [unrolled: 1-line block ×4, first 2 shown]
	s_mov_b64 s[12:13], 0
	v_mov_b32_e32 v2, v14
	v_mov_b32_e32 v23, v19
	;; [unrolled: 1-line block ×3, first 2 shown]
.LBB48_128:                             ;   Parent Loop BB48_112 Depth=1
                                        ; =>  This Inner Loop Header: Depth=2
	ds_read2_b64 v[26:29], v24 offset1:68
	ds_read2_b64 v[30:33], v23 offset1:4
	v_add_u32_e32 v2, -2, v2
	v_cmp_eq_u32_e32 vcc, 0, v2
	v_add_u32_e32 v24, 0x440, v24
	s_waitcnt lgkmcnt(1)
	v_mov_b32_e32 v34, v26
	v_mov_b32_e32 v35, v28
	;; [unrolled: 1-line block ×3, first 2 shown]
	s_waitcnt lgkmcnt(0)
	v_mov_b32_e32 v26, v30
	v_mov_b32_e32 v27, v32
	;; [unrolled: 1-line block ×3, first 2 shown]
	v_pk_fma_f32 v[26:27], v[6:7], v[34:35], v[26:27]
	v_pk_fma_f32 v[30:31], v[8:9], v[34:35], v[32:33]
	;; [unrolled: 1-line block ×3, first 2 shown]
	v_pk_fma_f32 v[28:29], v[6:7], v[28:29], v[30:31] neg_lo:[0,1,0] neg_hi:[0,1,0]
	v_mov_b32_e32 v30, v26
	v_mov_b32_e32 v31, v28
	;; [unrolled: 1-line block ×3, first 2 shown]
	ds_write2_b64 v23, v[30:31], v[28:29] offset1:4
	s_or_b64 s[12:13], vcc, s[12:13]
	v_add_u32_e32 v23, 64, v23
	s_andn2_b64 exec, exec, s[12:13]
	s_cbranch_execnz .LBB48_128
; %bb.129:                              ;   in Loop: Header=BB48_112 Depth=1
	s_or_b64 exec, exec, s[12:13]
	s_mov_b64 s[12:13], 0
	s_and_saveexec_b64 s[20:21], s[6:7]
; %bb.130:                              ;   in Loop: Header=BB48_112 Depth=1
	s_mov_b64 s[12:13], exec
; %bb.131:                              ;   in Loop: Header=BB48_112 Depth=1
	s_or_b64 exec, exec, s[20:21]
	s_orn2_b64 s[12:13], s[12:13], exec
	v_mov_b32_e32 v2, v15
	v_mov_b32_e32 v8, v21
	;; [unrolled: 1-line block ×3, first 2 shown]
.LBB48_132:                             ;   in Loop: Header=BB48_112 Depth=1
	s_or_b64 exec, exec, s[10:11]
	s_and_b64 exec, exec, s[12:13]
	s_cbranch_execz .LBB48_111
; %bb.133:                              ;   in Loop: Header=BB48_112 Depth=1
	v_pk_mov_b32 v[6:7], v[4:5], v[4:5] op_sel:[1,0]
	v_add_u32_e32 v8, v11, v8
	v_add_u32_e32 v9, s22, v9
	s_mov_b64 s[10:11], 0
.LBB48_134:                             ;   Parent Loop BB48_112 Depth=1
                                        ; =>  This Inner Loop Header: Depth=2
	ds_read_b64 v[26:27], v9 offset:4352
	ds_read_b64 v[28:29], v8
	v_add_u32_e32 v2, 4, v2
	v_cmp_le_i32_e32 vcc, s48, v2
	s_or_b64 s[10:11], vcc, s[10:11]
	v_add_u32_e32 v9, 0x220, v9
	s_waitcnt lgkmcnt(0)
	v_pk_fma_f32 v[28:29], v[6:7], v[26:27], v[28:29] op_sel_hi:[1,0,1]
	s_nop 0
	v_pk_fma_f32 v[26:27], v[4:5], v[26:27], v[28:29] op_sel:[0,1,0] neg_hi:[0,1,0]
	ds_write_b64 v8, v[26:27]
	v_add_u32_e32 v8, 32, v8
	s_andn2_b64 exec, exec, s[10:11]
	s_cbranch_execnz .LBB48_134
	s_branch .LBB48_111
.LBB48_135:
	s_and_saveexec_b64 s[2:3], s[0:1]
	s_cbranch_execz .LBB48_144
; %bb.136:
	s_mul_i32 s33, s33, s48
	v_add_u32_e32 v2, s33, v0
	s_cmp_lg_u32 s49, 0
	v_mul_lo_u32 v4, v2, s48
	v_mul_u32_u24_e32 v2, 0x88, v0
	s_movk_i32 s6, 0x1100
	v_cmp_gt_i32_e64 s[0:1], s48, v0
	s_cselect_b64 s[4:5], -1, 0
	v_add3_u32 v5, v2, v16, s6
	s_mov_b64 s[6:7], 0
	v_mov_b32_e32 v6, v1
	s_branch .LBB48_140
.LBB48_137:                             ;   in Loop: Header=BB48_140 Depth=1
	v_add_u32_e32 v2, v4, v6
.LBB48_138:                             ;   in Loop: Header=BB48_140 Depth=1
	ds_read_b64 v[8:9], v5
	v_ashrrev_i32_e32 v3, 31, v2
	v_lshl_add_u64 v[2:3], v[2:3], 3, s[26:27]
	s_waitcnt lgkmcnt(0)
	global_store_dwordx2 v[2:3], v[8:9], off
.LBB48_139:                             ;   in Loop: Header=BB48_140 Depth=1
	s_or_b64 exec, exec, s[8:9]
	v_add_u32_e32 v6, 4, v6
	v_cmp_le_i32_e32 vcc, s48, v6
	s_or_b64 s[6:7], vcc, s[6:7]
	v_add_u32_e32 v5, 32, v5
	s_andn2_b64 exec, exec, s[6:7]
	s_cbranch_execz .LBB48_144
.LBB48_140:                             ; =>This Inner Loop Header: Depth=1
	s_and_saveexec_b64 s[8:9], s[0:1]
	s_cbranch_execz .LBB48_139
; %bb.141:                              ;   in Loop: Header=BB48_140 Depth=1
	s_and_b64 vcc, exec, s[4:5]
	s_cbranch_vccz .LBB48_143
; %bb.142:                              ;   in Loop: Header=BB48_140 Depth=1
	v_add_u32_e32 v2, s33, v6
	v_mad_u64_u32 v[2:3], s[10:11], v2, s48, v[0:1]
	s_cbranch_execnz .LBB48_138
	s_branch .LBB48_137
.LBB48_143:                             ;   in Loop: Header=BB48_140 Depth=1
                                        ; implicit-def: $vgpr2
	s_branch .LBB48_137
.LBB48_144:
	s_or_b64 exec, exec, s[2:3]
	v_or_b32_e32 v2, v1, v0
	v_cmp_eq_u32_e32 vcc, 0, v2
	s_and_saveexec_b64 s[0:1], vcc
	s_cbranch_execz .LBB48_146
; %bb.145:
	s_add_u32 s2, s14, s16
	s_addc_u32 s3, s15, s17
	v_mov_b32_e32 v2, 0
	v_mov_b32_e32 v3, 1
	buffer_wbl2 sc1
	s_waitcnt vmcnt(0)
	global_store_dword v2, v3, s[2:3] sc1
.LBB48_146:
	s_or_b64 exec, exec, s[0:1]
.LBB48_147:
	s_endpgm
.LBB48_148:
	s_cbranch_execz .LBB48_147
; %bb.149:
	v_or_b32_e32 v0, v1, v0
	v_cmp_eq_u32_e32 vcc, 0, v0
	s_and_saveexec_b64 s[0:1], vcc
	s_cbranch_execz .LBB48_147
; %bb.150:
	v_mbcnt_lo_u32_b32 v0, exec_lo, 0
	v_mbcnt_hi_u32_b32 v0, exec_hi, v0
	v_cmp_eq_u32_e32 vcc, 0, v0
	s_and_saveexec_b64 s[0:1], vcc
	s_cbranch_execz .LBB48_152
; %bb.151:
	s_add_i32 s2, s24, s25
	v_mov_b32_e32 v0, 0
	v_mov_b32_e32 v1, s2
	global_atomic_smin v0, v1, s[18:19]
.LBB48_152:
	s_or_b64 exec, exec, s[0:1]
	s_add_u32 s0, s14, s16
	s_addc_u32 s1, s15, s17
	v_mov_b32_e32 v0, 0
	v_mov_b32_e32 v1, 1
	buffer_wbl2 sc1
	s_waitcnt vmcnt(0)
	global_store_dword v0, v1, s[0:1] sc1
	s_endpgm
	.section	.rodata,"a",@progbits
	.p2align	6, 0x0
	.amdhsa_kernel _ZN9rocsparseL18bsric0_9_16_kernelILi64ELi32ELi16E21rocsparse_complex_numIfEEEv20rocsparse_direction_iiPKiS5_PT2_S5_PiS5_S8_21rocsparse_index_base_
		.amdhsa_group_segment_fixed_size 9088
		.amdhsa_private_segment_fixed_size 0
		.amdhsa_kernarg_size 76
		.amdhsa_user_sgpr_count 2
		.amdhsa_user_sgpr_dispatch_ptr 0
		.amdhsa_user_sgpr_queue_ptr 0
		.amdhsa_user_sgpr_kernarg_segment_ptr 1
		.amdhsa_user_sgpr_dispatch_id 0
		.amdhsa_user_sgpr_kernarg_preload_length 0
		.amdhsa_user_sgpr_kernarg_preload_offset 0
		.amdhsa_user_sgpr_private_segment_size 0
		.amdhsa_uses_dynamic_stack 0
		.amdhsa_enable_private_segment 0
		.amdhsa_system_sgpr_workgroup_id_x 1
		.amdhsa_system_sgpr_workgroup_id_y 0
		.amdhsa_system_sgpr_workgroup_id_z 0
		.amdhsa_system_sgpr_workgroup_info 0
		.amdhsa_system_vgpr_workitem_id 1
		.amdhsa_next_free_vgpr 81
		.amdhsa_next_free_sgpr 96
		.amdhsa_accum_offset 44
		.amdhsa_reserve_vcc 1
		.amdhsa_float_round_mode_32 0
		.amdhsa_float_round_mode_16_64 0
		.amdhsa_float_denorm_mode_32 3
		.amdhsa_float_denorm_mode_16_64 3
		.amdhsa_dx10_clamp 1
		.amdhsa_ieee_mode 1
		.amdhsa_fp16_overflow 0
		.amdhsa_tg_split 0
		.amdhsa_exception_fp_ieee_invalid_op 0
		.amdhsa_exception_fp_denorm_src 0
		.amdhsa_exception_fp_ieee_div_zero 0
		.amdhsa_exception_fp_ieee_overflow 0
		.amdhsa_exception_fp_ieee_underflow 0
		.amdhsa_exception_fp_ieee_inexact 0
		.amdhsa_exception_int_div_zero 0
	.end_amdhsa_kernel
	.section	.text._ZN9rocsparseL18bsric0_9_16_kernelILi64ELi32ELi16E21rocsparse_complex_numIfEEEv20rocsparse_direction_iiPKiS5_PT2_S5_PiS5_S8_21rocsparse_index_base_,"axG",@progbits,_ZN9rocsparseL18bsric0_9_16_kernelILi64ELi32ELi16E21rocsparse_complex_numIfEEEv20rocsparse_direction_iiPKiS5_PT2_S5_PiS5_S8_21rocsparse_index_base_,comdat
.Lfunc_end48:
	.size	_ZN9rocsparseL18bsric0_9_16_kernelILi64ELi32ELi16E21rocsparse_complex_numIfEEEv20rocsparse_direction_iiPKiS5_PT2_S5_PiS5_S8_21rocsparse_index_base_, .Lfunc_end48-_ZN9rocsparseL18bsric0_9_16_kernelILi64ELi32ELi16E21rocsparse_complex_numIfEEEv20rocsparse_direction_iiPKiS5_PT2_S5_PiS5_S8_21rocsparse_index_base_
                                        ; -- End function
	.set _ZN9rocsparseL18bsric0_9_16_kernelILi64ELi32ELi16E21rocsparse_complex_numIfEEEv20rocsparse_direction_iiPKiS5_PT2_S5_PiS5_S8_21rocsparse_index_base_.num_vgpr, 44
	.set _ZN9rocsparseL18bsric0_9_16_kernelILi64ELi32ELi16E21rocsparse_complex_numIfEEEv20rocsparse_direction_iiPKiS5_PT2_S5_PiS5_S8_21rocsparse_index_base_.num_agpr, 0
	.set _ZN9rocsparseL18bsric0_9_16_kernelILi64ELi32ELi16E21rocsparse_complex_numIfEEEv20rocsparse_direction_iiPKiS5_PT2_S5_PiS5_S8_21rocsparse_index_base_.numbered_sgpr, 58
	.set _ZN9rocsparseL18bsric0_9_16_kernelILi64ELi32ELi16E21rocsparse_complex_numIfEEEv20rocsparse_direction_iiPKiS5_PT2_S5_PiS5_S8_21rocsparse_index_base_.num_named_barrier, 0
	.set _ZN9rocsparseL18bsric0_9_16_kernelILi64ELi32ELi16E21rocsparse_complex_numIfEEEv20rocsparse_direction_iiPKiS5_PT2_S5_PiS5_S8_21rocsparse_index_base_.private_seg_size, 0
	.set _ZN9rocsparseL18bsric0_9_16_kernelILi64ELi32ELi16E21rocsparse_complex_numIfEEEv20rocsparse_direction_iiPKiS5_PT2_S5_PiS5_S8_21rocsparse_index_base_.uses_vcc, 1
	.set _ZN9rocsparseL18bsric0_9_16_kernelILi64ELi32ELi16E21rocsparse_complex_numIfEEEv20rocsparse_direction_iiPKiS5_PT2_S5_PiS5_S8_21rocsparse_index_base_.uses_flat_scratch, 0
	.set _ZN9rocsparseL18bsric0_9_16_kernelILi64ELi32ELi16E21rocsparse_complex_numIfEEEv20rocsparse_direction_iiPKiS5_PT2_S5_PiS5_S8_21rocsparse_index_base_.has_dyn_sized_stack, 0
	.set _ZN9rocsparseL18bsric0_9_16_kernelILi64ELi32ELi16E21rocsparse_complex_numIfEEEv20rocsparse_direction_iiPKiS5_PT2_S5_PiS5_S8_21rocsparse_index_base_.has_recursion, 0
	.set _ZN9rocsparseL18bsric0_9_16_kernelILi64ELi32ELi16E21rocsparse_complex_numIfEEEv20rocsparse_direction_iiPKiS5_PT2_S5_PiS5_S8_21rocsparse_index_base_.has_indirect_call, 0
	.section	.AMDGPU.csdata,"",@progbits
; Kernel info:
; codeLenInByte = 5056
; TotalNumSgprs: 64
; NumVgprs: 44
; NumAgprs: 0
; TotalNumVgprs: 44
; ScratchSize: 0
; MemoryBound: 0
; FloatMode: 240
; IeeeMode: 1
; LDSByteSize: 9088 bytes/workgroup (compile time only)
; SGPRBlocks: 12
; VGPRBlocks: 10
; NumSGPRsForWavesPerEU: 102
; NumVGPRsForWavesPerEU: 81
; AccumOffset: 44
; Occupancy: 5
; WaveLimiterHint : 1
; COMPUTE_PGM_RSRC2:SCRATCH_EN: 0
; COMPUTE_PGM_RSRC2:USER_SGPR: 2
; COMPUTE_PGM_RSRC2:TRAP_HANDLER: 0
; COMPUTE_PGM_RSRC2:TGID_X_EN: 1
; COMPUTE_PGM_RSRC2:TGID_Y_EN: 0
; COMPUTE_PGM_RSRC2:TGID_Z_EN: 0
; COMPUTE_PGM_RSRC2:TIDIG_COMP_CNT: 1
; COMPUTE_PGM_RSRC3_GFX90A:ACCUM_OFFSET: 10
; COMPUTE_PGM_RSRC3_GFX90A:TG_SPLIT: 0
	.section	.text._ZN9rocsparseL19bsric0_17_32_kernelILi64ELi32ELi32E21rocsparse_complex_numIfEEEv20rocsparse_direction_iiPKiS5_PT2_S5_PiS5_S8_21rocsparse_index_base_,"axG",@progbits,_ZN9rocsparseL19bsric0_17_32_kernelILi64ELi32ELi32E21rocsparse_complex_numIfEEEv20rocsparse_direction_iiPKiS5_PT2_S5_PiS5_S8_21rocsparse_index_base_,comdat
	.globl	_ZN9rocsparseL19bsric0_17_32_kernelILi64ELi32ELi32E21rocsparse_complex_numIfEEEv20rocsparse_direction_iiPKiS5_PT2_S5_PiS5_S8_21rocsparse_index_base_ ; -- Begin function _ZN9rocsparseL19bsric0_17_32_kernelILi64ELi32ELi32E21rocsparse_complex_numIfEEEv20rocsparse_direction_iiPKiS5_PT2_S5_PiS5_S8_21rocsparse_index_base_
	.p2align	8
	.type	_ZN9rocsparseL19bsric0_17_32_kernelILi64ELi32ELi32E21rocsparse_complex_numIfEEEv20rocsparse_direction_iiPKiS5_PT2_S5_PiS5_S8_21rocsparse_index_base_,@function
_ZN9rocsparseL19bsric0_17_32_kernelILi64ELi32ELi32E21rocsparse_complex_numIfEEEv20rocsparse_direction_iiPKiS5_PT2_S5_PiS5_S8_21rocsparse_index_base_: ; @_ZN9rocsparseL19bsric0_17_32_kernelILi64ELi32ELi32E21rocsparse_complex_numIfEEEv20rocsparse_direction_iiPKiS5_PT2_S5_PiS5_S8_21rocsparse_index_base_
; %bb.0:
	s_load_dwordx8 s[12:19], s[0:1], 0x28
	s_mov_b32 s3, 0
	s_lshl_b64 s[2:3], s[2:3], 2
	v_and_b32_e32 v1, 0x3ff, v0
	v_bfe_u32 v0, v0, 10, 10
	s_waitcnt lgkmcnt(0)
	s_add_u32 s2, s16, s2
	s_addc_u32 s3, s17, s3
	s_load_dword s24, s[2:3], 0x0
	s_waitcnt lgkmcnt(0)
	s_ashr_i32 s25, s24, 31
	s_lshl_b64 s[16:17], s[24:25], 2
	s_add_u32 s2, s12, s16
	s_addc_u32 s3, s13, s17
	s_load_dword s33, s[2:3], 0x0
	s_load_dword s25, s[0:1], 0x48
	s_waitcnt lgkmcnt(0)
	s_cmp_lg_u32 s33, -1
	s_cbranch_scc0 .LBB49_138
; %bb.1:
	s_load_dwordx4 s[20:23], s[0:1], 0x10
	s_load_dwordx2 s[26:27], s[0:1], 0x20
	v_lshlrev_b32_e32 v2, 1, v0
	v_lshlrev_b32_e32 v17, 3, v0
	s_waitcnt lgkmcnt(0)
	s_add_u32 s2, s20, s16
	s_addc_u32 s3, s21, s17
	s_load_dword s2, s[2:3], 0x0
	s_waitcnt lgkmcnt(0)
	s_sub_i32 s52, s2, s25
	v_add3_u32 v2, v2, v1, s52
	v_cmp_ge_i32_e32 vcc, s33, v2
	s_and_saveexec_b64 s[2:3], vcc
	s_cbranch_execz .LBB49_4
; %bb.2:
	v_lshlrev_b32_e32 v3, 2, v1
	s_movk_i32 s4, 0x6400
	v_add3_u32 v4, v17, v3, s4
	s_mov_b64 s[4:5], 0
.LBB49_3:                               ; =>This Inner Loop Header: Depth=1
	v_ashrrev_i32_e32 v3, 31, v2
	v_lshl_add_u64 v[6:7], v[2:3], 2, s[22:23]
	global_load_dword v3, v[6:7], off
	v_add_u32_e32 v2, 64, v2
	v_cmp_lt_i32_e32 vcc, s33, v2
	s_or_b64 s[4:5], vcc, s[4:5]
	s_waitcnt vmcnt(0)
	v_subrev_u32_e32 v3, s25, v3
	ds_write_b32 v4, v3
	v_add_u32_e32 v4, 0x100, v4
	s_andn2_b64 exec, exec, s[4:5]
	s_cbranch_execnz .LBB49_3
.LBB49_4:
	s_or_b64 exec, exec, s[2:3]
	v_cmp_gt_u32_e32 vcc, 32, v1
	v_lshlrev_b32_e32 v16, 3, v1
	s_and_saveexec_b64 s[2:3], vcc
	s_cbranch_execz .LBB49_7
; %bb.5:
	v_mul_u32_u24_e32 v3, 0x108, v0
	v_lshlrev_b32_e32 v4, 3, v1
	s_movk_i32 s4, 0x4200
	v_add3_u32 v3, v3, v4, s4
	v_mov_b32_e32 v4, 0
	v_add_u32_e32 v2, -2, v1
	s_mov_b64 s[4:5], 0
	v_mov_b32_e32 v5, v4
.LBB49_6:                               ; =>This Inner Loop Header: Depth=1
	v_add_u32_e32 v2, 2, v2
	v_cmp_lt_u32_e32 vcc, 29, v2
	ds_write_b64 v3, v[4:5]
	s_or_b64 s[4:5], vcc, s[4:5]
	v_add_u32_e32 v3, 16, v3
	s_andn2_b64 exec, exec, s[4:5]
	s_cbranch_execnz .LBB49_6
.LBB49_7:
	s_or_b64 exec, exec, s[2:3]
	s_load_dword s50, s[0:1], 0x8
	s_load_dword s51, s[0:1], 0x0
	s_cmp_ge_i32 s52, s33
	s_waitcnt lgkmcnt(0)
	v_cmp_gt_i32_e64 s[0:1], s50, v1
	v_xad_u32 v18, v1, -1, s50
	s_cbranch_scc1 .LBB49_86
; %bb.8:
	v_or_b32_e32 v3, v1, v0
	v_cmp_ne_u32_e64 s[4:5], 0, v3
	v_lshrrev_b32_e32 v3, 1, v18
	s_cmp_eq_u32 s51, 0
	s_movk_i32 s10, 0x108
	v_mov_b32_e32 v2, 0x2100
	v_add_u32_e32 v3, 1, v3
	s_cselect_b64 s[28:29], -1, 0
	s_cmp_lg_u32 s51, 0
	v_mad_u32_u24 v20, v0, s10, v2
	v_and_b32_e32 v22, -2, v3
	v_lshlrev_b32_e32 v24, 3, v1
	s_mul_i32 s11, s50, s52
	v_mad_u32_u24 v29, v1, s10, v2
	v_mov_b32_e32 v2, 0x4200
	s_cselect_b64 s[30:31], -1, 0
	s_cmp_gt_i32 s50, 0
	v_lshl_add_u32 v23, v22, 1, v1
	v_cmp_ne_u32_e64 s[8:9], v3, v22
	v_mad_u32_u24 v25, v0, s10, v24
	v_add_u32_e32 v3, s11, v0
	v_mad_u32_u24 v31, v0, s10, v2
	v_mov_b32_e32 v2, 0
	s_mul_i32 s53, s50, s50
	v_cmp_gt_i32_e64 s[2:3], s50, v0
	v_mul_u32_u24_e32 v19, 0x108, v0
	v_mul_lo_u32 v21, s50, v0
	s_cselect_b64 s[34:35], -1, 0
	v_cmp_lt_u32_e64 s[6:7], 1, v18
	v_mul_lo_u32 v27, s50, v3
	v_mul_lo_u32 v26, v1, s50
	s_lshl_b32 s54, s50, 1
	v_mul_u32_u24_e32 v28, 0x108, v1
	v_add_u32_e32 v30, 0x4200, v25
	v_add_u32_e32 v32, 0x2100, v25
	v_lshlrev_b32_e32 v33, 3, v23
	v_mul_lo_u32 v34, v23, s10
	v_mov_b32_e32 v4, 0
	v_mov_b32_e32 v5, v2
	s_mov_b32 s36, s52
	s_branch .LBB49_10
.LBB49_9:                               ;   in Loop: Header=BB49_10 Depth=1
	s_or_b64 exec, exec, s[10:11]
	s_add_i32 s36, s36, 1
	s_cmp_ge_i32 s36, s33
	buffer_wbl2 sc1
	s_waitcnt vmcnt(0)
	buffer_inv sc1
	v_add_u32_e32 v27, s53, v27
	s_cselect_b64 s[10:11], -1, 0
	s_and_b64 vcc, exec, s[10:11]
	s_cbranch_vccnz .LBB49_86
.LBB49_10:                              ; =>This Loop Header: Depth=1
                                        ;     Child Loop BB49_14 Depth 2
                                        ;     Child Loop BB49_26 Depth 2
	;; [unrolled: 1-line block ×4, first 2 shown]
                                        ;       Child Loop BB49_43 Depth 3
                                        ;         Child Loop BB49_48 Depth 4
                                        ;     Child Loop BB49_57 Depth 2
                                        ;       Child Loop BB49_64 Depth 3
                                        ;       Child Loop BB49_69 Depth 3
	;; [unrolled: 1-line block ×3, first 2 shown]
                                        ;     Child Loop BB49_80 Depth 2
	s_ashr_i32 s37, s36, 31
	s_lshl_b64 s[10:11], s[36:37], 2
	s_add_u32 s10, s22, s10
	s_addc_u32 s11, s23, s11
	s_load_dword s55, s[10:11], 0x0
	s_waitcnt lgkmcnt(0)
	s_sub_i32 s38, s55, s25
	s_ashr_i32 s39, s38, 31
	s_lshl_b64 s[10:11], s[38:39], 2
	s_add_u32 s40, s12, s10
	s_addc_u32 s41, s13, s11
	s_load_dword s56, s[40:41], 0x0
	s_waitcnt lgkmcnt(0)
	s_cmp_eq_u32 s56, -1
	s_cbranch_scc1 .LBB49_85
; %bb.11:                               ;   in Loop: Header=BB49_10 Depth=1
	s_add_u32 s40, s20, s10
	s_addc_u32 s41, s21, s11
	s_load_dword s39, s[40:41], 0x0
	s_mul_i32 s37, s36, s50
	s_and_saveexec_b64 s[40:41], s[0:1]
	s_cbranch_execz .LBB49_24
; %bb.12:                               ;   in Loop: Header=BB49_10 Depth=1
	s_mov_b64 s[42:43], 0
	v_mov_b32_e32 v3, v25
	v_mov_b32_e32 v8, v1
	s_branch .LBB49_14
.LBB49_13:                              ;   in Loop: Header=BB49_14 Depth=2
	s_or_b64 exec, exec, s[46:47]
	v_add_u32_e32 v8, 2, v8
	v_cmp_le_i32_e32 vcc, s50, v8
	s_waitcnt vmcnt(0)
	ds_write_b64 v3, v[10:11] offset:8448
	ds_write_b64 v3, v[4:5]
	s_or_b64 s[42:43], vcc, s[42:43]
	v_add_u32_e32 v3, 16, v3
	s_andn2_b64 exec, exec, s[42:43]
	s_cbranch_execz .LBB49_24
.LBB49_14:                              ;   Parent Loop BB49_10 Depth=1
                                        ; =>  This Inner Loop Header: Depth=2
	s_mov_b64 s[46:47], -1
	s_and_b64 vcc, exec, s[30:31]
	s_mov_b64 s[44:45], 0
                                        ; implicit-def: $vgpr6
	s_cbranch_vccz .LBB49_19
; %bb.15:                               ;   in Loop: Header=BB49_14 Depth=2
	s_mov_b64 s[46:47], 0
                                        ; implicit-def: $vgpr6
	s_and_saveexec_b64 s[48:49], s[2:3]
	s_xor_b64 s[48:49], exec, s[48:49]
; %bb.16:                               ;   in Loop: Header=BB49_14 Depth=2
	v_add_u32_e32 v6, s37, v8
	s_mov_b64 s[44:45], exec
	v_mad_u64_u32 v[6:7], s[58:59], v6, s50, v[0:1]
; %bb.17:                               ;   in Loop: Header=BB49_14 Depth=2
	s_or_b64 exec, exec, s[48:49]
	s_and_b64 vcc, exec, s[46:47]
	s_cbranch_vccnz .LBB49_20
.LBB49_18:                              ;   in Loop: Header=BB49_14 Depth=2
	v_mov_b32_e32 v10, 0
	v_mov_b32_e32 v11, 0
	s_and_saveexec_b64 s[46:47], s[44:45]
	s_cbranch_execz .LBB49_13
	s_branch .LBB49_23
.LBB49_19:                              ;   in Loop: Header=BB49_14 Depth=2
	s_and_b64 vcc, exec, s[46:47]
	s_cbranch_vccz .LBB49_18
.LBB49_20:                              ;   in Loop: Header=BB49_14 Depth=2
                                        ; implicit-def: $vgpr6
	s_and_saveexec_b64 s[46:47], s[2:3]
; %bb.21:                               ;   in Loop: Header=BB49_14 Depth=2
	v_add_u32_e32 v6, v27, v8
	s_or_b64 s[44:45], s[44:45], exec
; %bb.22:                               ;   in Loop: Header=BB49_14 Depth=2
	s_or_b64 exec, exec, s[46:47]
	v_mov_b32_e32 v10, 0
	v_mov_b32_e32 v11, 0
	s_and_saveexec_b64 s[46:47], s[44:45]
	s_cbranch_execz .LBB49_13
.LBB49_23:                              ;   in Loop: Header=BB49_14 Depth=2
	v_ashrrev_i32_e32 v7, 31, v6
	v_lshl_add_u64 v[6:7], v[6:7], 3, s[26:27]
	global_load_dwordx2 v[10:11], v[6:7], off
	s_branch .LBB49_13
.LBB49_24:                              ;   in Loop: Header=BB49_10 Depth=1
	s_or_b64 exec, exec, s[40:41]
	ds_read_b32 v3, v2 offset:25600
	s_waitcnt lgkmcnt(0)
	s_sub_i32 s40, s39, s25
	s_cmp_le_i32 s40, s56
	s_cselect_b64 s[42:43], -1, 0
	s_mov_b32 s41, 0
	v_cmp_ge_i32_e32 vcc, s38, v3
	s_and_b64 s[42:43], s[42:43], vcc
	s_andn2_b64 vcc, exec, s[42:43]
	s_cbranch_vccnz .LBB49_36
; %bb.25:                               ;   in Loop: Header=BB49_10 Depth=1
	s_mov_b32 s39, 0
	s_mov_b32 s44, 0
.LBB49_26:                              ;   Parent Loop BB49_10 Depth=1
                                        ; =>  This Inner Loop Header: Depth=2
	s_ashr_i32 s41, s40, 31
	s_lshl_b64 s[42:43], s[40:41], 2
	s_add_u32 s42, s22, s42
	s_addc_u32 s43, s23, s43
	s_load_dword s41, s[42:43], 0x0
	s_lshl_b32 s42, s44, 2
	v_mov_b32_e32 v3, s42
	ds_read_b32 v3, v3 offset:25600
	s_mov_b64 s[42:43], -1
	s_waitcnt lgkmcnt(0)
	s_sub_i32 s48, s41, s25
                                        ; implicit-def: $sgpr41
                                        ; implicit-def: $sgpr47
                                        ; implicit-def: $sgpr46
	v_cmp_ge_i32_e32 vcc, s48, v3
	v_readfirstlane_b32 s45, v3
	s_cbranch_vccz .LBB49_32
; %bb.27:                               ;   in Loop: Header=BB49_26 Depth=2
	s_cmp_le_i32 s48, s45
                                        ; implicit-def: $sgpr41
                                        ; implicit-def: $sgpr47
                                        ; implicit-def: $sgpr46
	s_cbranch_scc0 .LBB49_29
; %bb.28:                               ;   in Loop: Header=BB49_26 Depth=2
	s_add_i32 s41, s44, s52
	s_mul_i32 s41, s41, s53
	s_lshl_b32 s42, s39, 2
	v_mov_b32_e32 v3, s42
	v_mov_b32_e32 v6, s41
	s_mul_i32 s41, s40, s53
	v_mov_b32_e32 v7, s41
	v_add_u32_e32 v3, 0x6000, v3
	ds_write2_b32 v3, v7, v6 offset0:192 offset1:224
	s_add_i32 s46, s44, 1
	s_add_i32 s47, s40, 1
	;; [unrolled: 1-line block ×3, first 2 shown]
	s_mov_b64 s[42:43], 0
.LBB49_29:                              ;   in Loop: Header=BB49_26 Depth=2
	s_andn2_b64 vcc, exec, s[42:43]
	s_cbranch_vccnz .LBB49_31
; %bb.30:                               ;   in Loop: Header=BB49_26 Depth=2
	s_add_i32 s46, s44, 1
	s_mov_b32 s41, s39
	s_mov_b32 s47, s40
.LBB49_31:                              ;   in Loop: Header=BB49_26 Depth=2
	s_mov_b64 s[42:43], 0
.LBB49_32:                              ;   in Loop: Header=BB49_26 Depth=2
	s_andn2_b64 vcc, exec, s[42:43]
	s_cbranch_vccnz .LBB49_34
; %bb.33:                               ;   in Loop: Header=BB49_26 Depth=2
	s_add_i32 s47, s40, 1
	s_mov_b32 s46, s44
	s_mov_b32 s41, s39
.LBB49_34:                              ;   in Loop: Header=BB49_26 Depth=2
	s_cmp_le_i32 s47, s56
	s_cselect_b64 s[42:43], -1, 0
	s_cmp_le_i32 s45, s38
	s_cselect_b64 s[44:45], -1, 0
	s_and_b64 s[42:43], s[42:43], s[44:45]
	s_and_b64 vcc, exec, s[42:43]
	s_cbranch_vccz .LBB49_36
; %bb.35:                               ;   in Loop: Header=BB49_26 Depth=2
	s_mov_b32 s39, s41
	s_mov_b32 s40, s47
	;; [unrolled: 1-line block ×3, first 2 shown]
	s_branch .LBB49_26
.LBB49_36:                              ;   in Loop: Header=BB49_10 Depth=1
	s_add_u32 s10, s14, s10
	s_addc_u32 s11, s15, s11
	s_waitcnt lgkmcnt(0)
.LBB49_37:                              ;   Parent Loop BB49_10 Depth=1
                                        ; =>  This Inner Loop Header: Depth=2
	global_load_dword v3, v2, s[10:11] sc1
	s_waitcnt vmcnt(0)
	v_cmp_eq_u32_e32 vcc, 0, v3
	s_cbranch_vccnz .LBB49_37
; %bb.38:                               ;   in Loop: Header=BB49_10 Depth=1
	s_cmp_lt_i32 s41, 2
	buffer_inv sc1
	s_cbranch_scc1 .LBB49_54
; %bb.39:                               ;   in Loop: Header=BB49_10 Depth=1
	s_add_i32 s42, s41, -2
	s_mov_b32 s43, 0
	s_branch .LBB49_41
.LBB49_40:                              ;   in Loop: Header=BB49_41 Depth=2
	s_or_b64 exec, exec, s[10:11]
	s_add_i32 s10, s43, 1
	s_cmp_eq_u32 s43, s42
	s_mov_b32 s43, s10
	s_cbranch_scc1 .LBB49_54
.LBB49_41:                              ;   Parent Loop BB49_10 Depth=1
                                        ; =>  This Loop Header: Depth=2
                                        ;       Child Loop BB49_43 Depth 3
                                        ;         Child Loop BB49_48 Depth 4
	s_and_saveexec_b64 s[10:11], s[0:1]
	s_cbranch_execz .LBB49_40
; %bb.42:                               ;   in Loop: Header=BB49_41 Depth=2
	s_lshl_b32 s38, s43, 2
	v_mov_b32_e32 v3, s38
	v_add_u32_e32 v3, 0x6000, v3
	ds_read2_b32 v[6:7], v3 offset0:192 offset1:224
	s_mov_b64 s[38:39], 0
	v_mov_b32_e32 v39, v1
	s_waitcnt lgkmcnt(0)
	v_add_u32_e32 v35, v7, v21
	v_add_u32_e32 v36, v0, v7
	;; [unrolled: 1-line block ×4, first 2 shown]
.LBB49_43:                              ;   Parent Loop BB49_10 Depth=1
                                        ;     Parent Loop BB49_41 Depth=2
                                        ; =>    This Loop Header: Depth=3
                                        ;         Child Loop BB49_48 Depth 4
	v_mov_b32_e32 v3, v2
	s_mov_b32 s44, 0
	v_mov_b32_e32 v6, v37
	v_mov_b32_e32 v8, v36
	v_mov_b64_e32 v[10:11], v[2:3]
	s_mov_b64 s[40:41], -1
	s_and_b64 vcc, exec, s[30:31]
                                        ; implicit-def: $vgpr12_vgpr13
	s_cbranch_vccz .LBB49_48
	s_branch .LBB49_45
.LBB49_44:                              ;   in Loop: Header=BB49_48 Depth=4
	v_mov_b64_e32 v[10:11], v[12:13]
	s_mov_b64 s[40:41], -1
	s_and_b64 vcc, exec, s[30:31]
                                        ; implicit-def: $vgpr12_vgpr13
	s_cbranch_vccz .LBB49_48
.LBB49_45:                              ;   in Loop: Header=BB49_43 Depth=3
	v_ashrrev_i32_e32 v7, 31, v6
	v_lshl_add_u64 v[12:13], v[6:7], 3, s[26:27]
	global_load_dwordx2 v[12:13], v[12:13], off
	v_mov_b32_e32 v14, 0
	v_mov_b32_e32 v15, 0
	s_and_saveexec_b64 s[40:41], s[2:3]
	s_cbranch_execz .LBB49_47
; %bb.46:                               ;   in Loop: Header=BB49_43 Depth=3
	v_ashrrev_i32_e32 v9, 31, v8
	v_lshl_add_u64 v[14:15], v[8:9], 3, s[26:27]
	global_load_dwordx2 v[14:15], v[14:15], off
.LBB49_47:                              ;   in Loop: Header=BB49_43 Depth=3
	s_or_b64 exec, exec, s[40:41]
	s_waitcnt vmcnt(0)
	v_pk_add_f32 v[42:43], v[14:15], 0 neg_lo:[1,1] neg_hi:[1,1]
	v_pk_fma_f32 v[40:41], v[12:13], v[14:15], v[10:11] op_sel_hi:[1,0,1]
	v_mov_b32_e32 v42, v15
	v_pk_fma_f32 v[12:13], v[12:13], v[42:43], v[40:41] op_sel:[1,0,0] op_sel_hi:[0,1,1]
	s_mov_b64 s[40:41], 0
.LBB49_48:                              ;   Parent Loop BB49_10 Depth=1
                                        ;     Parent Loop BB49_41 Depth=2
                                        ;       Parent Loop BB49_43 Depth=3
                                        ; =>      This Inner Loop Header: Depth=4
	s_and_b64 vcc, exec, s[40:41]
	s_cbranch_vccz .LBB49_52
; %bb.49:                               ;   in Loop: Header=BB49_48 Depth=4
	v_add_u32_e32 v12, s44, v38
	v_ashrrev_i32_e32 v13, 31, v12
	v_lshl_add_u64 v[12:13], v[12:13], 3, s[26:27]
	global_load_dwordx2 v[12:13], v[12:13], off
	v_mov_b32_e32 v14, 0
	v_mov_b32_e32 v15, 0
	s_and_saveexec_b64 s[40:41], s[2:3]
	s_cbranch_execz .LBB49_51
; %bb.50:                               ;   in Loop: Header=BB49_48 Depth=4
	v_add_u32_e32 v14, s44, v35
	v_ashrrev_i32_e32 v15, 31, v14
	v_lshl_add_u64 v[14:15], v[14:15], 3, s[26:27]
	global_load_dwordx2 v[14:15], v[14:15], off
.LBB49_51:                              ;   in Loop: Header=BB49_48 Depth=4
	s_or_b64 exec, exec, s[40:41]
	s_waitcnt vmcnt(0)
	v_pk_add_f32 v[40:41], v[14:15], 0 neg_lo:[1,1] neg_hi:[1,1]
	v_pk_fma_f32 v[10:11], v[12:13], v[14:15], v[10:11] op_sel_hi:[1,0,1]
	v_mov_b32_e32 v40, v15
	v_pk_fma_f32 v[12:13], v[12:13], v[40:41], v[10:11] op_sel:[1,0,0] op_sel_hi:[0,1,1]
.LBB49_52:                              ;   in Loop: Header=BB49_48 Depth=4
	s_add_i32 s44, s44, 1
	v_add_u32_e32 v8, s50, v8
	s_cmp_eq_u32 s50, s44
	v_add_u32_e32 v6, s50, v6
	s_cbranch_scc0 .LBB49_44
; %bb.53:                               ;   in Loop: Header=BB49_43 Depth=3
	v_lshl_add_u32 v3, v39, 3, v19
	ds_read_b64 v[6:7], v3
	v_add_u32_e32 v39, 2, v39
	v_cmp_le_i32_e32 vcc, s50, v39
	v_add_u32_e32 v37, 2, v37
	s_or_b64 s[38:39], vcc, s[38:39]
	s_waitcnt lgkmcnt(0)
	v_pk_add_f32 v[6:7], v[12:13], v[6:7]
	v_add_u32_e32 v38, s54, v38
	ds_write_b64 v3, v[6:7]
	s_andn2_b64 exec, exec, s[38:39]
	s_cbranch_execnz .LBB49_43
	s_branch .LBB49_40
.LBB49_54:                              ;   in Loop: Header=BB49_10 Depth=1
	s_andn2_b64 vcc, exec, s[34:35]
	s_waitcnt lgkmcnt(0)
	s_cbranch_vccnz .LBB49_76
; %bb.55:                               ;   in Loop: Header=BB49_10 Depth=1
	s_mul_i32 s44, s53, s56
	s_mov_b32 s45, 0
	v_mov_b32_e32 v15, s55
	v_mov_b32_e32 v3, v29
	s_mov_b32 s46, s44
	s_mov_b32 s47, 0
	s_branch .LBB49_57
.LBB49_56:                              ;   in Loop: Header=BB49_57 Depth=2
	s_or_b64 exec, exec, s[10:11]
	s_add_i32 s47, s47, 1
	s_add_i32 s46, s46, 1
	;; [unrolled: 1-line block ×3, first 2 shown]
	s_cmp_eq_u32 s47, s50
	v_add_u32_e32 v3, 8, v3
	s_waitcnt lgkmcnt(0)
	s_cbranch_scc1 .LBB49_76
.LBB49_57:                              ;   Parent Loop BB49_10 Depth=1
                                        ; =>  This Loop Header: Depth=2
                                        ;       Child Loop BB49_64 Depth 3
                                        ;       Child Loop BB49_69 Depth 3
	;; [unrolled: 1-line block ×3, first 2 shown]
	s_mul_i32 s40, s47, s50
	s_add_i32 s40, s40, s44
	s_add_i32 s10, s40, s47
	s_ashr_i32 s11, s10, 31
	s_lshl_b64 s[10:11], s[10:11], 3
	s_add_u32 s10, s26, s10
	s_addc_u32 s11, s27, s11
	global_load_dwordx2 v[10:11], v2, s[10:11]
	v_lshl_add_u32 v9, s47, 3, v20
	ds_read_b64 v[6:7], v9
	s_waitcnt vmcnt(0)
	v_cmp_neq_f32_e32 vcc, 0, v10
	v_cmp_neq_f32_e64 s[10:11], 0, v11
	s_or_b64 vcc, vcc, s[10:11]
	v_cndmask_b32_e32 v8, 1.0, v10, vcc
	s_nor_b64 s[38:39], vcc, s[4:5]
	v_cndmask_b32_e32 v10, 0, v11, vcc
	s_and_saveexec_b64 s[10:11], s[38:39]
	s_cbranch_execz .LBB49_61
; %bb.58:                               ;   in Loop: Header=BB49_57 Depth=2
	v_mbcnt_lo_u32_b32 v8, exec_lo, 0
	v_mbcnt_hi_u32_b32 v8, exec_hi, v8
	v_cmp_eq_u32_e32 vcc, 0, v8
	s_and_saveexec_b64 s[38:39], vcc
	s_cbranch_execz .LBB49_60
; %bb.59:                               ;   in Loop: Header=BB49_57 Depth=2
	global_atomic_smin v2, v15, s[18:19]
.LBB49_60:                              ;   in Loop: Header=BB49_57 Depth=2
	s_or_b64 exec, exec, s[38:39]
	v_mov_b32_e32 v10, 0
	v_mov_b32_e32 v8, 1.0
.LBB49_61:                              ;   in Loop: Header=BB49_57 Depth=2
	s_or_b64 exec, exec, s[10:11]
	v_lshl_add_u32 v11, s47, 3, v19
	ds_read_b64 v[12:13], v11
	s_cmp_eq_u32 s47, 0
	s_cbranch_scc1 .LBB49_66
; %bb.62:                               ;   in Loop: Header=BB49_57 Depth=2
	s_mov_b32 s38, 0
	s_mov_b32 s39, s47
	;; [unrolled: 1-line block ×3, first 2 shown]
	v_mov_b32_e32 v11, v20
	s_branch .LBB49_64
.LBB49_63:                              ;   in Loop: Header=BB49_64 Depth=3
	s_ashr_i32 s11, s10, 31
	s_lshl_b64 s[10:11], s[10:11], 3
	s_add_u32 s10, s26, s10
	s_addc_u32 s11, s27, s11
	global_load_dwordx2 v[36:37], v2, s[10:11]
	ds_read_b64 v[38:39], v11
	s_add_i32 s38, s38, 1
	s_add_i32 s41, s41, s50
	s_add_i32 s39, s39, -1
	s_cmp_eq_u32 s39, 0
	v_add_u32_e32 v11, 8, v11
	s_waitcnt vmcnt(0) lgkmcnt(0)
	v_pk_fma_f32 v[12:13], v[36:37], v[38:39], v[12:13] op_sel_hi:[1,0,1]
	s_nop 0
	v_pk_fma_f32 v[12:13], v[36:37], v[38:39], v[12:13] op_sel:[1,1,0] op_sel_hi:[0,1,1] neg_hi:[0,1,0]
	s_cbranch_scc1 .LBB49_66
.LBB49_64:                              ;   Parent Loop BB49_10 Depth=1
                                        ;     Parent Loop BB49_57 Depth=2
                                        ; =>    This Inner Loop Header: Depth=3
	s_andn2_b64 vcc, exec, s[28:29]
	s_mov_b32 s10, s41
	s_cbranch_vccnz .LBB49_63
; %bb.65:                               ;   in Loop: Header=BB49_64 Depth=3
	s_add_i32 s10, s38, s40
	s_branch .LBB49_63
.LBB49_66:                              ;   in Loop: Header=BB49_57 Depth=2
	v_mul_f32_e32 v11, v10, v10
	v_fmac_f32_e32 v11, v8, v8
	v_div_scale_f32 v14, s[10:11], v11, v11, 1.0
	v_rcp_f32_e32 v35, v14
	v_div_scale_f32 v36, vcc, 1.0, v11, 1.0
	s_waitcnt lgkmcnt(0)
	v_pk_add_f32 v[6:7], v[6:7], v[12:13] neg_lo:[0,1] neg_hi:[0,1]
	v_fma_f32 v37, -v14, v35, 1.0
	v_fmac_f32_e32 v35, v37, v35
	v_mul_f32_e32 v37, v36, v35
	v_fma_f32 v38, -v14, v37, v36
	v_fmac_f32_e32 v37, v38, v35
	v_fma_f32 v14, -v14, v37, v36
	v_div_fmas_f32 v14, v14, v35, v37
	v_xor_b32_e32 v13, 0x80000000, v6
	v_mov_b32_e32 v12, v7
	v_div_fixup_f32 v14, v14, v11, 1.0
	v_pk_mul_f32 v[10:11], v[10:11], v[12:13] op_sel_hi:[0,1]
	v_pk_fma_f32 v[6:7], v[6:7], v[8:9], v[10:11] op_sel_hi:[1,0,1]
	s_nop 0
	v_pk_mul_f32 v[6:7], v[14:15], v[6:7] op_sel_hi:[0,1]
	ds_write_b64 v9, v[6:7]
	s_waitcnt lgkmcnt(0)
	s_and_saveexec_b64 s[10:11], s[0:1]
	s_cbranch_execz .LBB49_56
; %bb.67:                               ;   in Loop: Header=BB49_57 Depth=2
	s_mov_b64 s[40:41], -1
	v_mov_b32_e32 v8, v1
	v_mov_b32_e32 v9, v24
	;; [unrolled: 1-line block ×3, first 2 shown]
	s_and_saveexec_b64 s[38:39], s[6:7]
	s_cbranch_execz .LBB49_73
; %bb.68:                               ;   in Loop: Header=BB49_57 Depth=2
	v_mov_b32_e32 v8, v6
	v_mov_b32_e32 v9, v6
	;; [unrolled: 1-line block ×4, first 2 shown]
	s_mov_b64 s[40:41], 0
	v_mov_b32_e32 v12, v22
	v_mov_b32_e32 v13, v30
	;; [unrolled: 1-line block ×3, first 2 shown]
.LBB49_69:                              ;   Parent Loop BB49_10 Depth=1
                                        ;     Parent Loop BB49_57 Depth=2
                                        ; =>    This Inner Loop Header: Depth=3
	ds_read2_b64 v[36:39], v14 offset1:66
	ds_read2_b64 v[40:43], v13 offset1:2
	v_add_u32_e32 v12, -2, v12
	v_cmp_eq_u32_e32 vcc, 0, v12
	v_add_u32_e32 v14, 0x420, v14
	s_waitcnt lgkmcnt(1)
	v_mov_b32_e32 v44, v36
	v_mov_b32_e32 v45, v38
	;; [unrolled: 1-line block ×3, first 2 shown]
	s_waitcnt lgkmcnt(0)
	v_mov_b32_e32 v36, v40
	v_mov_b32_e32 v37, v42
	;; [unrolled: 1-line block ×3, first 2 shown]
	v_pk_fma_f32 v[36:37], v[8:9], v[44:45], v[36:37]
	v_pk_fma_f32 v[40:41], v[10:11], v[44:45], v[42:43]
	;; [unrolled: 1-line block ×3, first 2 shown]
	v_pk_fma_f32 v[38:39], v[8:9], v[38:39], v[40:41] neg_lo:[0,1,0] neg_hi:[0,1,0]
	v_mov_b32_e32 v40, v36
	v_mov_b32_e32 v41, v38
	;; [unrolled: 1-line block ×3, first 2 shown]
	ds_write2_b64 v13, v[40:41], v[38:39] offset1:2
	s_or_b64 s[40:41], vcc, s[40:41]
	v_add_u32_e32 v13, 32, v13
	s_andn2_b64 exec, exec, s[40:41]
	s_cbranch_execnz .LBB49_69
; %bb.70:                               ;   in Loop: Header=BB49_57 Depth=2
	s_or_b64 exec, exec, s[40:41]
	s_mov_b64 s[40:41], 0
	s_and_saveexec_b64 s[42:43], s[8:9]
; %bb.71:                               ;   in Loop: Header=BB49_57 Depth=2
	s_mov_b64 s[40:41], exec
; %bb.72:                               ;   in Loop: Header=BB49_57 Depth=2
	s_or_b64 exec, exec, s[42:43]
	s_orn2_b64 s[40:41], s[40:41], exec
	v_mov_b32_e32 v8, v23
	v_mov_b32_e32 v9, v33
	;; [unrolled: 1-line block ×3, first 2 shown]
.LBB49_73:                              ;   in Loop: Header=BB49_57 Depth=2
	s_or_b64 exec, exec, s[38:39]
	s_and_b64 exec, exec, s[40:41]
	s_cbranch_execz .LBB49_56
; %bb.74:                               ;   in Loop: Header=BB49_57 Depth=2
	v_add_u32_e32 v9, v31, v9
	v_add_u32_e32 v10, s45, v10
	s_mov_b64 s[38:39], 0
.LBB49_75:                              ;   Parent Loop BB49_10 Depth=1
                                        ;     Parent Loop BB49_57 Depth=2
                                        ; =>    This Inner Loop Header: Depth=3
	ds_read_b64 v[12:13], v10 offset:8448
	ds_read_b64 v[36:37], v9
	v_add_u32_e32 v8, 2, v8
	v_cmp_le_i32_e32 vcc, s50, v8
	s_or_b64 s[38:39], vcc, s[38:39]
	v_add_u32_e32 v10, 0x210, v10
	s_waitcnt lgkmcnt(0)
	v_pk_fma_f32 v[36:37], v[6:7], v[12:13], v[36:37] op_sel_hi:[1,0,1]
	s_nop 0
	v_pk_fma_f32 v[12:13], v[6:7], v[12:13], v[36:37] op_sel:[0,1,1] op_sel_hi:[1,1,0] neg_lo:[0,1,0]
	s_nop 0
	v_pk_mov_b32 v[12:13], v[12:13], v[12:13] op_sel:[1,0]
	ds_write_b64 v9, v[12:13]
	v_add_u32_e32 v9, 16, v9
	s_andn2_b64 exec, exec, s[38:39]
	s_cbranch_execnz .LBB49_75
	s_branch .LBB49_56
.LBB49_76:                              ;   in Loop: Header=BB49_10 Depth=1
	s_and_saveexec_b64 s[10:11], s[0:1]
	s_cbranch_execz .LBB49_9
; %bb.77:                               ;   in Loop: Header=BB49_10 Depth=1
	s_mov_b64 s[38:39], 0
	v_mov_b32_e32 v3, v32
	v_mov_b32_e32 v8, v1
	s_branch .LBB49_80
.LBB49_78:                              ;   in Loop: Header=BB49_80 Depth=2
	ds_read_b64 v[10:11], v3
	v_ashrrev_i32_e32 v7, 31, v6
	v_lshl_add_u64 v[6:7], v[6:7], 3, s[26:27]
	s_waitcnt lgkmcnt(0)
	global_store_dwordx2 v[6:7], v[10:11], off
.LBB49_79:                              ;   in Loop: Header=BB49_80 Depth=2
	s_or_b64 exec, exec, s[40:41]
	v_add_u32_e32 v8, 2, v8
	v_cmp_le_i32_e32 vcc, s50, v8
	s_or_b64 s[38:39], vcc, s[38:39]
	v_add_u32_e32 v3, 16, v3
	s_andn2_b64 exec, exec, s[38:39]
	s_cbranch_execz .LBB49_9
.LBB49_80:                              ;   Parent Loop BB49_10 Depth=1
                                        ; =>  This Inner Loop Header: Depth=2
	s_and_saveexec_b64 s[40:41], s[2:3]
	s_cbranch_execz .LBB49_79
; %bb.81:                               ;   in Loop: Header=BB49_80 Depth=2
	s_mov_b64 s[42:43], -1
	s_and_b64 vcc, exec, s[30:31]
                                        ; implicit-def: $vgpr6
	s_cbranch_vccz .LBB49_83
; %bb.82:                               ;   in Loop: Header=BB49_80 Depth=2
	v_add_u32_e32 v6, s37, v8
	v_mad_u64_u32 v[6:7], s[42:43], v6, s50, v[0:1]
	s_mov_b64 s[42:43], 0
.LBB49_83:                              ;   in Loop: Header=BB49_80 Depth=2
	s_andn2_b64 vcc, exec, s[42:43]
	s_cbranch_vccnz .LBB49_78
; %bb.84:                               ;   in Loop: Header=BB49_80 Depth=2
	v_add_u32_e32 v6, v27, v8
	s_branch .LBB49_78
.LBB49_85:                              ;   in Loop: Header=BB49_10 Depth=1
                                        ; implicit-def: $sgpr36
                                        ; implicit-def: $vgpr27
	s_cbranch_execz .LBB49_10
.LBB49_86:
	v_cmp_gt_i32_e64 s[0:1], s50, v1
	s_and_saveexec_b64 s[4:5], s[0:1]
	s_cbranch_execz .LBB49_99
; %bb.87:
	s_mul_i32 s22, s33, s50
	v_add_u32_e32 v2, s22, v0
	s_cmp_lg_u32 s51, 0
	v_mul_lo_u32 v4, v2, s50
	v_mul_u32_u24_e32 v2, 0x108, v0
	v_lshlrev_b32_e32 v3, 3, v1
	s_movk_i32 s8, 0x2100
	s_cselect_b64 s[6:7], -1, 0
	v_cmp_gt_i32_e64 s[2:3], s50, v0
	v_add3_u32 v5, v2, v3, s8
	s_mov_b64 s[8:9], 0
	v_mov_b32_e32 v6, v1
	s_branch .LBB49_89
.LBB49_88:                              ;   in Loop: Header=BB49_89 Depth=1
	s_or_b64 exec, exec, s[12:13]
	v_add_u32_e32 v6, 2, v6
	v_cmp_le_i32_e32 vcc, s50, v6
	s_waitcnt vmcnt(0)
	ds_write_b64 v5, v[8:9]
	s_or_b64 s[8:9], vcc, s[8:9]
	v_add_u32_e32 v5, 16, v5
	s_andn2_b64 exec, exec, s[8:9]
	s_cbranch_execz .LBB49_99
.LBB49_89:                              ; =>This Inner Loop Header: Depth=1
	s_and_b64 vcc, exec, s[6:7]
	s_cbranch_vccz .LBB49_96
; %bb.90:                               ;   in Loop: Header=BB49_89 Depth=1
	s_mov_b64 s[12:13], 0
	s_mov_b64 s[10:11], 0
                                        ; implicit-def: $vgpr2
	s_and_saveexec_b64 s[20:21], s[2:3]
	s_xor_b64 s[20:21], exec, s[20:21]
; %bb.91:                               ;   in Loop: Header=BB49_89 Depth=1
	v_add_u32_e32 v2, s22, v6
	s_mov_b64 s[10:11], exec
	v_mad_u64_u32 v[2:3], s[28:29], v2, s50, v[0:1]
; %bb.92:                               ;   in Loop: Header=BB49_89 Depth=1
	s_or_b64 exec, exec, s[20:21]
	s_and_b64 vcc, exec, s[12:13]
	s_cbranch_vccz .LBB49_97
.LBB49_93:                              ;   in Loop: Header=BB49_89 Depth=1
                                        ; implicit-def: $vgpr2
	s_and_saveexec_b64 s[12:13], s[2:3]
; %bb.94:                               ;   in Loop: Header=BB49_89 Depth=1
	v_add_u32_e32 v2, v4, v6
	s_or_b64 s[10:11], s[10:11], exec
; %bb.95:                               ;   in Loop: Header=BB49_89 Depth=1
	s_or_b64 exec, exec, s[12:13]
	v_mov_b32_e32 v8, 0
	v_mov_b32_e32 v9, 0
	s_and_saveexec_b64 s[12:13], s[10:11]
	s_cbranch_execz .LBB49_88
	s_branch .LBB49_98
.LBB49_96:                              ;   in Loop: Header=BB49_89 Depth=1
	s_mov_b64 s[10:11], 0
                                        ; implicit-def: $vgpr2
	s_cbranch_execnz .LBB49_93
.LBB49_97:                              ;   in Loop: Header=BB49_89 Depth=1
	v_mov_b32_e32 v8, 0
	v_mov_b32_e32 v9, 0
	s_and_saveexec_b64 s[12:13], s[10:11]
	s_cbranch_execz .LBB49_88
.LBB49_98:                              ;   in Loop: Header=BB49_89 Depth=1
	v_ashrrev_i32_e32 v3, 31, v2
	v_lshl_add_u64 v[2:3], v[2:3], 3, s[26:27]
	global_load_dwordx2 v[8:9], v[2:3], off
	s_branch .LBB49_88
.LBB49_99:
	s_or_b64 exec, exec, s[4:5]
	s_cmp_lt_i32 s50, 1
	s_waitcnt lgkmcnt(0)
	s_cbranch_scc1 .LBB49_125
; %bb.100:
	v_or_b32_e32 v4, v1, v0
	s_movk_i32 s8, 0x108
	v_cmp_ne_u32_e64 s[2:3], 0, v4
	v_mov_b32_e32 v4, 0x4200
	v_mad_u32_u24 v11, v0, s8, v4
	v_lshrrev_b32_e32 v4, 1, v18
	v_add_u32_e32 v4, 1, v4
	v_mov_b32_e32 v2, 0x2100
	v_and_b32_e32 v14, -2, v4
	v_mad_u32_u24 v10, v0, s8, v2
	v_mul_u32_u24_e32 v3, 0x108, v0
	s_add_i32 s9, s24, s25
	s_movk_i32 s10, 0x4200
	v_lshl_add_u32 v15, v14, 1, v1
	s_mov_b32 s22, 0
	v_add_u32_e32 v12, v10, v17
	v_add_u32_e32 v13, v11, v17
	v_cmp_lt_u32_e64 s[4:5], 1, v18
	v_cmp_ne_u32_e64 s[6:7], v4, v14
	v_mul_u32_u24_e32 v17, 0x108, v1
	v_mad_u32_u24 v18, v1, s8, v2
	v_add3_u32 v19, v3, v16, s10
	s_mov_b32 s23, 0xf800000
	v_mov_b32_e32 v20, 0x260
	v_mov_b32_e32 v3, 0
	;; [unrolled: 1-line block ×3, first 2 shown]
	v_lshlrev_b32_e32 v21, 3, v15
	v_mul_lo_u32 v22, v15, s8
	s_mov_b32 s28, 0
	s_branch .LBB49_102
.LBB49_101:                             ;   in Loop: Header=BB49_102 Depth=1
	s_or_b64 exec, exec, s[8:9]
	s_add_i32 s28, s28, 1
	s_add_i32 s22, s22, 8
	s_cmp_eq_u32 s28, s50
	v_add_u32_e32 v18, 8, v18
	s_waitcnt lgkmcnt(0)
	s_cbranch_scc1 .LBB49_125
.LBB49_102:                             ; =>This Loop Header: Depth=1
                                        ;     Child Loop BB49_118 Depth 2
                                        ;     Child Loop BB49_124 Depth 2
	v_cmp_eq_u32_e32 vcc, s28, v0
	s_and_saveexec_b64 s[10:11], vcc
	s_cbranch_execz .LBB49_110
; %bb.103:                              ;   in Loop: Header=BB49_102 Depth=1
	ds_read_b64 v[4:5], v12
	ds_read_b64 v[6:7], v13
	s_waitcnt lgkmcnt(0)
	v_sub_f32_e32 v2, v4, v6
	v_sub_f32_e32 v6, v5, v7
	v_cmp_gt_f32_e32 vcc, 0, v2
                                        ; implicit-def: $vgpr5
	s_nop 1
	v_cndmask_b32_e64 v2, v2, -v2, vcc
	v_cmp_gt_f32_e32 vcc, 0, v6
	s_nop 1
	v_cndmask_b32_e64 v4, v6, -v6, vcc
	v_cmp_ngt_f32_e32 vcc, v2, v4
	s_and_saveexec_b64 s[8:9], vcc
	s_xor_b64 s[12:13], exec, s[8:9]
	s_cbranch_execz .LBB49_107
; %bb.104:                              ;   in Loop: Header=BB49_102 Depth=1
	v_mov_b32_e32 v5, 0
	v_cmp_neq_f32_e32 vcc, 0, v6
	s_and_saveexec_b64 s[20:21], vcc
	s_cbranch_execz .LBB49_106
; %bb.105:                              ;   in Loop: Header=BB49_102 Depth=1
	v_div_scale_f32 v5, s[8:9], v4, v4, v2
	v_rcp_f32_e32 v6, v5
	v_div_scale_f32 v7, vcc, v2, v4, v2
	v_fma_f32 v8, -v5, v6, 1.0
	v_fmac_f32_e32 v6, v8, v6
	v_mul_f32_e32 v8, v7, v6
	v_fma_f32 v9, -v5, v8, v7
	v_fmac_f32_e32 v8, v9, v6
	v_fma_f32 v5, -v5, v8, v7
	v_div_fmas_f32 v5, v5, v6, v8
	v_div_fixup_f32 v2, v5, v4, v2
	v_fma_f32 v2, v2, v2, 1.0
	v_mul_f32_e32 v5, 0x4f800000, v2
	v_cmp_gt_f32_e32 vcc, s23, v2
	s_nop 1
	v_cndmask_b32_e32 v2, v2, v5, vcc
	v_sqrt_f32_e32 v5, v2
	s_nop 0
	v_add_u32_e32 v6, -1, v5
	v_fma_f32 v7, -v6, v5, v2
	v_cmp_ge_f32_e64 s[8:9], 0, v7
	v_add_u32_e32 v7, 1, v5
	s_nop 0
	v_cndmask_b32_e64 v6, v5, v6, s[8:9]
	v_fma_f32 v5, -v7, v5, v2
	v_cmp_lt_f32_e64 s[8:9], 0, v5
	s_nop 1
	v_cndmask_b32_e64 v5, v6, v7, s[8:9]
	v_mul_f32_e32 v6, 0x37800000, v5
	v_cndmask_b32_e32 v5, v5, v6, vcc
	v_cmp_class_f32_e32 vcc, v2, v20
	s_nop 1
	v_cndmask_b32_e32 v2, v5, v2, vcc
	v_mul_f32_e32 v5, v4, v2
.LBB49_106:                             ;   in Loop: Header=BB49_102 Depth=1
	s_or_b64 exec, exec, s[20:21]
                                        ; implicit-def: $vgpr2
                                        ; implicit-def: $vgpr4
.LBB49_107:                             ;   in Loop: Header=BB49_102 Depth=1
	s_andn2_saveexec_b64 s[12:13], s[12:13]
	s_cbranch_execz .LBB49_109
; %bb.108:                              ;   in Loop: Header=BB49_102 Depth=1
	v_div_scale_f32 v5, s[8:9], v2, v2, v4
	v_rcp_f32_e32 v6, v5
	v_div_scale_f32 v7, vcc, v4, v2, v4
	v_fma_f32 v8, -v5, v6, 1.0
	v_fmac_f32_e32 v6, v8, v6
	v_mul_f32_e32 v8, v7, v6
	v_fma_f32 v9, -v5, v8, v7
	v_fmac_f32_e32 v8, v9, v6
	v_fma_f32 v5, -v5, v8, v7
	v_div_fmas_f32 v5, v5, v6, v8
	v_div_fixup_f32 v4, v5, v2, v4
	v_fma_f32 v4, v4, v4, 1.0
	v_mul_f32_e32 v5, 0x4f800000, v4
	v_cmp_gt_f32_e32 vcc, s23, v4
	s_nop 1
	v_cndmask_b32_e32 v4, v4, v5, vcc
	v_sqrt_f32_e32 v5, v4
	s_nop 0
	v_add_u32_e32 v6, -1, v5
	v_fma_f32 v7, -v6, v5, v4
	v_cmp_ge_f32_e64 s[8:9], 0, v7
	v_add_u32_e32 v7, 1, v5
	s_nop 0
	v_cndmask_b32_e64 v6, v5, v6, s[8:9]
	v_fma_f32 v5, -v7, v5, v4
	v_cmp_lt_f32_e64 s[8:9], 0, v5
	s_nop 1
	v_cndmask_b32_e64 v5, v6, v7, s[8:9]
	v_mul_f32_e32 v6, 0x37800000, v5
	v_cndmask_b32_e32 v5, v5, v6, vcc
	v_cmp_class_f32_e32 vcc, v4, v20
	s_nop 1
	v_cndmask_b32_e32 v4, v5, v4, vcc
	v_mul_f32_e32 v5, v2, v4
.LBB49_109:                             ;   in Loop: Header=BB49_102 Depth=1
	s_or_b64 exec, exec, s[12:13]
	v_mul_f32_e32 v2, 0x4f800000, v5
	v_cmp_gt_f32_e32 vcc, s23, v5
	s_nop 1
	v_cndmask_b32_e32 v2, v5, v2, vcc
	v_sqrt_f32_e32 v4, v2
	s_nop 0
	v_add_u32_e32 v5, -1, v4
	v_fma_f32 v7, -v5, v4, v2
	v_add_u32_e32 v6, 1, v4
	v_cmp_ge_f32_e64 s[8:9], 0, v7
	s_nop 1
	v_cndmask_b32_e64 v5, v4, v5, s[8:9]
	v_fma_f32 v4, -v6, v4, v2
	v_cmp_lt_f32_e64 s[8:9], 0, v4
	s_nop 1
	v_cndmask_b32_e64 v4, v5, v6, s[8:9]
	v_mul_f32_e32 v5, 0x37800000, v4
	v_cndmask_b32_e32 v4, v4, v5, vcc
	v_cmp_class_f32_e32 vcc, v2, v20
	s_nop 1
	v_cndmask_b32_e32 v2, v4, v2, vcc
	ds_write_b64 v12, v[2:3]
.LBB49_110:                             ;   in Loop: Header=BB49_102 Depth=1
	s_or_b64 exec, exec, s[10:11]
	s_lshl_b32 s8, s28, 3
	s_mul_i32 s9, s28, 0x108
	s_add_i32 s9, s9, s8
	v_mov_b32_e32 v2, s9
	s_waitcnt lgkmcnt(0)
	ds_read_b64 v[26:27], v2 offset:8448
	v_add_u32_e32 v6, s8, v10
	ds_read_b64 v[8:9], v6
	s_waitcnt lgkmcnt(1)
	v_cmp_neq_f32_e32 vcc, 0, v26
	v_cmp_neq_f32_e64 s[8:9], 0, v27
	s_or_b64 vcc, vcc, s[8:9]
	v_cndmask_b32_e32 v4, 0, v27, vcc
	s_nor_b64 s[10:11], vcc, s[2:3]
	v_cndmask_b32_e32 v2, 1.0, v26, vcc
	s_and_saveexec_b64 s[8:9], s[10:11]
	s_cbranch_execz .LBB49_114
; %bb.111:                              ;   in Loop: Header=BB49_102 Depth=1
	v_mbcnt_lo_u32_b32 v2, exec_lo, 0
	v_mbcnt_hi_u32_b32 v2, exec_hi, v2
	v_cmp_eq_u32_e32 vcc, 0, v2
	s_and_saveexec_b64 s[10:11], vcc
	s_cbranch_execz .LBB49_113
; %bb.112:                              ;   in Loop: Header=BB49_102 Depth=1
	global_atomic_smin v3, v25, s[18:19]
.LBB49_113:                             ;   in Loop: Header=BB49_102 Depth=1
	s_or_b64 exec, exec, s[10:11]
	v_mov_b32_e32 v2, 1.0
	v_mov_b32_e32 v4, 0
.LBB49_114:                             ;   in Loop: Header=BB49_102 Depth=1
	s_or_b64 exec, exec, s[8:9]
	v_cmp_lt_u32_e32 vcc, s28, v0
	s_and_saveexec_b64 s[8:9], vcc
	s_cbranch_execz .LBB49_101
; %bb.115:                              ;   in Loop: Header=BB49_102 Depth=1
	v_mul_f32_e32 v5, v4, v4
	v_fmac_f32_e32 v5, v2, v2
	v_div_scale_f32 v7, s[10:11], v5, v5, 1.0
	v_rcp_f32_e32 v23, v7
	v_lshl_add_u32 v24, s28, 3, v11
	s_waitcnt lgkmcnt(0)
	v_mov_b32_e32 v29, v8
	v_fma_f32 v26, -v7, v23, 1.0
	v_fmac_f32_e32 v23, v26, v23
	v_div_scale_f32 v26, vcc, 1.0, v5, 1.0
	v_mul_f32_e32 v28, v26, v23
	v_fma_f32 v27, -v7, v28, v26
	v_fmac_f32_e32 v28, v27, v23
	v_fma_f32 v7, -v7, v28, v26
	ds_read_b64 v[26:27], v24
	v_div_fmas_f32 v7, v7, v23, v28
	v_mov_b32_e32 v28, v9
	v_div_fixup_f32 v24, v7, v5, 1.0
	s_waitcnt lgkmcnt(0)
	v_pk_add_f32 v[8:9], v[28:29], v[26:27] op_sel:[0,1] op_sel_hi:[1,0] neg_lo:[0,1] neg_hi:[0,1]
	s_nop 0
	v_xor_b32_e32 v26, 0x80000000, v9
	v_mov_b32_e32 v27, v8
	v_pk_mul_f32 v[4:5], v[4:5], v[26:27] op_sel_hi:[0,1]
	v_pk_fma_f32 v[4:5], v[8:9], v[2:3], v[4:5] op_sel_hi:[1,0,1]
	s_nop 0
	v_pk_mul_f32 v[4:5], v[24:25], v[4:5] op_sel_hi:[0,1]
	v_pk_mov_b32 v[8:9], v[4:5], v[4:5] op_sel:[1,0]
	ds_write_b64 v6, v[8:9]
	s_waitcnt lgkmcnt(0)
	s_and_b64 exec, exec, s[0:1]
	s_cbranch_execz .LBB49_101
; %bb.116:                              ;   in Loop: Header=BB49_102 Depth=1
	s_mov_b64 s[12:13], -1
	v_mov_b32_e32 v2, v1
	v_mov_b32_e32 v8, v16
	;; [unrolled: 1-line block ×3, first 2 shown]
	s_and_saveexec_b64 s[10:11], s[4:5]
	s_cbranch_execz .LBB49_122
; %bb.117:                              ;   in Loop: Header=BB49_102 Depth=1
	v_mov_b32_e32 v6, v5
	v_mov_b32_e32 v7, v5
	;; [unrolled: 1-line block ×4, first 2 shown]
	s_mov_b64 s[12:13], 0
	v_mov_b32_e32 v2, v14
	v_mov_b32_e32 v23, v19
	;; [unrolled: 1-line block ×3, first 2 shown]
.LBB49_118:                             ;   Parent Loop BB49_102 Depth=1
                                        ; =>  This Inner Loop Header: Depth=2
	ds_read2_b64 v[26:29], v24 offset1:66
	ds_read2_b64 v[30:33], v23 offset1:2
	v_add_u32_e32 v2, -2, v2
	v_cmp_eq_u32_e32 vcc, 0, v2
	v_add_u32_e32 v24, 0x420, v24
	s_waitcnt lgkmcnt(1)
	v_mov_b32_e32 v34, v26
	v_mov_b32_e32 v35, v28
	;; [unrolled: 1-line block ×3, first 2 shown]
	s_waitcnt lgkmcnt(0)
	v_mov_b32_e32 v26, v30
	v_mov_b32_e32 v27, v32
	;; [unrolled: 1-line block ×3, first 2 shown]
	v_pk_fma_f32 v[26:27], v[6:7], v[34:35], v[26:27]
	v_pk_fma_f32 v[30:31], v[8:9], v[34:35], v[32:33]
	;; [unrolled: 1-line block ×3, first 2 shown]
	v_pk_fma_f32 v[28:29], v[6:7], v[28:29], v[30:31] neg_lo:[0,1,0] neg_hi:[0,1,0]
	v_mov_b32_e32 v30, v26
	v_mov_b32_e32 v31, v28
	;; [unrolled: 1-line block ×3, first 2 shown]
	ds_write2_b64 v23, v[30:31], v[28:29] offset1:2
	s_or_b64 s[12:13], vcc, s[12:13]
	v_add_u32_e32 v23, 32, v23
	s_andn2_b64 exec, exec, s[12:13]
	s_cbranch_execnz .LBB49_118
; %bb.119:                              ;   in Loop: Header=BB49_102 Depth=1
	s_or_b64 exec, exec, s[12:13]
	s_mov_b64 s[12:13], 0
	s_and_saveexec_b64 s[20:21], s[6:7]
; %bb.120:                              ;   in Loop: Header=BB49_102 Depth=1
	s_mov_b64 s[12:13], exec
; %bb.121:                              ;   in Loop: Header=BB49_102 Depth=1
	s_or_b64 exec, exec, s[20:21]
	s_orn2_b64 s[12:13], s[12:13], exec
	v_mov_b32_e32 v2, v15
	v_mov_b32_e32 v8, v21
	;; [unrolled: 1-line block ×3, first 2 shown]
.LBB49_122:                             ;   in Loop: Header=BB49_102 Depth=1
	s_or_b64 exec, exec, s[10:11]
	s_and_b64 exec, exec, s[12:13]
	s_cbranch_execz .LBB49_101
; %bb.123:                              ;   in Loop: Header=BB49_102 Depth=1
	v_pk_mov_b32 v[6:7], v[4:5], v[4:5] op_sel:[1,0]
	v_add_u32_e32 v8, v11, v8
	v_add_u32_e32 v9, s22, v9
	s_mov_b64 s[10:11], 0
.LBB49_124:                             ;   Parent Loop BB49_102 Depth=1
                                        ; =>  This Inner Loop Header: Depth=2
	ds_read_b64 v[26:27], v9 offset:8448
	ds_read_b64 v[28:29], v8
	v_add_u32_e32 v2, 2, v2
	v_cmp_le_i32_e32 vcc, s50, v2
	s_or_b64 s[10:11], vcc, s[10:11]
	v_add_u32_e32 v9, 0x210, v9
	s_waitcnt lgkmcnt(0)
	v_pk_fma_f32 v[28:29], v[6:7], v[26:27], v[28:29] op_sel_hi:[1,0,1]
	s_nop 0
	v_pk_fma_f32 v[26:27], v[4:5], v[26:27], v[28:29] op_sel:[0,1,0] neg_hi:[0,1,0]
	ds_write_b64 v8, v[26:27]
	v_add_u32_e32 v8, 16, v8
	s_andn2_b64 exec, exec, s[10:11]
	s_cbranch_execnz .LBB49_124
	s_branch .LBB49_101
.LBB49_125:
	s_and_saveexec_b64 s[2:3], s[0:1]
	s_cbranch_execz .LBB49_134
; %bb.126:
	s_mul_i32 s33, s33, s50
	v_add_u32_e32 v2, s33, v0
	s_cmp_lg_u32 s51, 0
	v_mul_lo_u32 v4, v2, s50
	v_mul_u32_u24_e32 v2, 0x108, v0
	s_movk_i32 s6, 0x2100
	v_cmp_gt_i32_e64 s[0:1], s50, v0
	s_cselect_b64 s[4:5], -1, 0
	v_add3_u32 v5, v2, v16, s6
	s_mov_b64 s[6:7], 0
	v_mov_b32_e32 v6, v1
	s_branch .LBB49_130
.LBB49_127:                             ;   in Loop: Header=BB49_130 Depth=1
	v_add_u32_e32 v2, v4, v6
.LBB49_128:                             ;   in Loop: Header=BB49_130 Depth=1
	ds_read_b64 v[8:9], v5
	v_ashrrev_i32_e32 v3, 31, v2
	v_lshl_add_u64 v[2:3], v[2:3], 3, s[26:27]
	s_waitcnt lgkmcnt(0)
	global_store_dwordx2 v[2:3], v[8:9], off
.LBB49_129:                             ;   in Loop: Header=BB49_130 Depth=1
	s_or_b64 exec, exec, s[8:9]
	v_add_u32_e32 v6, 2, v6
	v_cmp_le_i32_e32 vcc, s50, v6
	s_or_b64 s[6:7], vcc, s[6:7]
	v_add_u32_e32 v5, 16, v5
	s_andn2_b64 exec, exec, s[6:7]
	s_cbranch_execz .LBB49_134
.LBB49_130:                             ; =>This Inner Loop Header: Depth=1
	s_and_saveexec_b64 s[8:9], s[0:1]
	s_cbranch_execz .LBB49_129
; %bb.131:                              ;   in Loop: Header=BB49_130 Depth=1
	s_and_b64 vcc, exec, s[4:5]
	s_cbranch_vccz .LBB49_133
; %bb.132:                              ;   in Loop: Header=BB49_130 Depth=1
	v_add_u32_e32 v2, s33, v6
	v_mad_u64_u32 v[2:3], s[10:11], v2, s50, v[0:1]
	s_cbranch_execnz .LBB49_128
	s_branch .LBB49_127
.LBB49_133:                             ;   in Loop: Header=BB49_130 Depth=1
                                        ; implicit-def: $vgpr2
	s_branch .LBB49_127
.LBB49_134:
	s_or_b64 exec, exec, s[2:3]
	v_or_b32_e32 v2, v1, v0
	v_cmp_eq_u32_e32 vcc, 0, v2
	s_and_saveexec_b64 s[0:1], vcc
	s_cbranch_execz .LBB49_136
; %bb.135:
	s_add_u32 s2, s14, s16
	s_addc_u32 s3, s15, s17
	v_mov_b32_e32 v2, 0
	v_mov_b32_e32 v3, 1
	buffer_wbl2 sc1
	s_waitcnt vmcnt(0)
	global_store_dword v2, v3, s[2:3] sc1
.LBB49_136:
	s_or_b64 exec, exec, s[0:1]
.LBB49_137:
	s_endpgm
.LBB49_138:
	s_cbranch_execz .LBB49_137
; %bb.139:
	v_or_b32_e32 v0, v1, v0
	v_cmp_eq_u32_e32 vcc, 0, v0
	s_and_saveexec_b64 s[0:1], vcc
	s_cbranch_execz .LBB49_137
; %bb.140:
	v_mbcnt_lo_u32_b32 v0, exec_lo, 0
	v_mbcnt_hi_u32_b32 v0, exec_hi, v0
	v_cmp_eq_u32_e32 vcc, 0, v0
	s_and_saveexec_b64 s[0:1], vcc
	s_cbranch_execz .LBB49_142
; %bb.141:
	s_add_i32 s2, s24, s25
	v_mov_b32_e32 v0, 0
	v_mov_b32_e32 v1, s2
	global_atomic_smin v0, v1, s[18:19]
.LBB49_142:
	s_or_b64 exec, exec, s[0:1]
	s_add_u32 s0, s14, s16
	s_addc_u32 s1, s15, s17
	v_mov_b32_e32 v0, 0
	v_mov_b32_e32 v1, 1
	buffer_wbl2 sc1
	s_waitcnt vmcnt(0)
	global_store_dword v0, v1, s[0:1] sc1
	s_endpgm
	.section	.rodata,"a",@progbits
	.p2align	6, 0x0
	.amdhsa_kernel _ZN9rocsparseL19bsric0_17_32_kernelILi64ELi32ELi32E21rocsparse_complex_numIfEEEv20rocsparse_direction_iiPKiS5_PT2_S5_PiS5_S8_21rocsparse_index_base_
		.amdhsa_group_segment_fixed_size 25728
		.amdhsa_private_segment_fixed_size 0
		.amdhsa_kernarg_size 76
		.amdhsa_user_sgpr_count 2
		.amdhsa_user_sgpr_dispatch_ptr 0
		.amdhsa_user_sgpr_queue_ptr 0
		.amdhsa_user_sgpr_kernarg_segment_ptr 1
		.amdhsa_user_sgpr_dispatch_id 0
		.amdhsa_user_sgpr_kernarg_preload_length 0
		.amdhsa_user_sgpr_kernarg_preload_offset 0
		.amdhsa_user_sgpr_private_segment_size 0
		.amdhsa_uses_dynamic_stack 0
		.amdhsa_enable_private_segment 0
		.amdhsa_system_sgpr_workgroup_id_x 1
		.amdhsa_system_sgpr_workgroup_id_y 0
		.amdhsa_system_sgpr_workgroup_id_z 0
		.amdhsa_system_sgpr_workgroup_info 0
		.amdhsa_system_vgpr_workitem_id 1
		.amdhsa_next_free_vgpr 169
		.amdhsa_next_free_sgpr 96
		.amdhsa_accum_offset 48
		.amdhsa_reserve_vcc 1
		.amdhsa_float_round_mode_32 0
		.amdhsa_float_round_mode_16_64 0
		.amdhsa_float_denorm_mode_32 3
		.amdhsa_float_denorm_mode_16_64 3
		.amdhsa_dx10_clamp 1
		.amdhsa_ieee_mode 1
		.amdhsa_fp16_overflow 0
		.amdhsa_tg_split 0
		.amdhsa_exception_fp_ieee_invalid_op 0
		.amdhsa_exception_fp_denorm_src 0
		.amdhsa_exception_fp_ieee_div_zero 0
		.amdhsa_exception_fp_ieee_overflow 0
		.amdhsa_exception_fp_ieee_underflow 0
		.amdhsa_exception_fp_ieee_inexact 0
		.amdhsa_exception_int_div_zero 0
	.end_amdhsa_kernel
	.section	.text._ZN9rocsparseL19bsric0_17_32_kernelILi64ELi32ELi32E21rocsparse_complex_numIfEEEv20rocsparse_direction_iiPKiS5_PT2_S5_PiS5_S8_21rocsparse_index_base_,"axG",@progbits,_ZN9rocsparseL19bsric0_17_32_kernelILi64ELi32ELi32E21rocsparse_complex_numIfEEEv20rocsparse_direction_iiPKiS5_PT2_S5_PiS5_S8_21rocsparse_index_base_,comdat
.Lfunc_end49:
	.size	_ZN9rocsparseL19bsric0_17_32_kernelILi64ELi32ELi32E21rocsparse_complex_numIfEEEv20rocsparse_direction_iiPKiS5_PT2_S5_PiS5_S8_21rocsparse_index_base_, .Lfunc_end49-_ZN9rocsparseL19bsric0_17_32_kernelILi64ELi32ELi32E21rocsparse_complex_numIfEEEv20rocsparse_direction_iiPKiS5_PT2_S5_PiS5_S8_21rocsparse_index_base_
                                        ; -- End function
	.set _ZN9rocsparseL19bsric0_17_32_kernelILi64ELi32ELi32E21rocsparse_complex_numIfEEEv20rocsparse_direction_iiPKiS5_PT2_S5_PiS5_S8_21rocsparse_index_base_.num_vgpr, 46
	.set _ZN9rocsparseL19bsric0_17_32_kernelILi64ELi32ELi32E21rocsparse_complex_numIfEEEv20rocsparse_direction_iiPKiS5_PT2_S5_PiS5_S8_21rocsparse_index_base_.num_agpr, 0
	.set _ZN9rocsparseL19bsric0_17_32_kernelILi64ELi32ELi32E21rocsparse_complex_numIfEEEv20rocsparse_direction_iiPKiS5_PT2_S5_PiS5_S8_21rocsparse_index_base_.numbered_sgpr, 60
	.set _ZN9rocsparseL19bsric0_17_32_kernelILi64ELi32ELi32E21rocsparse_complex_numIfEEEv20rocsparse_direction_iiPKiS5_PT2_S5_PiS5_S8_21rocsparse_index_base_.num_named_barrier, 0
	.set _ZN9rocsparseL19bsric0_17_32_kernelILi64ELi32ELi32E21rocsparse_complex_numIfEEEv20rocsparse_direction_iiPKiS5_PT2_S5_PiS5_S8_21rocsparse_index_base_.private_seg_size, 0
	.set _ZN9rocsparseL19bsric0_17_32_kernelILi64ELi32ELi32E21rocsparse_complex_numIfEEEv20rocsparse_direction_iiPKiS5_PT2_S5_PiS5_S8_21rocsparse_index_base_.uses_vcc, 1
	.set _ZN9rocsparseL19bsric0_17_32_kernelILi64ELi32ELi32E21rocsparse_complex_numIfEEEv20rocsparse_direction_iiPKiS5_PT2_S5_PiS5_S8_21rocsparse_index_base_.uses_flat_scratch, 0
	.set _ZN9rocsparseL19bsric0_17_32_kernelILi64ELi32ELi32E21rocsparse_complex_numIfEEEv20rocsparse_direction_iiPKiS5_PT2_S5_PiS5_S8_21rocsparse_index_base_.has_dyn_sized_stack, 0
	.set _ZN9rocsparseL19bsric0_17_32_kernelILi64ELi32ELi32E21rocsparse_complex_numIfEEEv20rocsparse_direction_iiPKiS5_PT2_S5_PiS5_S8_21rocsparse_index_base_.has_recursion, 0
	.set _ZN9rocsparseL19bsric0_17_32_kernelILi64ELi32ELi32E21rocsparse_complex_numIfEEEv20rocsparse_direction_iiPKiS5_PT2_S5_PiS5_S8_21rocsparse_index_base_.has_indirect_call, 0
	.section	.AMDGPU.csdata,"",@progbits
; Kernel info:
; codeLenInByte = 4904
; TotalNumSgprs: 66
; NumVgprs: 46
; NumAgprs: 0
; TotalNumVgprs: 46
; ScratchSize: 0
; MemoryBound: 0
; FloatMode: 240
; IeeeMode: 1
; LDSByteSize: 25728 bytes/workgroup (compile time only)
; SGPRBlocks: 12
; VGPRBlocks: 21
; NumSGPRsForWavesPerEU: 102
; NumVGPRsForWavesPerEU: 169
; AccumOffset: 48
; Occupancy: 2
; WaveLimiterHint : 1
; COMPUTE_PGM_RSRC2:SCRATCH_EN: 0
; COMPUTE_PGM_RSRC2:USER_SGPR: 2
; COMPUTE_PGM_RSRC2:TRAP_HANDLER: 0
; COMPUTE_PGM_RSRC2:TGID_X_EN: 1
; COMPUTE_PGM_RSRC2:TGID_Y_EN: 0
; COMPUTE_PGM_RSRC2:TGID_Z_EN: 0
; COMPUTE_PGM_RSRC2:TIDIG_COMP_CNT: 1
; COMPUTE_PGM_RSRC3_GFX90A:ACCUM_OFFSET: 11
; COMPUTE_PGM_RSRC3_GFX90A:TG_SPLIT: 0
	.section	.text._ZN9rocsparseL23bsric0_binsearch_kernelILj64ELj64ELb0E21rocsparse_complex_numIfEEEv20rocsparse_direction_iiPKiS5_PT2_S5_PiS5_S8_21rocsparse_index_base_,"axG",@progbits,_ZN9rocsparseL23bsric0_binsearch_kernelILj64ELj64ELb0E21rocsparse_complex_numIfEEEv20rocsparse_direction_iiPKiS5_PT2_S5_PiS5_S8_21rocsparse_index_base_,comdat
	.globl	_ZN9rocsparseL23bsric0_binsearch_kernelILj64ELj64ELb0E21rocsparse_complex_numIfEEEv20rocsparse_direction_iiPKiS5_PT2_S5_PiS5_S8_21rocsparse_index_base_ ; -- Begin function _ZN9rocsparseL23bsric0_binsearch_kernelILj64ELj64ELb0E21rocsparse_complex_numIfEEEv20rocsparse_direction_iiPKiS5_PT2_S5_PiS5_S8_21rocsparse_index_base_
	.p2align	8
	.type	_ZN9rocsparseL23bsric0_binsearch_kernelILj64ELj64ELb0E21rocsparse_complex_numIfEEEv20rocsparse_direction_iiPKiS5_PT2_S5_PiS5_S8_21rocsparse_index_base_,@function
_ZN9rocsparseL23bsric0_binsearch_kernelILj64ELj64ELb0E21rocsparse_complex_numIfEEEv20rocsparse_direction_iiPKiS5_PT2_S5_PiS5_S8_21rocsparse_index_base_: ; @_ZN9rocsparseL23bsric0_binsearch_kernelILj64ELj64ELb0E21rocsparse_complex_numIfEEEv20rocsparse_direction_iiPKiS5_PT2_S5_PiS5_S8_21rocsparse_index_base_
; %bb.0:
	s_load_dwordx8 s[16:23], s[0:1], 0x28
	s_ashr_i32 s3, s2, 31
	s_lshl_b64 s[2:3], s[2:3], 2
	v_mov_b32_e32 v1, 0
	s_load_dword s33, s[0:1], 0x48
	s_waitcnt lgkmcnt(0)
	s_add_u32 s2, s20, s2
	s_addc_u32 s3, s21, s3
	global_load_dword v2, v1, s[2:3]
	s_waitcnt vmcnt(0)
	v_ashrrev_i32_e32 v3, 31, v2
	v_lshlrev_b64 v[4:5], 2, v[2:3]
	v_lshl_add_u64 v[4:5], s[16:17], 0, v[4:5]
	global_load_dword v1, v[4:5], off
	s_waitcnt vmcnt(0)
	v_readfirstlane_b32 s2, v1
	s_cmp_lg_u32 s2, -1
	s_cselect_b64 s[2:3], -1, 0
	s_and_saveexec_b64 s[4:5], s[2:3]
	s_xor_b64 s[14:15], exec, s[4:5]
	s_cbranch_execz .LBB50_76
; %bb.1:
	s_load_dword s50, s[0:1], 0x8
	s_waitcnt lgkmcnt(0)
	v_cmp_gt_i32_e32 vcc, s50, v0
	s_and_saveexec_b64 s[20:21], vcc
	s_cbranch_execz .LBB50_73
; %bb.2:
	s_load_dwordx4 s[24:27], s[0:1], 0x10
	s_load_dword s4, s[0:1], 0x0
	s_load_dwordx2 s[28:29], s[0:1], 0x20
	s_mul_i32 s51, s50, s50
	v_cmp_ne_u32_e64 s[0:1], 0, v0
	s_waitcnt lgkmcnt(0)
	v_lshl_add_u64 v[4:5], v[2:3], 2, s[24:25]
	global_load_dwordx2 v[6:7], v[4:5], off
	s_cmp_eq_u32 s4, 0
	s_cselect_b64 s[2:3], -1, 0
	s_cmp_lg_u32 s4, 0
	v_add_u32_e32 v30, s33, v2
	s_mov_b64 s[30:31], 0
	v_mov_b32_e32 v4, 0
	s_mov_b32 s52, 0xf800000
	v_mov_b32_e32 v31, 0x260
	v_mul_lo_u32 v32, v1, s51
	s_cselect_b64 s[34:35], -1, 0
	s_waitcnt vmcnt(0)
	v_subrev_u32_e32 v33, s33, v6
	v_xad_u32 v34, s33, -1, v7
	v_add_u32_e32 v5, v34, v33
	v_ashrrev_i32_e32 v6, 1, v5
	v_mul_lo_u32 v35, s51, v33
	v_ashrrev_i32_e32 v7, 31, v6
	v_cmp_lt_i32_e64 s[4:5], v33, v1
	v_cmp_ge_i32_e64 s[6:7], v33, v1
	v_cmp_lt_i32_e64 s[8:9], v33, v34
	v_add_u32_e32 v36, v35, v0
	v_lshl_add_u64 v[8:9], v[6:7], 2, s[26:27]
	v_mov_b32_e32 v7, v0
	s_branch .LBB50_4
.LBB50_3:                               ;   in Loop: Header=BB50_4 Depth=1
	v_add_u32_e32 v7, 64, v7
	v_cmp_le_i32_e32 vcc, s50, v7
	s_or_b64 s[30:31], vcc, s[30:31]
	v_add_u32_e32 v36, 64, v36
	s_andn2_b64 exec, exec, s[30:31]
	s_cbranch_execz .LBB50_73
.LBB50_4:                               ; =>This Loop Header: Depth=1
                                        ;     Child Loop BB50_10 Depth 2
                                        ;       Child Loop BB50_13 Depth 3
                                        ;       Child Loop BB50_17 Depth 3
                                        ;         Child Loop BB50_19 Depth 4
                                        ;         Child Loop BB50_26 Depth 4
                                        ;           Child Loop BB50_28 Depth 5
                                        ;           Child Loop BB50_34 Depth 5
                                        ;     Child Loop BB50_41 Depth 2
                                        ;       Child Loop BB50_51 Depth 3
                                        ;       Child Loop BB50_59 Depth 3
                                        ;         Child Loop BB50_61 Depth 4
                                        ;       Child Loop BB50_69 Depth 3
	v_mul_lo_u32 v37, v7, s50
	s_and_saveexec_b64 s[10:11], s[6:7]
	s_xor_b64 s[10:11], exec, s[10:11]
; %bb.5:                                ;   in Loop: Header=BB50_4 Depth=1
	v_mul_lo_u32 v37, v7, s50
; %bb.6:                                ;   in Loop: Header=BB50_4 Depth=1
	s_or_saveexec_b64 s[36:37], s[10:11]
	v_mov_b32_e32 v5, v4
	v_mov_b64_e32 v[10:11], v[4:5]
	s_xor_b64 exec, exec, s[36:37]
	s_cbranch_execz .LBB50_38
; %bb.7:                                ;   in Loop: Header=BB50_4 Depth=1
	v_mov_b32_e32 v5, v4
	s_mov_b64 s[38:39], 0
	v_mov_b32_e32 v12, v33
	v_mov_b64_e32 v[10:11], v[4:5]
                                        ; implicit-def: $sgpr40_sgpr41
	s_branch .LBB50_10
.LBB50_8:                               ;   in Loop: Header=BB50_10 Depth=2
	v_add_u32_e32 v12, 1, v12
	v_cmp_ge_i32_e32 vcc, v12, v1
	s_andn2_b64 s[10:11], s[40:41], exec
	s_and_b64 s[12:13], vcc, exec
	s_or_b64 s[40:41], s[10:11], s[12:13]
.LBB50_9:                               ;   in Loop: Header=BB50_10 Depth=2
	s_or_b64 exec, exec, s[42:43]
	s_and_b64 s[10:11], exec, s[40:41]
	s_or_b64 s[38:39], s[10:11], s[38:39]
	s_andn2_b64 exec, exec, s[38:39]
	s_cbranch_execz .LBB50_37
.LBB50_10:                              ;   Parent Loop BB50_4 Depth=1
                                        ; =>  This Loop Header: Depth=2
                                        ;       Child Loop BB50_13 Depth 3
                                        ;       Child Loop BB50_17 Depth 3
                                        ;         Child Loop BB50_19 Depth 4
                                        ;         Child Loop BB50_26 Depth 4
                                        ;           Child Loop BB50_28 Depth 5
                                        ;           Child Loop BB50_34 Depth 5
	v_ashrrev_i32_e32 v13, 31, v12
	v_lshl_add_u64 v[14:15], v[12:13], 2, s[26:27]
	global_load_dword v13, v[14:15], off
	s_or_b64 s[40:41], s[40:41], exec
	s_waitcnt vmcnt(0)
	v_subrev_u32_e32 v14, s33, v13
	v_ashrrev_i32_e32 v15, 31, v14
	v_lshl_add_u64 v[16:17], v[14:15], 2, s[16:17]
	global_load_dword v38, v[16:17], off
	s_waitcnt vmcnt(0)
	v_cmp_ne_u32_e32 vcc, -1, v38
	s_and_saveexec_b64 s[42:43], vcc
	s_cbranch_execz .LBB50_9
; %bb.11:                               ;   in Loop: Header=BB50_10 Depth=2
	v_lshlrev_b64 v[16:17], 2, v[14:15]
	v_lshl_add_u64 v[18:19], s[24:25], 0, v[16:17]
	v_lshl_add_u64 v[16:17], s[18:19], 0, v[16:17]
	global_load_dword v5, v[18:19], off
	global_load_dword v15, v[16:17], off sc1
	s_waitcnt vmcnt(0)
	v_cmp_eq_u32_e32 vcc, 0, v15
	s_and_saveexec_b64 s[10:11], vcc
	s_cbranch_execz .LBB50_14
; %bb.12:                               ;   in Loop: Header=BB50_10 Depth=2
	s_mov_b64 s[12:13], 0
.LBB50_13:                              ;   Parent Loop BB50_4 Depth=1
                                        ;     Parent Loop BB50_10 Depth=2
                                        ; =>    This Inner Loop Header: Depth=3
	global_load_dword v15, v[16:17], off sc1
	s_waitcnt vmcnt(0)
	v_cmp_ne_u32_e32 vcc, 0, v15
	s_or_b64 s[12:13], vcc, s[12:13]
	s_andn2_b64 exec, exec, s[12:13]
	s_cbranch_execnz .LBB50_13
.LBB50_14:                              ;   in Loop: Header=BB50_10 Depth=2
	s_or_b64 exec, exec, s[10:11]
	v_subrev_u32_e32 v15, s33, v5
	v_mul_lo_u32 v5, v12, s51
	v_mul_lo_u32 v17, v14, s50
	;; [unrolled: 1-line block ×3, first 2 shown]
	v_add_u32_e32 v40, v5, v7
	v_add_u32_e32 v41, v5, v37
	v_cmp_le_i32_e64 s[10:11], v15, v38
	v_mul_lo_u32 v42, s51, v15
	s_mov_b32 s53, 0
	buffer_inv sc1
	s_branch .LBB50_17
.LBB50_15:                              ;   in Loop: Header=BB50_17 Depth=3
	s_or_b64 exec, exec, s[44:45]
.LBB50_16:                              ;   in Loop: Header=BB50_17 Depth=3
	s_or_b64 exec, exec, s[12:13]
	v_mul_f32_e32 v5, v16, v16
	v_fmac_f32_e32 v5, v14, v14
	v_div_scale_f32 v24, s[12:13], v5, v5, 1.0
	v_rcp_f32_e32 v25, v24
	s_waitcnt vmcnt(0)
	v_pk_add_f32 v[20:21], v[20:21], v[22:23] neg_lo:[0,1] neg_hi:[0,1]
	s_add_i32 s53, s53, 1
	s_cmp_eq_u32 s53, s50
	v_fma_f32 v22, -v24, v25, 1.0
	v_fmac_f32_e32 v25, v22, v25
	v_div_scale_f32 v22, vcc, 1.0, v5, 1.0
	v_mul_f32_e32 v23, v22, v25
	v_fma_f32 v26, -v24, v23, v22
	v_fmac_f32_e32 v23, v26, v25
	v_fma_f32 v22, -v24, v23, v22
	v_div_fmas_f32 v22, v22, v25, v23
	v_xor_b32_e32 v25, 0x80000000, v20
	v_mov_b32_e32 v24, v21
	v_pk_mul_f32 v[24:25], v[16:17], v[24:25] op_sel_hi:[0,1]
	v_div_fixup_f32 v22, v22, v5, 1.0
	v_pk_fma_f32 v[20:21], v[20:21], v[14:15], v[24:25] op_sel_hi:[1,0,1]
	v_add_u32_e32 v42, 1, v42
	v_pk_mul_f32 v[20:21], v[22:23], v[20:21] op_sel_hi:[0,1]
	v_xor_b32_e32 v22, 0x80000000, v21
	v_pk_fma_f32 v[10:11], v[20:21], v[20:21], v[10:11] op_sel:[1,0,0] op_sel_hi:[0,0,1]
	v_mov_b32_e32 v23, v21
	v_pk_fma_f32 v[10:11], v[20:21], v[22:23], v[10:11]
	global_store_dwordx2 v[18:19], v[20:21], off
	s_cbranch_scc1 .LBB50_8
.LBB50_17:                              ;   Parent Loop BB50_4 Depth=1
                                        ;     Parent Loop BB50_10 Depth=2
                                        ; =>    This Loop Header: Depth=3
                                        ;         Child Loop BB50_19 Depth 4
                                        ;         Child Loop BB50_26 Depth 4
                                        ;           Child Loop BB50_28 Depth 5
                                        ;           Child Loop BB50_34 Depth 5
	s_mul_i32 s54, s53, s50
	s_add_i32 s12, s54, s53
	v_add_u32_e32 v18, s12, v39
	v_ashrrev_i32_e32 v19, 31, v18
	v_lshl_add_u64 v[18:19], v[18:19], 3, s[28:29]
	global_load_dwordx2 v[18:19], v[18:19], off
	s_waitcnt vmcnt(0)
	v_cmp_neq_f32_e32 vcc, 0, v18
	v_cmp_neq_f32_e64 s[12:13], 0, v19
	s_or_b64 vcc, vcc, s[12:13]
	v_cndmask_b32_e32 v14, 1.0, v18, vcc
	s_nor_b64 s[44:45], vcc, s[0:1]
	v_cndmask_b32_e32 v16, 0, v19, vcc
	s_and_saveexec_b64 s[12:13], s[44:45]
	s_cbranch_execz .LBB50_23
; %bb.18:                               ;   in Loop: Header=BB50_17 Depth=3
	s_mov_b64 s[44:45], exec
	s_brev_b32 s46, -2
.LBB50_19:                              ;   Parent Loop BB50_4 Depth=1
                                        ;     Parent Loop BB50_10 Depth=2
                                        ;       Parent Loop BB50_17 Depth=3
                                        ; =>      This Inner Loop Header: Depth=4
	s_ff1_i32_b64 s47, s[44:45]
	v_readlane_b32 s55, v13, s47
	s_lshl_b64 s[48:49], 1, s47
	s_min_i32 s46, s46, s55
	s_andn2_b64 s[44:45], s[44:45], s[48:49]
	s_cmp_lg_u64 s[44:45], 0
	s_cbranch_scc1 .LBB50_19
; %bb.20:                               ;   in Loop: Header=BB50_17 Depth=3
	v_mbcnt_lo_u32_b32 v5, exec_lo, 0
	v_mbcnt_hi_u32_b32 v5, exec_hi, v5
	v_cmp_eq_u32_e32 vcc, 0, v5
	s_and_saveexec_b64 s[44:45], vcc
	s_xor_b64 s[44:45], exec, s[44:45]
	s_cbranch_execz .LBB50_22
; %bb.21:                               ;   in Loop: Header=BB50_17 Depth=3
	v_mov_b32_e32 v5, s46
	global_atomic_smin v4, v5, s[22:23]
.LBB50_22:                              ;   in Loop: Header=BB50_17 Depth=3
	s_or_b64 exec, exec, s[44:45]
	v_mov_b32_e32 v14, 1.0
	v_mov_b32_e32 v16, 0
.LBB50_23:                              ;   in Loop: Header=BB50_17 Depth=3
	s_or_b64 exec, exec, s[12:13]
	v_add_u32_e32 v5, s53, v41
	v_add_u32_e32 v18, s54, v40
	v_cndmask_b32_e64 v18, v18, v5, s[2:3]
	v_ashrrev_i32_e32 v19, 31, v18
	v_lshl_add_u64 v[18:19], v[18:19], 3, s[28:29]
	global_load_dwordx2 v[20:21], v[18:19], off
	v_mov_b32_e32 v5, v4
	v_mov_b64_e32 v[22:23], v[4:5]
	s_and_saveexec_b64 s[12:13], s[10:11]
	s_cbranch_execz .LBB50_16
; %bb.24:                               ;   in Loop: Header=BB50_17 Depth=3
	global_load_dword v43, v[8:9], off
	v_mov_b32_e32 v5, v4
	v_add_u32_e32 v44, s53, v17
	s_mov_b64 s[44:45], 0
	v_mov_b32_e32 v45, v42
	v_mov_b32_e32 v24, v15
	v_mov_b64_e32 v[22:23], v[4:5]
	s_branch .LBB50_26
.LBB50_25:                              ;   in Loop: Header=BB50_26 Depth=4
	s_or_b64 exec, exec, s[46:47]
	v_add_u32_e32 v5, 1, v24
	v_cmp_ge_i32_e32 vcc, v24, v38
	v_add_u32_e32 v45, s51, v45
	s_or_b64 s[44:45], vcc, s[44:45]
	v_mov_b32_e32 v24, v5
	s_andn2_b64 exec, exec, s[44:45]
	s_cbranch_execz .LBB50_15
.LBB50_26:                              ;   Parent Loop BB50_4 Depth=1
                                        ;     Parent Loop BB50_10 Depth=2
                                        ;       Parent Loop BB50_17 Depth=3
                                        ; =>      This Loop Header: Depth=4
                                        ;           Child Loop BB50_28 Depth 5
                                        ;           Child Loop BB50_34 Depth 5
	v_ashrrev_i32_e32 v25, 31, v24
	v_lshl_add_u64 v[26:27], v[24:25], 2, s[26:27]
	global_load_dword v5, v[26:27], off
	s_waitcnt vmcnt(1)
	v_mov_b32_e32 v25, v43
	v_mov_b32_e32 v26, v6
	s_and_saveexec_b64 s[46:47], s[8:9]
	s_cbranch_execz .LBB50_30
; %bb.27:                               ;   in Loop: Header=BB50_26 Depth=4
	s_mov_b64 s[48:49], 0
	v_mov_b32_e32 v25, v43
	v_mov_b32_e32 v26, v6
	;; [unrolled: 1-line block ×4, first 2 shown]
.LBB50_28:                              ;   Parent Loop BB50_4 Depth=1
                                        ;     Parent Loop BB50_10 Depth=2
                                        ;       Parent Loop BB50_17 Depth=3
                                        ;         Parent Loop BB50_26 Depth=4
                                        ; =>        This Inner Loop Header: Depth=5
	v_add_u32_e32 v27, 1, v26
	s_waitcnt vmcnt(0)
	v_cmp_lt_i32_e32 vcc, v25, v5
	s_nop 1
	v_cndmask_b32_e32 v29, v26, v29, vcc
	v_cndmask_b32_e32 v28, v28, v27, vcc
	v_add_u32_e32 v25, v29, v28
	v_ashrrev_i32_e32 v26, 1, v25
	v_ashrrev_i32_e32 v27, 31, v26
	v_lshl_add_u64 v[46:47], v[26:27], 2, s[26:27]
	global_load_dword v25, v[46:47], off
	v_cmp_ge_i32_e32 vcc, v28, v29
	s_or_b64 s[48:49], vcc, s[48:49]
	s_andn2_b64 exec, exec, s[48:49]
	s_cbranch_execnz .LBB50_28
; %bb.29:                               ;   in Loop: Header=BB50_26 Depth=4
	s_or_b64 exec, exec, s[48:49]
.LBB50_30:                              ;   in Loop: Header=BB50_26 Depth=4
	s_or_b64 exec, exec, s[46:47]
	s_waitcnt vmcnt(0)
	v_cmp_eq_u32_e32 vcc, v25, v5
	s_and_saveexec_b64 s[46:47], vcc
	s_cbranch_execz .LBB50_25
; %bb.31:                               ;   in Loop: Header=BB50_26 Depth=4
	v_subrev_u32_e32 v5, s33, v5
	v_mul_lo_u32 v25, v24, s51
	v_mul_lo_u32 v26, v26, s51
	;; [unrolled: 1-line block ×3, first 2 shown]
	v_add_u32_e32 v25, s54, v25
	v_add_u32_e32 v46, v26, v37
	;; [unrolled: 1-line block ×3, first 2 shown]
	s_mov_b32 s55, 0
	v_mov_b32_e32 v48, v45
	s_branch .LBB50_34
.LBB50_32:                              ;   in Loop: Header=BB50_34 Depth=5
	v_ashrrev_i32_e32 v29, 31, v28
	v_ashrrev_i32_e32 v27, 31, v26
	v_lshl_add_u64 v[28:29], v[28:29], 3, s[28:29]
	v_lshl_add_u64 v[26:27], v[26:27], 3, s[28:29]
	global_load_dwordx2 v[26:27], v[26:27], off
	s_nop 0
	global_load_dwordx2 v[28:29], v[28:29], off
	s_waitcnt vmcnt(0)
	v_pk_fma_f32 v[22:23], v[28:29], v[26:27], v[22:23] op_sel_hi:[1,0,1]
	s_nop 0
	v_pk_fma_f32 v[22:23], v[28:29], v[26:27], v[22:23] op_sel:[1,1,0] op_sel_hi:[0,1,1] neg_hi:[0,1,0]
.LBB50_33:                              ;   in Loop: Header=BB50_34 Depth=5
	s_or_b64 exec, exec, s[48:49]
	s_add_i32 s55, s55, 1
	v_add_u32_e32 v47, s50, v47
	s_cmp_lg_u32 s50, s55
	v_add_u32_e32 v48, s50, v48
	s_cbranch_scc0 .LBB50_25
.LBB50_34:                              ;   Parent Loop BB50_4 Depth=1
                                        ;     Parent Loop BB50_10 Depth=2
                                        ;       Parent Loop BB50_17 Depth=3
                                        ;         Parent Loop BB50_26 Depth=4
                                        ; =>        This Inner Loop Header: Depth=5
	v_add_u32_e32 v26, s55, v5
	v_cmp_lt_i32_e32 vcc, v26, v44
	s_and_saveexec_b64 s[48:49], vcc
	s_cbranch_execz .LBB50_33
; %bb.35:                               ;   in Loop: Header=BB50_34 Depth=5
	s_andn2_b64 vcc, exec, s[2:3]
	v_mov_b32_e32 v28, v48
	v_mov_b32_e32 v26, v47
	s_cbranch_vccnz .LBB50_32
; %bb.36:                               ;   in Loop: Header=BB50_34 Depth=5
	v_add_u32_e32 v28, s55, v25
	v_add_u32_e32 v26, s55, v46
	s_branch .LBB50_32
.LBB50_37:                              ;   in Loop: Header=BB50_4 Depth=1
	s_or_b64 exec, exec, s[38:39]
.LBB50_38:                              ;   in Loop: Header=BB50_4 Depth=1
	s_or_b64 exec, exec, s[36:37]
	v_add_u32_e32 v15, v37, v32
	s_mov_b32 s40, 0
	v_mov_b32_e32 v26, v35
	s_branch .LBB50_41
.LBB50_39:                              ;   in Loop: Header=BB50_41 Depth=2
	v_mul_f32_e32 v5, v12, v12
	v_fmac_f32_e32 v5, v14, v14
	v_div_scale_f32 v13, s[12:13], v5, v5, 1.0
	v_rcp_f32_e32 v22, v13
	s_waitcnt vmcnt(0)
	v_pk_add_f32 v[18:19], v[18:19], v[20:21] neg_lo:[0,1] neg_hi:[0,1]
	v_fma_f32 v20, -v13, v22, 1.0
	v_fmac_f32_e32 v22, v20, v22
	v_div_scale_f32 v20, vcc, 1.0, v5, 1.0
	v_mul_f32_e32 v21, v20, v22
	v_fma_f32 v23, -v13, v21, v20
	v_fmac_f32_e32 v21, v23, v22
	v_fma_f32 v13, -v13, v21, v20
	v_div_fmas_f32 v13, v13, v22, v21
	v_xor_b32_e32 v23, 0x80000000, v18
	v_mov_b32_e32 v22, v19
	v_div_fixup_f32 v20, v13, v5, 1.0
	v_pk_mul_f32 v[12:13], v[12:13], v[22:23] op_sel_hi:[0,1]
	v_pk_fma_f32 v[12:13], v[18:19], v[14:15], v[12:13] op_sel_hi:[1,0,1]
	s_nop 0
	v_pk_mul_f32 v[12:13], v[20:21], v[12:13] op_sel_hi:[0,1]
	v_xor_b32_e32 v18, 0x80000000, v13
	v_pk_fma_f32 v[10:11], v[12:13], v[12:13], v[10:11] op_sel:[1,0,0] op_sel_hi:[0,0,1]
	v_mov_b32_e32 v19, v13
	v_pk_fma_f32 v[10:11], v[12:13], v[18:19], v[10:11]
	global_store_dwordx2 v[16:17], v[12:13], off
.LBB50_40:                              ;   in Loop: Header=BB50_41 Depth=2
	s_or_b64 exec, exec, s[10:11]
	s_add_i32 s40, s40, 1
	s_cmp_eq_u32 s40, s50
	v_add_u32_e32 v26, 1, v26
	buffer_wbl2 sc1
	s_waitcnt vmcnt(0)
	buffer_inv sc1
	s_cbranch_scc1 .LBB50_3
.LBB50_41:                              ;   Parent Loop BB50_4 Depth=1
                                        ; =>  This Loop Header: Depth=2
                                        ;       Child Loop BB50_51 Depth 3
                                        ;       Child Loop BB50_59 Depth 3
                                        ;         Child Loop BB50_61 Depth 4
                                        ;       Child Loop BB50_69 Depth 3
	s_mul_i32 s41, s40, s50
	v_add_u32_e32 v27, s41, v32
	v_add_u32_e32 v12, s40, v27
	v_ashrrev_i32_e32 v13, 31, v12
	v_cmp_eq_u32_e32 vcc, s40, v7
	v_lshl_add_u64 v[12:13], v[12:13], 3, s[28:29]
	s_and_saveexec_b64 s[12:13], vcc
	s_cbranch_execz .LBB50_49
; %bb.42:                               ;   in Loop: Header=BB50_41 Depth=2
	global_load_dwordx2 v[16:17], v[12:13], off
	s_waitcnt vmcnt(0)
	v_sub_f32_e32 v5, v16, v11
	v_sub_f32_e32 v17, v17, v10
	v_cmp_gt_f32_e32 vcc, 0, v5
                                        ; implicit-def: $vgpr16
	s_nop 1
	v_cndmask_b32_e64 v5, v5, -v5, vcc
	v_cmp_gt_f32_e32 vcc, 0, v17
	s_nop 1
	v_cndmask_b32_e64 v14, v17, -v17, vcc
	v_cmp_ngt_f32_e32 vcc, v5, v14
	s_and_saveexec_b64 s[10:11], vcc
	s_xor_b64 s[36:37], exec, s[10:11]
	s_cbranch_execz .LBB50_46
; %bb.43:                               ;   in Loop: Header=BB50_41 Depth=2
	v_mov_b32_e32 v16, 0
	v_cmp_neq_f32_e32 vcc, 0, v17
	s_and_saveexec_b64 s[38:39], vcc
	s_cbranch_execz .LBB50_45
; %bb.44:                               ;   in Loop: Header=BB50_41 Depth=2
	v_div_scale_f32 v16, s[10:11], v14, v14, v5
	v_rcp_f32_e32 v17, v16
	v_div_scale_f32 v18, vcc, v5, v14, v5
	v_fma_f32 v19, -v16, v17, 1.0
	v_fmac_f32_e32 v17, v19, v17
	v_mul_f32_e32 v19, v18, v17
	v_fma_f32 v20, -v16, v19, v18
	v_fmac_f32_e32 v19, v20, v17
	v_fma_f32 v16, -v16, v19, v18
	v_div_fmas_f32 v16, v16, v17, v19
	v_div_fixup_f32 v5, v16, v14, v5
	v_fma_f32 v5, v5, v5, 1.0
	v_mul_f32_e32 v16, 0x4f800000, v5
	v_cmp_gt_f32_e32 vcc, s52, v5
	s_nop 1
	v_cndmask_b32_e32 v5, v5, v16, vcc
	v_sqrt_f32_e32 v16, v5
	s_nop 0
	v_add_u32_e32 v17, -1, v16
	v_fma_f32 v18, -v17, v16, v5
	v_cmp_ge_f32_e64 s[10:11], 0, v18
	v_add_u32_e32 v18, 1, v16
	s_nop 0
	v_cndmask_b32_e64 v17, v16, v17, s[10:11]
	v_fma_f32 v16, -v18, v16, v5
	v_cmp_lt_f32_e64 s[10:11], 0, v16
	s_nop 1
	v_cndmask_b32_e64 v16, v17, v18, s[10:11]
	v_mul_f32_e32 v17, 0x37800000, v16
	v_cndmask_b32_e32 v16, v16, v17, vcc
	v_cmp_class_f32_e32 vcc, v5, v31
	s_nop 1
	v_cndmask_b32_e32 v5, v16, v5, vcc
	v_mul_f32_e32 v16, v14, v5
.LBB50_45:                              ;   in Loop: Header=BB50_41 Depth=2
	s_or_b64 exec, exec, s[38:39]
                                        ; implicit-def: $vgpr5
                                        ; implicit-def: $vgpr14
.LBB50_46:                              ;   in Loop: Header=BB50_41 Depth=2
	s_andn2_saveexec_b64 s[36:37], s[36:37]
	s_cbranch_execz .LBB50_48
; %bb.47:                               ;   in Loop: Header=BB50_41 Depth=2
	v_div_scale_f32 v16, s[10:11], v5, v5, v14
	v_rcp_f32_e32 v17, v16
	v_div_scale_f32 v18, vcc, v14, v5, v14
	v_fma_f32 v19, -v16, v17, 1.0
	v_fmac_f32_e32 v17, v19, v17
	v_mul_f32_e32 v19, v18, v17
	v_fma_f32 v20, -v16, v19, v18
	v_fmac_f32_e32 v19, v20, v17
	v_fma_f32 v16, -v16, v19, v18
	v_div_fmas_f32 v16, v16, v17, v19
	v_div_fixup_f32 v14, v16, v5, v14
	v_fma_f32 v14, v14, v14, 1.0
	v_mul_f32_e32 v16, 0x4f800000, v14
	v_cmp_gt_f32_e32 vcc, s52, v14
	s_nop 1
	v_cndmask_b32_e32 v14, v14, v16, vcc
	v_sqrt_f32_e32 v16, v14
	s_nop 0
	v_add_u32_e32 v17, -1, v16
	v_fma_f32 v18, -v17, v16, v14
	v_cmp_ge_f32_e64 s[10:11], 0, v18
	v_add_u32_e32 v18, 1, v16
	s_nop 0
	v_cndmask_b32_e64 v17, v16, v17, s[10:11]
	v_fma_f32 v16, -v18, v16, v14
	v_cmp_lt_f32_e64 s[10:11], 0, v16
	s_nop 1
	v_cndmask_b32_e64 v16, v17, v18, s[10:11]
	v_mul_f32_e32 v17, 0x37800000, v16
	v_cndmask_b32_e32 v16, v16, v17, vcc
	v_cmp_class_f32_e32 vcc, v14, v31
	s_nop 1
	v_cndmask_b32_e32 v14, v16, v14, vcc
	v_mul_f32_e32 v16, v5, v14
.LBB50_48:                              ;   in Loop: Header=BB50_41 Depth=2
	s_or_b64 exec, exec, s[36:37]
	v_mul_f32_e32 v5, 0x4f800000, v16
	v_cmp_gt_f32_e32 vcc, s52, v16
	s_nop 1
	v_cndmask_b32_e32 v5, v16, v5, vcc
	v_sqrt_f32_e32 v14, v5
	s_nop 0
	v_add_u32_e32 v16, -1, v14
	v_fma_f32 v18, -v16, v14, v5
	v_add_u32_e32 v17, 1, v14
	v_cmp_ge_f32_e64 s[10:11], 0, v18
	s_nop 1
	v_cndmask_b32_e64 v16, v14, v16, s[10:11]
	v_fma_f32 v14, -v17, v14, v5
	v_cmp_lt_f32_e64 s[10:11], 0, v14
	s_nop 1
	v_cndmask_b32_e64 v14, v16, v17, s[10:11]
	v_mul_f32_e32 v16, 0x37800000, v14
	v_cndmask_b32_e32 v14, v14, v16, vcc
	v_cmp_class_f32_e32 vcc, v5, v31
	v_mov_b32_e32 v17, v4
	s_nop 0
	v_cndmask_b32_e32 v16, v14, v5, vcc
	global_store_dwordx2 v[12:13], v[16:17], off
.LBB50_49:                              ;   in Loop: Header=BB50_41 Depth=2
	s_or_b64 exec, exec, s[12:13]
	buffer_wbl2 sc1
	s_waitcnt vmcnt(0)
	buffer_inv sc1
	global_load_dwordx2 v[16:17], v[12:13], off
	s_waitcnt vmcnt(0)
	v_cmp_neq_f32_e32 vcc, 0, v16
	v_cmp_neq_f32_e64 s[10:11], 0, v17
	s_or_b64 vcc, vcc, s[10:11]
	v_cndmask_b32_e32 v12, 0, v17, vcc
	s_nor_b64 s[12:13], vcc, s[0:1]
	v_cndmask_b32_e32 v14, 1.0, v16, vcc
	s_and_saveexec_b64 s[10:11], s[12:13]
	s_cbranch_execz .LBB50_55
; %bb.50:                               ;   in Loop: Header=BB50_41 Depth=2
	s_mov_b64 s[12:13], exec
	s_brev_b32 s36, -2
.LBB50_51:                              ;   Parent Loop BB50_4 Depth=1
                                        ;     Parent Loop BB50_41 Depth=2
                                        ; =>    This Inner Loop Header: Depth=3
	s_ff1_i32_b64 s37, s[12:13]
	v_readlane_b32 s42, v30, s37
	s_lshl_b64 s[38:39], 1, s37
	s_min_i32 s36, s36, s42
	s_andn2_b64 s[12:13], s[12:13], s[38:39]
	s_cmp_lg_u64 s[12:13], 0
	s_cbranch_scc1 .LBB50_51
; %bb.52:                               ;   in Loop: Header=BB50_41 Depth=2
	v_mbcnt_lo_u32_b32 v5, exec_lo, 0
	v_mbcnt_hi_u32_b32 v5, exec_hi, v5
	v_cmp_eq_u32_e32 vcc, 0, v5
	s_and_saveexec_b64 s[12:13], vcc
	s_xor_b64 s[12:13], exec, s[12:13]
	s_cbranch_execz .LBB50_54
; %bb.53:                               ;   in Loop: Header=BB50_41 Depth=2
	v_mov_b32_e32 v5, s36
	global_atomic_smin v4, v5, s[22:23]
.LBB50_54:                              ;   in Loop: Header=BB50_41 Depth=2
	s_or_b64 exec, exec, s[12:13]
	v_mov_b32_e32 v12, 0
	v_mov_b32_e32 v14, 1.0
.LBB50_55:                              ;   in Loop: Header=BB50_41 Depth=2
	s_or_b64 exec, exec, s[10:11]
	v_cmp_lt_i32_e32 vcc, s40, v7
	s_and_saveexec_b64 s[10:11], vcc
	s_cbranch_execz .LBB50_40
; %bb.56:                               ;   in Loop: Header=BB50_41 Depth=2
	v_add_u32_e32 v5, s40, v15
	v_add_u32_e32 v13, v27, v7
	v_cndmask_b32_e64 v16, v13, v5, s[2:3]
	v_ashrrev_i32_e32 v17, 31, v16
	v_lshl_add_u64 v[16:17], v[16:17], 3, s[28:29]
	global_load_dwordx2 v[18:19], v[16:17], off
	v_mov_b32_e32 v5, v4
	v_mov_b64_e32 v[20:21], v[4:5]
	s_and_saveexec_b64 s[12:13], s[4:5]
	s_cbranch_execz .LBB50_66
; %bb.57:                               ;   in Loop: Header=BB50_41 Depth=2
	v_mov_b32_e32 v20, 0
	s_mov_b64 s[36:37], 0
	v_mov_b32_e32 v5, v26
	v_mov_b32_e32 v13, v36
	;; [unrolled: 1-line block ×4, first 2 shown]
	s_branch .LBB50_59
.LBB50_58:                              ;   in Loop: Header=BB50_59 Depth=3
	v_add_u32_e32 v28, 1, v28
	v_cmp_ge_i32_e32 vcc, v28, v1
	v_add_u32_e32 v13, s51, v13
	s_or_b64 s[36:37], vcc, s[36:37]
	v_add_u32_e32 v5, s51, v5
	s_andn2_b64 exec, exec, s[36:37]
	s_cbranch_execz .LBB50_65
.LBB50_59:                              ;   Parent Loop BB50_4 Depth=1
                                        ;     Parent Loop BB50_41 Depth=2
                                        ; =>    This Loop Header: Depth=3
                                        ;         Child Loop BB50_61 Depth 4
	v_mul_lo_u32 v22, v28, s51
	v_add_u32_e32 v29, s41, v22
	v_add_u32_e32 v38, v22, v37
	s_mov_b32 s42, 0
	s_mov_b32 s43, s50
	;; [unrolled: 1-line block ×3, first 2 shown]
	s_branch .LBB50_61
.LBB50_60:                              ;   in Loop: Header=BB50_61 Depth=4
	v_ashrrev_i32_e32 v23, 31, v22
	v_ashrrev_i32_e32 v25, 31, v24
	v_lshl_add_u64 v[22:23], v[22:23], 3, s[28:29]
	v_lshl_add_u64 v[24:25], v[24:25], 3, s[28:29]
	global_load_dwordx2 v[40:41], v[22:23], off
	global_load_dwordx2 v[42:43], v[24:25], off
	s_add_i32 s44, s44, 1
	s_add_i32 s42, s42, s50
	s_add_i32 s43, s43, -1
	s_cmp_eq_u32 s43, 0
	s_waitcnt vmcnt(0)
	v_pk_fma_f32 v[20:21], v[42:43], v[40:41], v[20:21] op_sel_hi:[1,0,1]
	s_nop 0
	v_pk_fma_f32 v[20:21], v[42:43], v[40:41], v[20:21] op_sel:[1,1,0] op_sel_hi:[0,1,1] neg_hi:[0,1,0]
	s_cbranch_scc1 .LBB50_58
.LBB50_61:                              ;   Parent Loop BB50_4 Depth=1
                                        ;     Parent Loop BB50_41 Depth=2
                                        ;       Parent Loop BB50_59 Depth=3
                                        ; =>      This Inner Loop Header: Depth=4
	s_mov_b64 s[38:39], -1
	s_and_b64 vcc, exec, s[34:35]
                                        ; implicit-def: $vgpr22
                                        ; implicit-def: $vgpr24
	s_cbranch_vccz .LBB50_63
; %bb.62:                               ;   in Loop: Header=BB50_61 Depth=4
	v_add_u32_e32 v24, s42, v5
	v_add_u32_e32 v22, s42, v13
	s_mov_b64 s[38:39], 0
.LBB50_63:                              ;   in Loop: Header=BB50_61 Depth=4
	s_andn2_b64 vcc, exec, s[38:39]
	s_cbranch_vccnz .LBB50_60
; %bb.64:                               ;   in Loop: Header=BB50_61 Depth=4
	v_add_u32_e32 v24, s44, v29
	v_add_u32_e32 v22, s44, v38
	s_branch .LBB50_60
.LBB50_65:                              ;   in Loop: Header=BB50_41 Depth=2
	s_or_b64 exec, exec, s[36:37]
.LBB50_66:                              ;   in Loop: Header=BB50_41 Depth=2
	s_or_b64 exec, exec, s[12:13]
	s_cmp_eq_u32 s40, 0
	s_cbranch_scc1 .LBB50_39
; %bb.67:                               ;   in Loop: Header=BB50_41 Depth=2
	s_mov_b32 s36, 0
	v_mov_b32_e32 v5, v32
	s_branch .LBB50_69
.LBB50_68:                              ;   in Loop: Header=BB50_69 Depth=3
	v_ashrrev_i32_e32 v23, 31, v22
	v_ashrrev_i32_e32 v25, 31, v24
	v_lshl_add_u64 v[22:23], v[22:23], 3, s[28:29]
	v_lshl_add_u64 v[24:25], v[24:25], 3, s[28:29]
	global_load_dwordx2 v[28:29], v[22:23], off
	global_load_dwordx2 v[38:39], v[24:25], off
	s_add_i32 s36, s36, 1
	s_cmp_eq_u32 s40, s36
	v_add_u32_e32 v5, s50, v5
	s_waitcnt vmcnt(0)
	v_pk_fma_f32 v[20:21], v[38:39], v[28:29], v[20:21] op_sel_hi:[1,0,1]
	s_nop 0
	v_pk_fma_f32 v[20:21], v[38:39], v[28:29], v[20:21] op_sel:[1,1,0] op_sel_hi:[0,1,1] neg_hi:[0,1,0]
	s_cbranch_scc1 .LBB50_39
.LBB50_69:                              ;   Parent Loop BB50_4 Depth=1
                                        ;     Parent Loop BB50_41 Depth=2
                                        ; =>    This Inner Loop Header: Depth=3
	s_mov_b64 s[12:13], -1
	s_and_b64 vcc, exec, s[34:35]
                                        ; implicit-def: $vgpr22
                                        ; implicit-def: $vgpr24
	s_cbranch_vccz .LBB50_71
; %bb.70:                               ;   in Loop: Header=BB50_69 Depth=3
	v_add_u32_e32 v24, s40, v5
	v_add_u32_e32 v22, v7, v5
	s_mov_b64 s[12:13], 0
.LBB50_71:                              ;   in Loop: Header=BB50_69 Depth=3
	s_andn2_b64 vcc, exec, s[12:13]
	s_cbranch_vccnz .LBB50_68
; %bb.72:                               ;   in Loop: Header=BB50_69 Depth=3
	v_add_u32_e32 v24, s36, v27
	v_add_u32_e32 v22, s36, v15
	s_branch .LBB50_68
.LBB50_73:
	s_or_b64 exec, exec, s[20:21]
	v_cmp_eq_u32_e32 vcc, 63, v0
	s_and_saveexec_b64 s[0:1], vcc
	s_cbranch_execz .LBB50_75
; %bb.74:
	v_lshl_add_u64 v[0:1], v[2:3], 2, s[18:19]
	v_mov_b32_e32 v2, 1
	buffer_wbl2 sc1
	global_store_dword v[0:1], v2, off sc1
.LBB50_75:
	s_or_b64 exec, exec, s[0:1]
                                        ; implicit-def: $vgpr0
                                        ; implicit-def: $vgpr2_vgpr3
.LBB50_76:
	s_andn2_saveexec_b64 s[0:1], s[14:15]
	s_cbranch_execz .LBB50_83
; %bb.77:
	v_cmp_eq_u32_e32 vcc, 63, v0
	s_and_saveexec_b64 s[0:1], vcc
	s_cbranch_execz .LBB50_83
; %bb.78:
	s_mov_b64 s[0:1], exec
	v_add_u32_e32 v0, s33, v2
	s_brev_b32 s2, -2
.LBB50_79:                              ; =>This Inner Loop Header: Depth=1
	s_ff1_i32_b64 s3, s[0:1]
	v_readlane_b32 s6, v0, s3
	s_lshl_b64 s[4:5], 1, s3
	s_min_i32 s2, s2, s6
	s_andn2_b64 s[0:1], s[0:1], s[4:5]
	s_cmp_lg_u64 s[0:1], 0
	s_cbranch_scc1 .LBB50_79
; %bb.80:
	v_mbcnt_lo_u32_b32 v0, exec_lo, 0
	v_mbcnt_hi_u32_b32 v0, exec_hi, v0
	v_cmp_eq_u32_e32 vcc, 0, v0
	s_and_saveexec_b64 s[0:1], vcc
	s_xor_b64 s[0:1], exec, s[0:1]
	s_cbranch_execz .LBB50_82
; %bb.81:
	v_mov_b32_e32 v0, 0
	v_mov_b32_e32 v1, s2
	global_atomic_smin v0, v1, s[22:23]
.LBB50_82:
	s_or_b64 exec, exec, s[0:1]
	v_lshl_add_u64 v[0:1], v[2:3], 2, s[18:19]
	v_mov_b32_e32 v2, 1
	buffer_wbl2 sc1
	s_waitcnt vmcnt(0)
	global_store_dword v[0:1], v2, off sc1
.LBB50_83:
	s_endpgm
	.section	.rodata,"a",@progbits
	.p2align	6, 0x0
	.amdhsa_kernel _ZN9rocsparseL23bsric0_binsearch_kernelILj64ELj64ELb0E21rocsparse_complex_numIfEEEv20rocsparse_direction_iiPKiS5_PT2_S5_PiS5_S8_21rocsparse_index_base_
		.amdhsa_group_segment_fixed_size 0
		.amdhsa_private_segment_fixed_size 0
		.amdhsa_kernarg_size 76
		.amdhsa_user_sgpr_count 2
		.amdhsa_user_sgpr_dispatch_ptr 0
		.amdhsa_user_sgpr_queue_ptr 0
		.amdhsa_user_sgpr_kernarg_segment_ptr 1
		.amdhsa_user_sgpr_dispatch_id 0
		.amdhsa_user_sgpr_kernarg_preload_length 0
		.amdhsa_user_sgpr_kernarg_preload_offset 0
		.amdhsa_user_sgpr_private_segment_size 0
		.amdhsa_uses_dynamic_stack 0
		.amdhsa_enable_private_segment 0
		.amdhsa_system_sgpr_workgroup_id_x 1
		.amdhsa_system_sgpr_workgroup_id_y 0
		.amdhsa_system_sgpr_workgroup_id_z 0
		.amdhsa_system_sgpr_workgroup_info 0
		.amdhsa_system_vgpr_workitem_id 0
		.amdhsa_next_free_vgpr 49
		.amdhsa_next_free_sgpr 56
		.amdhsa_accum_offset 52
		.amdhsa_reserve_vcc 1
		.amdhsa_float_round_mode_32 0
		.amdhsa_float_round_mode_16_64 0
		.amdhsa_float_denorm_mode_32 3
		.amdhsa_float_denorm_mode_16_64 3
		.amdhsa_dx10_clamp 1
		.amdhsa_ieee_mode 1
		.amdhsa_fp16_overflow 0
		.amdhsa_tg_split 0
		.amdhsa_exception_fp_ieee_invalid_op 0
		.amdhsa_exception_fp_denorm_src 0
		.amdhsa_exception_fp_ieee_div_zero 0
		.amdhsa_exception_fp_ieee_overflow 0
		.amdhsa_exception_fp_ieee_underflow 0
		.amdhsa_exception_fp_ieee_inexact 0
		.amdhsa_exception_int_div_zero 0
	.end_amdhsa_kernel
	.section	.text._ZN9rocsparseL23bsric0_binsearch_kernelILj64ELj64ELb0E21rocsparse_complex_numIfEEEv20rocsparse_direction_iiPKiS5_PT2_S5_PiS5_S8_21rocsparse_index_base_,"axG",@progbits,_ZN9rocsparseL23bsric0_binsearch_kernelILj64ELj64ELb0E21rocsparse_complex_numIfEEEv20rocsparse_direction_iiPKiS5_PT2_S5_PiS5_S8_21rocsparse_index_base_,comdat
.Lfunc_end50:
	.size	_ZN9rocsparseL23bsric0_binsearch_kernelILj64ELj64ELb0E21rocsparse_complex_numIfEEEv20rocsparse_direction_iiPKiS5_PT2_S5_PiS5_S8_21rocsparse_index_base_, .Lfunc_end50-_ZN9rocsparseL23bsric0_binsearch_kernelILj64ELj64ELb0E21rocsparse_complex_numIfEEEv20rocsparse_direction_iiPKiS5_PT2_S5_PiS5_S8_21rocsparse_index_base_
                                        ; -- End function
	.set _ZN9rocsparseL23bsric0_binsearch_kernelILj64ELj64ELb0E21rocsparse_complex_numIfEEEv20rocsparse_direction_iiPKiS5_PT2_S5_PiS5_S8_21rocsparse_index_base_.num_vgpr, 49
	.set _ZN9rocsparseL23bsric0_binsearch_kernelILj64ELj64ELb0E21rocsparse_complex_numIfEEEv20rocsparse_direction_iiPKiS5_PT2_S5_PiS5_S8_21rocsparse_index_base_.num_agpr, 0
	.set _ZN9rocsparseL23bsric0_binsearch_kernelILj64ELj64ELb0E21rocsparse_complex_numIfEEEv20rocsparse_direction_iiPKiS5_PT2_S5_PiS5_S8_21rocsparse_index_base_.numbered_sgpr, 56
	.set _ZN9rocsparseL23bsric0_binsearch_kernelILj64ELj64ELb0E21rocsparse_complex_numIfEEEv20rocsparse_direction_iiPKiS5_PT2_S5_PiS5_S8_21rocsparse_index_base_.num_named_barrier, 0
	.set _ZN9rocsparseL23bsric0_binsearch_kernelILj64ELj64ELb0E21rocsparse_complex_numIfEEEv20rocsparse_direction_iiPKiS5_PT2_S5_PiS5_S8_21rocsparse_index_base_.private_seg_size, 0
	.set _ZN9rocsparseL23bsric0_binsearch_kernelILj64ELj64ELb0E21rocsparse_complex_numIfEEEv20rocsparse_direction_iiPKiS5_PT2_S5_PiS5_S8_21rocsparse_index_base_.uses_vcc, 1
	.set _ZN9rocsparseL23bsric0_binsearch_kernelILj64ELj64ELb0E21rocsparse_complex_numIfEEEv20rocsparse_direction_iiPKiS5_PT2_S5_PiS5_S8_21rocsparse_index_base_.uses_flat_scratch, 0
	.set _ZN9rocsparseL23bsric0_binsearch_kernelILj64ELj64ELb0E21rocsparse_complex_numIfEEEv20rocsparse_direction_iiPKiS5_PT2_S5_PiS5_S8_21rocsparse_index_base_.has_dyn_sized_stack, 0
	.set _ZN9rocsparseL23bsric0_binsearch_kernelILj64ELj64ELb0E21rocsparse_complex_numIfEEEv20rocsparse_direction_iiPKiS5_PT2_S5_PiS5_S8_21rocsparse_index_base_.has_recursion, 0
	.set _ZN9rocsparseL23bsric0_binsearch_kernelILj64ELj64ELb0E21rocsparse_complex_numIfEEEv20rocsparse_direction_iiPKiS5_PT2_S5_PiS5_S8_21rocsparse_index_base_.has_indirect_call, 0
	.section	.AMDGPU.csdata,"",@progbits
; Kernel info:
; codeLenInByte = 3196
; TotalNumSgprs: 62
; NumVgprs: 49
; NumAgprs: 0
; TotalNumVgprs: 49
; ScratchSize: 0
; MemoryBound: 0
; FloatMode: 240
; IeeeMode: 1
; LDSByteSize: 0 bytes/workgroup (compile time only)
; SGPRBlocks: 7
; VGPRBlocks: 6
; NumSGPRsForWavesPerEU: 62
; NumVGPRsForWavesPerEU: 49
; AccumOffset: 52
; Occupancy: 8
; WaveLimiterHint : 1
; COMPUTE_PGM_RSRC2:SCRATCH_EN: 0
; COMPUTE_PGM_RSRC2:USER_SGPR: 2
; COMPUTE_PGM_RSRC2:TRAP_HANDLER: 0
; COMPUTE_PGM_RSRC2:TGID_X_EN: 1
; COMPUTE_PGM_RSRC2:TGID_Y_EN: 0
; COMPUTE_PGM_RSRC2:TGID_Z_EN: 0
; COMPUTE_PGM_RSRC2:TIDIG_COMP_CNT: 0
; COMPUTE_PGM_RSRC3_GFX90A:ACCUM_OFFSET: 12
; COMPUTE_PGM_RSRC3_GFX90A:TG_SPLIT: 0
	.section	.text._ZN9rocsparseL17bsric0_2_8_kernelILi64ELi64ELi8E21rocsparse_complex_numIfEEEv20rocsparse_direction_iiPKiS5_PT2_S5_PiS5_S8_21rocsparse_index_base_,"axG",@progbits,_ZN9rocsparseL17bsric0_2_8_kernelILi64ELi64ELi8E21rocsparse_complex_numIfEEEv20rocsparse_direction_iiPKiS5_PT2_S5_PiS5_S8_21rocsparse_index_base_,comdat
	.globl	_ZN9rocsparseL17bsric0_2_8_kernelILi64ELi64ELi8E21rocsparse_complex_numIfEEEv20rocsparse_direction_iiPKiS5_PT2_S5_PiS5_S8_21rocsparse_index_base_ ; -- Begin function _ZN9rocsparseL17bsric0_2_8_kernelILi64ELi64ELi8E21rocsparse_complex_numIfEEEv20rocsparse_direction_iiPKiS5_PT2_S5_PiS5_S8_21rocsparse_index_base_
	.p2align	8
	.type	_ZN9rocsparseL17bsric0_2_8_kernelILi64ELi64ELi8E21rocsparse_complex_numIfEEEv20rocsparse_direction_iiPKiS5_PT2_S5_PiS5_S8_21rocsparse_index_base_,@function
_ZN9rocsparseL17bsric0_2_8_kernelILi64ELi64ELi8E21rocsparse_complex_numIfEEEv20rocsparse_direction_iiPKiS5_PT2_S5_PiS5_S8_21rocsparse_index_base_: ; @_ZN9rocsparseL17bsric0_2_8_kernelILi64ELi64ELi8E21rocsparse_complex_numIfEEEv20rocsparse_direction_iiPKiS5_PT2_S5_PiS5_S8_21rocsparse_index_base_
; %bb.0:
	s_load_dwordx8 s[8:15], s[0:1], 0x28
	s_mov_b32 s3, 0
	s_lshl_b64 s[2:3], s[2:3], 2
	v_and_b32_e32 v15, 0x3ff, v0
	v_bfe_u32 v16, v0, 10, 10
	s_waitcnt lgkmcnt(0)
	s_add_u32 s2, s12, s2
	s_addc_u32 s3, s13, s3
	s_load_dword s20, s[2:3], 0x0
	s_waitcnt lgkmcnt(0)
	s_ashr_i32 s21, s20, 31
	s_lshl_b64 s[12:13], s[20:21], 2
	s_add_u32 s2, s8, s12
	s_addc_u32 s3, s9, s13
	s_load_dword s33, s[2:3], 0x0
	s_load_dword s21, s[0:1], 0x48
	s_waitcnt lgkmcnt(0)
	s_cmp_lg_u32 s33, -1
	s_cbranch_scc0 .LBB51_93
; %bb.1:
	s_load_dwordx4 s[16:19], s[0:1], 0x10
	s_load_dwordx2 s[22:23], s[0:1], 0x20
	v_lshlrev_b32_e32 v17, 3, v16
	v_add_u32_e32 v1, v17, v15
	s_waitcnt lgkmcnt(0)
	s_add_u32 s2, s16, s12
	s_addc_u32 s3, s17, s13
	s_load_dword s26, s[2:3], 0x0
	s_waitcnt lgkmcnt(0)
	s_sub_i32 s40, s26, s21
	v_add_u32_e32 v0, s40, v1
	v_cmp_ge_i32_e32 vcc, s33, v0
	s_and_saveexec_b64 s[2:3], vcc
	s_cbranch_execz .LBB51_14
; %bb.2:
	v_add_u32_e32 v1, s26, v1
	v_subrev_u32_e32 v1, s21, v1
	v_add_u32_e32 v1, 64, v1
	s_add_i32 s4, s33, 1
	v_max_i32_e32 v1, s4, v1
	v_not_b32_e32 v2, v15
	v_add3_u32 v1, s21, v1, v2
	v_add_u32_e32 v2, s26, v17
	v_sub_u32_e32 v1, v1, v2
	v_cmp_lt_u32_e32 vcc, 63, v1
	s_mov_b64 s[6:7], -1
	s_and_saveexec_b64 s[4:5], vcc
	s_cbranch_execz .LBB51_11
; %bb.3:
	v_lshrrev_b32_e32 v4, 6, v1
	v_add_u32_e32 v2, -1, v4
	v_add_u32_e32 v1, 64, v0
	v_lshrrev_b32_e32 v3, 1, v2
	v_add_u32_e32 v5, 1, v3
	v_cmp_lt_u32_e32 vcc, 13, v2
	v_mov_b64_e32 v[2:3], v[0:1]
	s_and_saveexec_b64 s[6:7], vcc
	s_cbranch_execz .LBB51_7
; %bb.4:
	v_and_b32_e32 v6, -8, v5
	s_mov_b64 s[24:25], 0
	v_mov_b64_e32 v[2:3], v[0:1]
.LBB51_5:                               ; =>This Inner Loop Header: Depth=1
	v_ashrrev_i32_e32 v11, 31, v2
	v_mov_b32_e32 v10, v2
	v_ashrrev_i32_e32 v9, 31, v3
	v_mov_b32_e32 v8, v3
	v_add_u32_e32 v12, 0x80, v2
	v_add_u32_e32 v18, 0x80, v3
	v_lshl_add_u64 v[10:11], v[10:11], 2, s[18:19]
	v_add_u32_e32 v20, 0x100, v2
	v_add_u32_e32 v22, 0x100, v3
	v_add_u32_e32 v24, 0x180, v2
	v_add_u32_e32 v26, 0x180, v3
	v_add_u32_e32 v28, 0x200, v2
	v_add_u32_e32 v30, 0x200, v3
	v_add_u32_e32 v32, 0x280, v2
	v_add_u32_e32 v34, 0x280, v3
	v_add_u32_e32 v36, 0x300, v2
	v_add_u32_e32 v38, 0x300, v3
	v_add_u32_e32 v40, 0x380, v2
	v_add_u32_e32 v42, 0x380, v3
	v_lshl_add_u64 v[8:9], v[8:9], 2, s[18:19]
	v_ashrrev_i32_e32 v19, 31, v18
	v_ashrrev_i32_e32 v13, 31, v12
	global_load_dword v1, v[10:11], off
	global_load_dword v7, v[8:9], off
	v_ashrrev_i32_e32 v23, 31, v22
	v_ashrrev_i32_e32 v21, 31, v20
	;; [unrolled: 1-line block ×12, first 2 shown]
	v_lshl_add_u64 v[8:9], v[12:13], 2, s[18:19]
	v_lshl_add_u64 v[10:11], v[18:19], 2, s[18:19]
	;; [unrolled: 1-line block ×13, first 2 shown]
	global_load_dword v13, v[10:11], off
	v_lshl_add_u64 v[10:11], v[42:43], 2, s[18:19]
	global_load_dword v14, v[8:9], off
	global_load_dword v19, v[46:47], off
	;; [unrolled: 1-line block ×13, first 2 shown]
	v_subrev_u32_e32 v9, s40, v2
	v_add_u32_e32 v6, -8, v6
	v_subrev_u32_e32 v8, s40, v3
	v_lshlrev_b32_e32 v9, 2, v9
	v_subrev_u32_e32 v11, s40, v12
	v_cmp_eq_u32_e32 vcc, 0, v6
	v_add_u32_e32 v3, 0x400, v3
	v_add_u32_e32 v2, 0x400, v2
	v_lshlrev_b32_e32 v8, 2, v8
	v_subrev_u32_e32 v10, s40, v18
	v_subrev_u32_e32 v12, s40, v22
	;; [unrolled: 1-line block ×13, first 2 shown]
	v_lshlrev_b32_e32 v11, 2, v11
	s_or_b64 s[24:25], vcc, s[24:25]
	v_lshlrev_b32_e32 v10, 2, v10
	v_lshlrev_b32_e32 v18, 2, v18
	v_lshlrev_b32_e32 v12, 2, v12
	v_lshlrev_b32_e32 v22, 2, v22
	v_lshlrev_b32_e32 v20, 2, v20
	v_lshlrev_b32_e32 v26, 2, v26
	v_lshlrev_b32_e32 v24, 2, v24
	v_lshlrev_b32_e32 v30, 2, v30
	v_lshlrev_b32_e32 v28, 2, v28
	v_lshlrev_b32_e32 v34, 2, v34
	v_lshlrev_b32_e32 v32, 2, v32
	v_lshlrev_b32_e32 v38, 2, v38
	v_lshlrev_b32_e32 v36, 2, v36
	s_waitcnt vmcnt(15)
	v_subrev_u32_e32 v1, s21, v1
	s_waitcnt vmcnt(14)
	v_subrev_u32_e32 v7, s21, v7
	ds_write_b32 v9, v1 offset:2816
	ds_write_b32 v8, v7 offset:2816
	s_waitcnt vmcnt(12)
	v_subrev_u32_e32 v7, s21, v14
	s_waitcnt vmcnt(11)
	v_subrev_u32_e32 v8, s21, v19
	;; [unrolled: 2-line block ×8, first 2 shown]
	v_subrev_u32_e32 v1, s21, v13
	v_subrev_u32_e32 v13, s21, v23
	;; [unrolled: 1-line block ×3, first 2 shown]
	s_waitcnt vmcnt(2)
	v_subrev_u32_e32 v29, s21, v37
	s_waitcnt vmcnt(1)
	v_subrev_u32_e32 v31, s21, v39
	;; [unrolled: 2-line block ×3, first 2 shown]
	ds_write_b32 v11, v7 offset:2816
	ds_write_b32 v10, v1 offset:2816
	;; [unrolled: 1-line block ×14, first 2 shown]
	s_andn2_b64 exec, exec, s[24:25]
	s_cbranch_execnz .LBB51_5
; %bb.6:
	s_or_b64 exec, exec, s[24:25]
.LBB51_7:
	s_or_b64 exec, exec, s[6:7]
	v_and_b32_e32 v1, 7, v5
	v_cmp_ne_u32_e32 vcc, 0, v1
	s_and_saveexec_b64 s[6:7], vcc
	s_cbranch_execz .LBB51_10
; %bb.8:
	s_mov_b64 s[24:25], 0
.LBB51_9:                               ; =>This Inner Loop Header: Depth=1
	v_ashrrev_i32_e32 v7, 31, v3
	v_mov_b32_e32 v6, v3
	v_ashrrev_i32_e32 v9, 31, v2
	v_mov_b32_e32 v8, v2
	v_lshl_add_u64 v[6:7], v[6:7], 2, s[18:19]
	v_lshl_add_u64 v[8:9], v[8:9], 2, s[18:19]
	global_load_dword v5, v[6:7], off
	global_load_dword v10, v[8:9], off
	v_add_u32_e32 v1, -1, v1
	v_subrev_u32_e32 v7, s40, v2
	v_cmp_eq_u32_e32 vcc, 0, v1
	v_subrev_u32_e32 v6, s40, v3
	v_add_u32_e32 v3, 0x80, v3
	v_add_u32_e32 v2, 0x80, v2
	v_lshlrev_b32_e32 v7, 2, v7
	s_or_b64 s[24:25], vcc, s[24:25]
	v_lshlrev_b32_e32 v6, 2, v6
	s_waitcnt vmcnt(1)
	v_subrev_u32_e32 v5, s21, v5
	s_waitcnt vmcnt(0)
	v_subrev_u32_e32 v8, s21, v10
	ds_write_b32 v7, v8 offset:2816
	ds_write_b32 v6, v5 offset:2816
	s_andn2_b64 exec, exec, s[24:25]
	s_cbranch_execnz .LBB51_9
.LBB51_10:
	s_or_b64 exec, exec, s[6:7]
	v_add_u32_e32 v1, 1, v4
	v_and_b32_e32 v2, 0x7fffffe, v1
	v_cmp_ne_u32_e32 vcc, v1, v2
	v_lshl_add_u32 v0, v2, 6, v0
	s_orn2_b64 s[6:7], vcc, exec
.LBB51_11:
	s_or_b64 exec, exec, s[4:5]
	s_and_b64 exec, exec, s[6:7]
	s_cbranch_execz .LBB51_14
; %bb.12:
	v_add_u32_e32 v1, s21, v0
	v_subrev_u32_e32 v1, s26, v1
	v_mov_b32_e32 v2, 0xb00
	v_lshl_add_u32 v4, v1, 2, v2
	v_ashrrev_i32_e32 v1, 31, v0
	v_lshl_add_u64 v[2:3], v[0:1], 2, s[18:19]
	s_mov_b64 s[4:5], 0
	s_mov_b64 s[6:7], 0x100
.LBB51_13:                              ; =>This Inner Loop Header: Depth=1
	global_load_dword v1, v[2:3], off
	v_add_u32_e32 v0, 64, v0
	v_cmp_lt_i32_e32 vcc, s33, v0
	v_lshl_add_u64 v[2:3], v[2:3], 0, s[6:7]
	s_or_b64 s[4:5], vcc, s[4:5]
	s_waitcnt vmcnt(0)
	v_subrev_u32_e32 v1, s21, v1
	ds_write_b32 v4, v1
	v_add_u32_e32 v4, 0x100, v4
	s_andn2_b64 exec, exec, s[4:5]
	s_cbranch_execnz .LBB51_13
.LBB51_14:
	s_or_b64 exec, exec, s[2:3]
	s_load_dword s42, s[0:1], 0x0
	s_load_dword s41, s[0:1], 0x8
	s_movk_i32 s6, 0x48
	v_mov_b32_e32 v0, 0x6c0
	v_mad_u32_u24 v18, v16, s6, v0
	v_mov_b32_e32 v30, 0
	v_lshl_add_u32 v1, v15, 3, v18
	v_mov_b32_e32 v31, v30
	s_cmp_ge_i32 s40, s33
	ds_write_b64 v1, v[30:31]
	s_waitcnt lgkmcnt(0)
	s_cbranch_scc1 .LBB51_68
; %bb.15:
	s_cmp_lg_u32 s42, 0
	s_cselect_b64 s[24:25], -1, 0
	s_cmp_eq_u32 s42, 0
	v_cmp_gt_i32_e64 s[0:1], s41, v15
	v_cmp_gt_i32_e64 s[2:3], s41, v16
	v_mov_b32_e32 v0, 0x480
	v_mov_b32_e32 v3, 0x240
	s_cselect_b64 vcc, -1, 0
	s_and_b64 s[26:27], s[0:1], s[2:3]
	v_mad_u32_u24 v19, v16, s6, v0
	v_lshlrev_b32_e32 v2, 3, v15
	v_mad_u32_u24 v24, v16, s6, v3
	v_add_u32_e32 v20, v19, v2
	v_mad_u32_u24 v21, v16, s6, v2
	s_cmp_gt_i32 s41, 0
	v_add_u32_e32 v25, v24, v2
	v_or_b32_e32 v2, v15, v16
	s_mul_i32 s43, s41, s41
	v_mul_lo_u32 v22, s41, v15
	v_mul_lo_u32 v23, s41, v16
	v_cmp_ne_u32_e64 s[4:5], 0, v2
	v_mad_u32_u24 v26, v15, s6, v0
	v_cndmask_b32_e32 v0, v16, v15, vcc
	v_cndmask_b32_e32 v27, v15, v16, vcc
	v_mov_b32_e32 v2, 0
	s_cselect_b64 s[28:29], -1, 0
	s_mov_b32 s30, s40
	s_branch .LBB51_17
.LBB51_16:                              ;   in Loop: Header=BB51_17 Depth=1
	s_or_b64 exec, exec, s[6:7]
	s_add_i32 s30, s30, 1
	s_cmp_ge_i32 s30, s33
	s_cselect_b64 s[6:7], -1, 0
	buffer_wbl2 sc1
	s_waitcnt vmcnt(0)
	buffer_inv sc1
	s_and_b64 vcc, exec, s[6:7]
	s_cbranch_vccnz .LBB51_68
.LBB51_17:                              ; =>This Loop Header: Depth=1
                                        ;     Child Loop BB51_22 Depth 2
                                        ;     Child Loop BB51_33 Depth 2
	;; [unrolled: 1-line block ×4, first 2 shown]
                                        ;       Child Loop BB51_64 Depth 3
	s_ashr_i32 s31, s30, 31
	s_lshl_b64 s[6:7], s[30:31], 2
	s_add_u32 s6, s18, s6
	s_addc_u32 s7, s19, s7
	s_load_dword s31, s[6:7], 0x0
	s_waitcnt lgkmcnt(0)
	s_sub_i32 s34, s31, s21
	s_ashr_i32 s35, s34, 31
	s_lshl_b64 s[6:7], s[34:35], 2
	s_add_u32 s36, s8, s6
	s_addc_u32 s37, s9, s7
	s_load_dword s35, s[36:37], 0x0
	s_waitcnt lgkmcnt(0)
	s_cmp_eq_u32 s35, -1
	s_cbranch_scc1 .LBB51_67
; %bb.18:                               ;   in Loop: Header=BB51_17 Depth=1
	s_add_u32 s36, s16, s6
	v_mov_b32_e32 v4, 0
	s_mul_i32 s38, s30, s41
	s_addc_u32 s37, s17, s7
	v_add_u32_e32 v28, s38, v27
	v_mov_b32_e32 v5, v4
	s_and_saveexec_b64 s[38:39], s[26:27]
	s_cbranch_execz .LBB51_20
; %bb.19:                               ;   in Loop: Header=BB51_17 Depth=1
	v_mad_u64_u32 v[4:5], s[44:45], v28, s41, v[0:1]
	v_ashrrev_i32_e32 v5, 31, v4
	v_lshl_add_u64 v[4:5], v[4:5], 3, s[22:23]
	global_load_dwordx2 v[4:5], v[4:5], off
.LBB51_20:                              ;   in Loop: Header=BB51_17 Depth=1
	s_or_b64 exec, exec, s[38:39]
	s_load_dword s36, s[36:37], 0x0
	ds_read_b32 v3, v2 offset:2816
	s_mov_b32 s37, 0
	s_waitcnt vmcnt(0)
	ds_write_b64 v20, v[4:5]
	s_waitcnt lgkmcnt(0)
	s_sub_i32 s36, s36, s21
	s_cmp_le_i32 s36, s35
	v_cmp_ge_i32_e32 vcc, s34, v3
	s_cselect_b64 s[38:39], -1, 0
	s_and_b64 s[38:39], s[38:39], vcc
	s_andn2_b64 vcc, exec, s[38:39]
	s_cbranch_vccnz .LBB51_32
; %bb.21:                               ;   in Loop: Header=BB51_17 Depth=1
	s_mov_b32 s44, 0
	s_mov_b32 s45, 0
.LBB51_22:                              ;   Parent Loop BB51_17 Depth=1
                                        ; =>  This Inner Loop Header: Depth=2
	s_ashr_i32 s37, s36, 31
	s_lshl_b64 s[38:39], s[36:37], 2
	s_add_u32 s38, s18, s38
	s_addc_u32 s39, s19, s39
	s_load_dword s37, s[38:39], 0x0
	s_lshl_b32 s38, s45, 2
	v_mov_b32_e32 v3, s38
	ds_read_b32 v3, v3 offset:2816
	s_mov_b64 s[38:39], -1
	s_waitcnt lgkmcnt(0)
	s_sub_i32 s49, s37, s21
                                        ; implicit-def: $sgpr37
                                        ; implicit-def: $sgpr48
                                        ; implicit-def: $sgpr47
	v_cmp_ge_i32_e32 vcc, s49, v3
	v_readfirstlane_b32 s46, v3
	s_cbranch_vccz .LBB51_28
; %bb.23:                               ;   in Loop: Header=BB51_22 Depth=2
	s_cmp_le_i32 s49, s46
                                        ; implicit-def: $sgpr37
                                        ; implicit-def: $sgpr48
                                        ; implicit-def: $sgpr47
	s_cbranch_scc0 .LBB51_25
; %bb.24:                               ;   in Loop: Header=BB51_22 Depth=2
	s_add_i32 s37, s45, s40
	s_mul_i32 s37, s37, s43
	s_lshl_b32 s38, s44, 2
	v_mov_b32_e32 v4, s37
	s_mul_i32 s37, s36, s43
	v_mov_b32_e32 v3, s38
	v_mov_b32_e32 v5, s37
	ds_write2st64_b32 v3, v5, v4 offset0:9 offset1:10
	s_add_i32 s47, s45, 1
	s_add_i32 s48, s36, 1
	;; [unrolled: 1-line block ×3, first 2 shown]
	s_mov_b64 s[38:39], 0
.LBB51_25:                              ;   in Loop: Header=BB51_22 Depth=2
	s_andn2_b64 vcc, exec, s[38:39]
	s_cbranch_vccnz .LBB51_27
; %bb.26:                               ;   in Loop: Header=BB51_22 Depth=2
	s_add_i32 s47, s45, 1
	s_mov_b32 s37, s44
	s_mov_b32 s48, s36
.LBB51_27:                              ;   in Loop: Header=BB51_22 Depth=2
	s_mov_b64 s[38:39], 0
.LBB51_28:                              ;   in Loop: Header=BB51_22 Depth=2
	s_andn2_b64 vcc, exec, s[38:39]
	s_cbranch_vccnz .LBB51_30
; %bb.29:                               ;   in Loop: Header=BB51_22 Depth=2
	s_add_i32 s48, s36, 1
	s_mov_b32 s47, s45
	s_mov_b32 s37, s44
.LBB51_30:                              ;   in Loop: Header=BB51_22 Depth=2
	s_cmp_le_i32 s48, s35
	s_cselect_b64 s[38:39], -1, 0
	s_cmp_le_i32 s46, s34
	s_cselect_b64 s[44:45], -1, 0
	s_and_b64 s[38:39], s[38:39], s[44:45]
	s_and_b64 vcc, exec, s[38:39]
	s_cbranch_vccz .LBB51_32
; %bb.31:                               ;   in Loop: Header=BB51_22 Depth=2
	s_mov_b32 s44, s37
	s_mov_b32 s36, s48
	;; [unrolled: 1-line block ×3, first 2 shown]
	s_branch .LBB51_22
.LBB51_32:                              ;   in Loop: Header=BB51_17 Depth=1
	s_add_u32 s6, s10, s6
	s_addc_u32 s7, s11, s7
	s_waitcnt lgkmcnt(0)
.LBB51_33:                              ;   Parent Loop BB51_17 Depth=1
                                        ; =>  This Inner Loop Header: Depth=2
	global_load_dword v3, v2, s[6:7] sc1
	s_waitcnt vmcnt(0)
	v_cmp_eq_u32_e32 vcc, 0, v3
	s_cbranch_vccnz .LBB51_33
; %bb.34:                               ;   in Loop: Header=BB51_17 Depth=1
	v_mov_b32_e32 v5, 0
	v_mov_b32_e32 v6, 0
	;; [unrolled: 1-line block ×3, first 2 shown]
	buffer_inv sc1
	s_and_saveexec_b64 s[6:7], s[26:27]
	s_cbranch_execz .LBB51_36
; %bb.35:                               ;   in Loop: Header=BB51_17 Depth=1
	s_mul_i32 s35, s35, s41
	v_add_u32_e32 v3, s35, v27
	v_mad_u64_u32 v[6:7], s[34:35], v3, s41, v[0:1]
	v_ashrrev_i32_e32 v7, 31, v6
	v_lshl_add_u64 v[6:7], v[6:7], 3, s[22:23]
	global_load_dwordx2 v[6:7], v[6:7], off
.LBB51_36:                              ;   in Loop: Header=BB51_17 Depth=1
	s_or_b64 exec, exec, s[6:7]
	s_cmp_lt_i32 s37, 2
	v_mov_b32_e32 v4, 0
	s_waitcnt vmcnt(0)
	ds_write_b64 v21, v[6:7]
	s_waitcnt lgkmcnt(0)
	s_cbranch_scc1 .LBB51_56
; %bb.37:                               ;   in Loop: Header=BB51_17 Depth=1
	v_mov_b32_e32 v3, v2
	s_add_i32 s34, s37, -2
	s_mov_b32 s35, 0
	v_mov_b64_e32 v[8:9], v[2:3]
	s_andn2_b64 vcc, exec, s[28:29]
	s_cbranch_vccz .LBB51_40
	s_branch .LBB51_39
.LBB51_38:                              ;   in Loop: Header=BB51_17 Depth=1
	s_mov_b32 s35, s6
	v_mov_b64_e32 v[8:9], v[10:11]
	s_andn2_b64 vcc, exec, s[28:29]
	s_cbranch_vccz .LBB51_40
.LBB51_39:                              ;   in Loop: Header=BB51_17 Depth=1
	v_mov_b64_e32 v[10:11], v[8:9]
	s_branch .LBB51_54
.LBB51_40:                              ;   in Loop: Header=BB51_17 Depth=1
	s_lshl_b32 s6, s35, 2
	v_mov_b32_e32 v3, s6
	ds_read2st64_b32 v[6:7], v3 offset0:9 offset1:10
	s_mov_b32 s36, 0
	s_waitcnt lgkmcnt(0)
	v_add_u32_e32 v3, v6, v22
	v_add_u32_e32 v29, v7, v23
	;; [unrolled: 1-line block ×4, first 2 shown]
	s_mov_b64 s[6:7], -1
	s_and_b64 vcc, exec, s[24:25]
                                        ; implicit-def: $vgpr10_vgpr11
	s_cbranch_vccz .LBB51_47
	s_branch .LBB51_42
.LBB51_41:                              ;   in Loop: Header=BB51_47 Depth=2
	v_mov_b64_e32 v[8:9], v[10:11]
	s_mov_b64 s[6:7], -1
	s_and_b64 vcc, exec, s[24:25]
                                        ; implicit-def: $vgpr10_vgpr11
	s_cbranch_vccz .LBB51_47
.LBB51_42:                              ;   in Loop: Header=BB51_17 Depth=1
	v_mov_b32_e32 v12, 0
	v_mov_b32_e32 v10, 0
	v_mov_b32_e32 v11, 0
	s_and_saveexec_b64 s[6:7], s[0:1]
	s_cbranch_execz .LBB51_44
; %bb.43:                               ;   in Loop: Header=BB51_17 Depth=1
	v_ashrrev_i32_e32 v7, 31, v6
	v_lshl_add_u64 v[10:11], v[6:7], 3, s[22:23]
	global_load_dwordx2 v[10:11], v[10:11], off
.LBB51_44:                              ;   in Loop: Header=BB51_17 Depth=1
	s_or_b64 exec, exec, s[6:7]
	v_mov_b32_e32 v14, 0
	s_and_saveexec_b64 s[6:7], s[2:3]
	s_cbranch_execz .LBB51_46
; %bb.45:                               ;   in Loop: Header=BB51_17 Depth=1
	v_ashrrev_i32_e32 v5, 31, v4
	v_lshl_add_u64 v[12:13], v[4:5], 3, s[22:23]
	global_load_dwordx2 v[12:13], v[12:13], off
	s_waitcnt vmcnt(0)
	v_mov_b32_e32 v14, v13
.LBB51_46:                              ;   in Loop: Header=BB51_17 Depth=1
	s_or_b64 exec, exec, s[6:7]
	s_waitcnt vmcnt(0)
	v_pk_fma_f32 v[12:13], v[10:11], v[12:13], v[8:9] op_sel:[1,0,0] op_sel_hi:[0,0,1]
	v_pk_fma_f32 v[10:11], v[10:11], v[14:15], v[12:13] op_sel_hi:[1,0,1] neg_lo:[0,1,0]
	s_mov_b64 s[6:7], 0
.LBB51_47:                              ;   Parent Loop BB51_17 Depth=1
                                        ; =>  This Inner Loop Header: Depth=2
	s_and_b64 vcc, exec, s[6:7]
	s_cbranch_vccz .LBB51_53
; %bb.48:                               ;   in Loop: Header=BB51_47 Depth=2
	v_mov_b32_e32 v12, 0
	v_mov_b32_e32 v10, 0
	;; [unrolled: 1-line block ×3, first 2 shown]
	s_and_saveexec_b64 s[6:7], s[0:1]
	s_cbranch_execz .LBB51_50
; %bb.49:                               ;   in Loop: Header=BB51_47 Depth=2
	v_add_u32_e32 v10, s36, v3
	v_ashrrev_i32_e32 v11, 31, v10
	v_lshl_add_u64 v[10:11], v[10:11], 3, s[22:23]
	global_load_dwordx2 v[10:11], v[10:11], off
.LBB51_50:                              ;   in Loop: Header=BB51_47 Depth=2
	s_or_b64 exec, exec, s[6:7]
	v_mov_b32_e32 v14, 0
	s_and_saveexec_b64 s[6:7], s[2:3]
	s_cbranch_execz .LBB51_52
; %bb.51:                               ;   in Loop: Header=BB51_47 Depth=2
	v_add_u32_e32 v12, s36, v29
	v_ashrrev_i32_e32 v13, 31, v12
	v_lshl_add_u64 v[12:13], v[12:13], 3, s[22:23]
	global_load_dwordx2 v[12:13], v[12:13], off
	s_waitcnt vmcnt(0)
	v_mov_b32_e32 v14, v13
.LBB51_52:                              ;   in Loop: Header=BB51_47 Depth=2
	s_or_b64 exec, exec, s[6:7]
	s_waitcnt vmcnt(0)
	v_pk_fma_f32 v[8:9], v[10:11], v[12:13], v[8:9] op_sel:[1,0,0] op_sel_hi:[0,0,1]
	v_pk_fma_f32 v[10:11], v[10:11], v[14:15], v[8:9] op_sel_hi:[1,0,1] neg_lo:[0,1,0]
.LBB51_53:                              ;   in Loop: Header=BB51_47 Depth=2
	s_add_i32 s36, s36, 1
	v_add_u32_e32 v4, s41, v4
	s_cmp_eq_u32 s41, s36
	v_add_u32_e32 v6, s41, v6
	s_cbranch_scc0 .LBB51_41
.LBB51_54:                              ;   in Loop: Header=BB51_17 Depth=1
	s_add_i32 s6, s35, 1
	s_cmp_eq_u32 s35, s34
	s_cbranch_scc0 .LBB51_38
; %bb.55:                               ;   in Loop: Header=BB51_17 Depth=1
	v_mov_b32_e32 v5, v10
	v_mov_b32_e32 v4, v11
.LBB51_56:                              ;   in Loop: Header=BB51_17 Depth=1
	s_andn2_b64 vcc, exec, s[28:29]
	ds_write_b64 v25, v[4:5]
	s_waitcnt lgkmcnt(0)
	s_cbranch_vccnz .LBB51_65
; %bb.57:                               ;   in Loop: Header=BB51_17 Depth=1
	s_mov_b32 s36, 0
	v_mov_b32_e32 v9, s31
	s_mov_b32 s31, 0
	s_branch .LBB51_59
.LBB51_58:                              ;   in Loop: Header=BB51_59 Depth=2
	v_mul_f32_e32 v7, v8, v8
	v_fmac_f32_e32 v7, v6, v6
	v_div_scale_f32 v12, s[6:7], v7, v7, 1.0
	v_rcp_f32_e32 v13, v12
	v_div_scale_f32 v14, vcc, 1.0, v7, 1.0
	s_waitcnt lgkmcnt(0)
	v_pk_add_f32 v[4:5], v[4:5], v[10:11] neg_lo:[0,1] neg_hi:[0,1]
	v_fma_f32 v29, -v12, v13, 1.0
	v_fmac_f32_e32 v13, v29, v13
	v_mul_f32_e32 v29, v14, v13
	v_fma_f32 v31, -v12, v29, v14
	v_fmac_f32_e32 v29, v31, v13
	v_fma_f32 v12, -v12, v29, v14
	v_div_fmas_f32 v12, v12, v13, v29
	v_xor_b32_e32 v11, 0x80000000, v4
	v_mov_b32_e32 v10, v5
	v_div_fixup_f32 v12, v12, v7, 1.0
	v_lshl_add_u32 v7, s31, 3, v26
	v_pk_mul_f32 v[10:11], v[8:9], v[10:11] op_sel_hi:[0,1]
	v_pk_fma_f32 v[4:5], v[4:5], v[6:7], v[10:11] op_sel_hi:[1,0,1]
	s_add_i32 s31, s31, 1
	v_pk_mul_f32 v[4:5], v[12:13], v[4:5] op_sel_hi:[0,1]
	ds_write_b64 v3, v[4:5]
	s_waitcnt lgkmcnt(0)
	ds_read_b64 v[6:7], v7
	ds_read_b64 v[10:11], v1
	s_addk_i32 s36, 0x48
	s_cmp_eq_u32 s31, s41
	s_waitcnt lgkmcnt(0)
	v_pk_fma_f32 v[10:11], v[4:5], v[6:7], v[10:11] op_sel_hi:[1,0,1]
	s_nop 0
	v_pk_fma_f32 v[4:5], v[4:5], v[6:7], v[10:11] op_sel:[0,1,1] op_sel_hi:[1,1,0] neg_lo:[0,1,0]
	s_nop 0
	v_pk_mov_b32 v[4:5], v[4:5], v[4:5] op_sel:[1,0]
	ds_write_b64 v1, v[4:5]
	s_waitcnt lgkmcnt(0)
	s_cbranch_scc1 .LBB51_65
.LBB51_59:                              ;   Parent Loop BB51_17 Depth=1
                                        ; =>  This Loop Header: Depth=2
                                        ;       Child Loop BB51_64 Depth 3
	s_lshl_b32 s6, s31, 3
	s_mul_i32 s7, s31, 0x48
	s_add_i32 s7, s7, s6
	v_mov_b32_e32 v3, s7
	ds_read_b64 v[6:7], v3
	v_add_u32_e32 v3, s6, v19
	ds_read_b64 v[4:5], v3
	s_waitcnt lgkmcnt(1)
	v_cmp_neq_f32_e32 vcc, 0, v6
	v_cmp_neq_f32_e64 s[6:7], 0, v7
	s_or_b64 vcc, vcc, s[6:7]
	v_cndmask_b32_e32 v8, 0, v7, vcc
	s_nor_b64 s[34:35], vcc, s[4:5]
	v_cndmask_b32_e32 v6, 1.0, v6, vcc
	s_and_saveexec_b64 s[6:7], s[34:35]
	s_cbranch_execz .LBB51_63
; %bb.60:                               ;   in Loop: Header=BB51_59 Depth=2
	v_mbcnt_lo_u32_b32 v6, exec_lo, 0
	v_mbcnt_hi_u32_b32 v6, exec_hi, v6
	v_cmp_eq_u32_e32 vcc, 0, v6
	s_and_saveexec_b64 s[34:35], vcc
	s_cbranch_execz .LBB51_62
; %bb.61:                               ;   in Loop: Header=BB51_59 Depth=2
	global_atomic_smin v2, v9, s[14:15]
.LBB51_62:                              ;   in Loop: Header=BB51_59 Depth=2
	s_or_b64 exec, exec, s[34:35]
	v_mov_b32_e32 v6, 1.0
	v_mov_b32_e32 v8, 0
.LBB51_63:                              ;   in Loop: Header=BB51_59 Depth=2
	s_or_b64 exec, exec, s[6:7]
	v_lshl_add_u32 v7, s31, 3, v24
	ds_read_b64 v[10:11], v7
	s_cmp_eq_u32 s31, 0
	v_mov_b32_e32 v7, v19
	s_mov_b32 s6, s36
	s_mov_b32 s7, s31
	s_cbranch_scc1 .LBB51_58
.LBB51_64:                              ;   Parent Loop BB51_17 Depth=1
                                        ;     Parent Loop BB51_59 Depth=2
                                        ; =>    This Inner Loop Header: Depth=3
	v_mov_b32_e32 v14, s6
	ds_read_b64 v[12:13], v7
	ds_read_b64 v[32:33], v14
	s_add_i32 s7, s7, -1
	s_add_i32 s6, s6, 8
	v_add_u32_e32 v7, 8, v7
	s_cmp_eq_u32 s7, 0
	s_waitcnt lgkmcnt(0)
	v_pk_fma_f32 v[10:11], v[32:33], v[12:13], v[10:11] op_sel_hi:[1,0,1]
	s_nop 0
	v_pk_fma_f32 v[10:11], v[32:33], v[12:13], v[10:11] op_sel:[1,1,0] op_sel_hi:[0,1,1] neg_hi:[0,1,0]
	s_cbranch_scc0 .LBB51_64
	s_branch .LBB51_58
.LBB51_65:                              ;   in Loop: Header=BB51_17 Depth=1
	s_and_saveexec_b64 s[6:7], s[26:27]
	s_cbranch_execz .LBB51_16
; %bb.66:                               ;   in Loop: Header=BB51_17 Depth=1
	ds_read_b64 v[4:5], v20
	v_mad_u64_u32 v[6:7], s[34:35], v28, s41, v[0:1]
	v_ashrrev_i32_e32 v7, 31, v6
	v_lshl_add_u64 v[6:7], v[6:7], 3, s[22:23]
	s_waitcnt lgkmcnt(0)
	global_store_dwordx2 v[6:7], v[4:5], off
	s_branch .LBB51_16
.LBB51_67:                              ;   in Loop: Header=BB51_17 Depth=1
                                        ; implicit-def: $sgpr30
	s_cbranch_execz .LBB51_17
.LBB51_68:
	s_cmp_eq_u32 s42, 0
	s_cselect_b64 vcc, -1, 0
	v_max_i32_e32 v0, v15, v16
	v_cndmask_b32_e32 v2, v15, v16, vcc
	s_mul_i32 s33, s33, s41
	v_cmp_gt_i32_e64 s[0:1], s41, v0
	v_cndmask_b32_e32 v0, v16, v15, vcc
	v_add_u32_e32 v5, s33, v2
	v_mov_b32_e32 v31, 0
	s_and_saveexec_b64 s[2:3], s[0:1]
	s_cbranch_execz .LBB51_70
; %bb.69:
	v_mad_u64_u32 v[2:3], s[4:5], v5, s41, v[0:1]
	v_ashrrev_i32_e32 v3, 31, v2
	v_lshl_add_u64 v[2:3], v[2:3], 3, s[22:23]
	global_load_dwordx2 v[30:31], v[2:3], off
.LBB51_70:
	s_or_b64 exec, exec, s[2:3]
	s_movk_i32 s4, 0x48
	v_mov_b32_e32 v2, 0x480
	v_mad_u32_u24 v7, v16, s4, v2
	s_movk_i32 s18, 0x480
	v_lshl_add_u32 v6, v15, 3, v7
	s_cmp_lt_i32 s41, 1
	s_waitcnt vmcnt(0)
	ds_write_b64 v6, v[30:31]
	s_waitcnt lgkmcnt(0)
	s_cbranch_scc1 .LBB51_87
; %bb.71:
	v_or_b32_e32 v3, v15, v16
	s_add_i32 s5, s20, s21
	s_mov_b32 s19, 0
	v_cmp_ne_u32_e64 s[2:3], 0, v3
	v_add_u32_e32 v8, v7, v17
	v_add_u32_e32 v9, v18, v17
	v_mad_u32_u24 v10, v15, s4, v2
	s_mov_b32 s24, 0xf800000
	v_mov_b32_e32 v11, 0x260
	v_mov_b32_e32 v3, 0
	;; [unrolled: 1-line block ×3, first 2 shown]
	s_branch .LBB51_73
.LBB51_72:                              ;   in Loop: Header=BB51_73 Depth=1
	s_or_b64 exec, exec, s[4:5]
	s_add_i32 s19, s19, 1
	s_addk_i32 s18, 0x50
	v_add_u32_e32 v7, 8, v7
	s_cmp_eq_u32 s41, s19
	v_add_u32_e32 v10, 8, v10
	s_waitcnt lgkmcnt(0)
	s_cbranch_scc1 .LBB51_87
.LBB51_73:                              ; =>This Inner Loop Header: Depth=1
	v_cmp_eq_u32_e32 vcc, s19, v16
	s_and_saveexec_b64 s[6:7], vcc
	s_cbranch_execz .LBB51_81
; %bb.74:                               ;   in Loop: Header=BB51_73 Depth=1
	ds_read_b64 v[12:13], v8
	ds_read_b64 v[18:19], v9
	s_waitcnt lgkmcnt(0)
	v_sub_f32_e32 v2, v12, v18
	v_sub_f32_e32 v13, v13, v19
	v_cmp_gt_f32_e32 vcc, 0, v2
                                        ; implicit-def: $vgpr12
	s_nop 1
	v_cndmask_b32_e64 v2, v2, -v2, vcc
	v_cmp_gt_f32_e32 vcc, 0, v13
	s_nop 1
	v_cndmask_b32_e64 v4, v13, -v13, vcc
	v_cmp_ngt_f32_e32 vcc, v2, v4
	s_and_saveexec_b64 s[4:5], vcc
	s_xor_b64 s[8:9], exec, s[4:5]
	s_cbranch_execz .LBB51_78
; %bb.75:                               ;   in Loop: Header=BB51_73 Depth=1
	v_mov_b32_e32 v12, 0
	v_cmp_neq_f32_e32 vcc, 0, v13
	s_and_saveexec_b64 s[16:17], vcc
	s_cbranch_execz .LBB51_77
; %bb.76:                               ;   in Loop: Header=BB51_73 Depth=1
	v_div_scale_f32 v12, s[4:5], v4, v4, v2
	v_rcp_f32_e32 v13, v12
	v_div_scale_f32 v17, vcc, v2, v4, v2
	v_fma_f32 v18, -v12, v13, 1.0
	v_fmac_f32_e32 v13, v18, v13
	v_mul_f32_e32 v18, v17, v13
	v_fma_f32 v19, -v12, v18, v17
	v_fmac_f32_e32 v18, v19, v13
	v_fma_f32 v12, -v12, v18, v17
	v_div_fmas_f32 v12, v12, v13, v18
	v_div_fixup_f32 v2, v12, v4, v2
	v_fma_f32 v2, v2, v2, 1.0
	v_mul_f32_e32 v12, 0x4f800000, v2
	v_cmp_gt_f32_e32 vcc, s24, v2
	s_nop 1
	v_cndmask_b32_e32 v2, v2, v12, vcc
	v_sqrt_f32_e32 v12, v2
	s_nop 0
	v_add_u32_e32 v13, -1, v12
	v_fma_f32 v17, -v13, v12, v2
	v_cmp_ge_f32_e64 s[4:5], 0, v17
	v_add_u32_e32 v17, 1, v12
	s_nop 0
	v_cndmask_b32_e64 v13, v12, v13, s[4:5]
	v_fma_f32 v12, -v17, v12, v2
	v_cmp_lt_f32_e64 s[4:5], 0, v12
	s_nop 1
	v_cndmask_b32_e64 v12, v13, v17, s[4:5]
	v_mul_f32_e32 v13, 0x37800000, v12
	v_cndmask_b32_e32 v12, v12, v13, vcc
	v_cmp_class_f32_e32 vcc, v2, v11
	s_nop 1
	v_cndmask_b32_e32 v2, v12, v2, vcc
	v_mul_f32_e32 v12, v4, v2
.LBB51_77:                              ;   in Loop: Header=BB51_73 Depth=1
	s_or_b64 exec, exec, s[16:17]
                                        ; implicit-def: $vgpr2
                                        ; implicit-def: $vgpr4
.LBB51_78:                              ;   in Loop: Header=BB51_73 Depth=1
	s_andn2_saveexec_b64 s[8:9], s[8:9]
	s_cbranch_execz .LBB51_80
; %bb.79:                               ;   in Loop: Header=BB51_73 Depth=1
	v_div_scale_f32 v12, s[4:5], v2, v2, v4
	v_rcp_f32_e32 v13, v12
	v_div_scale_f32 v17, vcc, v4, v2, v4
	v_fma_f32 v18, -v12, v13, 1.0
	v_fmac_f32_e32 v13, v18, v13
	v_mul_f32_e32 v18, v17, v13
	v_fma_f32 v19, -v12, v18, v17
	v_fmac_f32_e32 v18, v19, v13
	v_fma_f32 v12, -v12, v18, v17
	v_div_fmas_f32 v12, v12, v13, v18
	v_div_fixup_f32 v4, v12, v2, v4
	v_fma_f32 v4, v4, v4, 1.0
	v_mul_f32_e32 v12, 0x4f800000, v4
	v_cmp_gt_f32_e32 vcc, s24, v4
	s_nop 1
	v_cndmask_b32_e32 v4, v4, v12, vcc
	v_sqrt_f32_e32 v12, v4
	s_nop 0
	v_add_u32_e32 v13, -1, v12
	v_fma_f32 v17, -v13, v12, v4
	v_cmp_ge_f32_e64 s[4:5], 0, v17
	v_add_u32_e32 v17, 1, v12
	s_nop 0
	v_cndmask_b32_e64 v13, v12, v13, s[4:5]
	v_fma_f32 v12, -v17, v12, v4
	v_cmp_lt_f32_e64 s[4:5], 0, v12
	s_nop 1
	v_cndmask_b32_e64 v12, v13, v17, s[4:5]
	v_mul_f32_e32 v13, 0x37800000, v12
	v_cndmask_b32_e32 v12, v12, v13, vcc
	v_cmp_class_f32_e32 vcc, v4, v11
	s_nop 1
	v_cndmask_b32_e32 v4, v12, v4, vcc
	v_mul_f32_e32 v12, v2, v4
.LBB51_80:                              ;   in Loop: Header=BB51_73 Depth=1
	s_or_b64 exec, exec, s[8:9]
	v_mul_f32_e32 v2, 0x4f800000, v12
	v_cmp_gt_f32_e32 vcc, s24, v12
	s_nop 1
	v_cndmask_b32_e32 v2, v12, v2, vcc
	v_sqrt_f32_e32 v4, v2
	s_nop 0
	v_add_u32_e32 v12, -1, v4
	v_fma_f32 v17, -v12, v4, v2
	v_add_u32_e32 v13, 1, v4
	v_cmp_ge_f32_e64 s[4:5], 0, v17
	s_nop 1
	v_cndmask_b32_e64 v12, v4, v12, s[4:5]
	v_fma_f32 v4, -v13, v4, v2
	v_cmp_lt_f32_e64 s[4:5], 0, v4
	s_nop 1
	v_cndmask_b32_e64 v4, v12, v13, s[4:5]
	v_mul_f32_e32 v12, 0x37800000, v4
	v_cndmask_b32_e32 v4, v4, v12, vcc
	v_cmp_class_f32_e32 vcc, v2, v11
	s_nop 1
	v_cndmask_b32_e32 v2, v4, v2, vcc
	ds_write_b64 v8, v[2:3]
.LBB51_81:                              ;   in Loop: Header=BB51_73 Depth=1
	s_or_b64 exec, exec, s[6:7]
	v_mov_b32_e32 v2, s18
	s_waitcnt lgkmcnt(0)
	ds_read_b64 v[12:13], v2
	s_waitcnt lgkmcnt(0)
	v_cmp_neq_f32_e32 vcc, 0, v12
	v_cmp_neq_f32_e64 s[4:5], 0, v13
	s_or_b64 vcc, vcc, s[4:5]
	v_cndmask_b32_e32 v4, 0, v13, vcc
	s_nor_b64 s[6:7], vcc, s[2:3]
	v_cndmask_b32_e32 v2, 1.0, v12, vcc
	s_and_saveexec_b64 s[4:5], s[6:7]
	s_cbranch_execz .LBB51_85
; %bb.82:                               ;   in Loop: Header=BB51_73 Depth=1
	v_mbcnt_lo_u32_b32 v2, exec_lo, 0
	v_mbcnt_hi_u32_b32 v2, exec_hi, v2
	v_cmp_eq_u32_e32 vcc, 0, v2
	s_and_saveexec_b64 s[6:7], vcc
	s_cbranch_execz .LBB51_84
; %bb.83:                               ;   in Loop: Header=BB51_73 Depth=1
	global_atomic_smin v3, v14, s[14:15]
.LBB51_84:                              ;   in Loop: Header=BB51_73 Depth=1
	s_or_b64 exec, exec, s[6:7]
	v_mov_b32_e32 v2, 1.0
	v_mov_b32_e32 v4, 0
.LBB51_85:                              ;   in Loop: Header=BB51_73 Depth=1
	s_or_b64 exec, exec, s[4:5]
	v_cmp_lt_u32_e32 vcc, s19, v16
	s_and_saveexec_b64 s[4:5], vcc
	s_cbranch_execz .LBB51_72
; %bb.86:                               ;   in Loop: Header=BB51_73 Depth=1
	v_mul_f32_e32 v12, v4, v4
	v_fmac_f32_e32 v12, v2, v2
	v_div_scale_f32 v13, s[6:7], v12, v12, 1.0
	v_rcp_f32_e32 v17, v13
	ds_read2_b64 v[18:21], v7 offset1:72
	v_fma_f32 v22, -v13, v17, 1.0
	v_fmac_f32_e32 v17, v22, v17
	v_div_scale_f32 v22, vcc, 1.0, v12, 1.0
	v_mul_f32_e32 v23, v22, v17
	v_fma_f32 v24, -v13, v23, v22
	v_fmac_f32_e32 v23, v24, v17
	s_waitcnt lgkmcnt(0)
	v_pk_add_f32 v[18:19], v[18:19], v[20:21] op_sel:[1,1] op_sel_hi:[0,0] neg_lo:[0,1] neg_hi:[0,1]
	v_fma_f32 v13, -v13, v23, v22
	v_xor_b32_e32 v20, 0x80000000, v19
	v_mov_b32_e32 v21, v18
	v_div_fmas_f32 v13, v13, v17, v23
	v_pk_mul_f32 v[20:21], v[4:5], v[20:21] op_sel_hi:[0,1]
	v_div_fixup_f32 v12, v13, v12, 1.0
	v_pk_fma_f32 v[18:19], v[18:19], v[2:3], v[20:21] op_sel_hi:[1,0,1]
	s_nop 0
	v_pk_mul_f32 v[12:13], v[12:13], v[18:19] op_sel_hi:[0,1]
	v_pk_mov_b32 v[18:19], v[12:13], v[12:13] op_sel:[1,0]
	ds_write_b64 v7, v[18:19]
	s_waitcnt lgkmcnt(0)
	ds_read_b64 v[18:19], v10
	ds_read_b64 v[20:21], v1
	s_waitcnt lgkmcnt(0)
	v_pk_fma_f32 v[20:21], v[12:13], v[18:19], v[20:21] op_sel:[1,0,0] op_sel_hi:[0,0,1]
	v_pk_fma_f32 v[12:13], v[12:13], v[18:19], v[20:21] op_sel:[0,1,0] neg_hi:[0,1,0]
	ds_write_b64 v1, v[12:13]
	s_branch .LBB51_72
.LBB51_87:
	s_and_saveexec_b64 s[2:3], s[0:1]
	s_cbranch_execz .LBB51_89
; %bb.88:
	ds_read_b64 v[2:3], v6
	v_mad_u64_u32 v[0:1], s[0:1], v5, s41, v[0:1]
	v_ashrrev_i32_e32 v1, 31, v0
	v_lshl_add_u64 v[0:1], v[0:1], 3, s[22:23]
	s_waitcnt lgkmcnt(0)
	global_store_dwordx2 v[0:1], v[2:3], off
.LBB51_89:
	s_or_b64 exec, exec, s[2:3]
	v_or_b32_e32 v0, v15, v16
	v_cmp_eq_u32_e32 vcc, 0, v0
	s_and_saveexec_b64 s[0:1], vcc
	s_cbranch_execz .LBB51_91
; %bb.90:
	s_add_u32 s2, s10, s12
	s_addc_u32 s3, s11, s13
	v_mov_b32_e32 v0, 0
	v_mov_b32_e32 v1, 1
	buffer_wbl2 sc1
	s_waitcnt vmcnt(0)
	global_store_dword v0, v1, s[2:3] sc1
.LBB51_91:
	s_or_b64 exec, exec, s[0:1]
.LBB51_92:
	s_endpgm
.LBB51_93:
	s_cbranch_execz .LBB51_92
; %bb.94:
	v_or_b32_e32 v0, v15, v16
	v_cmp_eq_u32_e32 vcc, 0, v0
	s_and_saveexec_b64 s[0:1], vcc
	s_cbranch_execz .LBB51_92
; %bb.95:
	v_mbcnt_lo_u32_b32 v0, exec_lo, 0
	v_mbcnt_hi_u32_b32 v0, exec_hi, v0
	v_cmp_eq_u32_e32 vcc, 0, v0
	s_and_saveexec_b64 s[0:1], vcc
	s_cbranch_execz .LBB51_97
; %bb.96:
	s_add_i32 s2, s20, s21
	v_mov_b32_e32 v0, 0
	v_mov_b32_e32 v1, s2
	global_atomic_smin v0, v1, s[14:15]
.LBB51_97:
	s_or_b64 exec, exec, s[0:1]
	s_add_u32 s0, s10, s12
	s_addc_u32 s1, s11, s13
	v_mov_b32_e32 v0, 0
	v_mov_b32_e32 v1, 1
	buffer_wbl2 sc1
	s_waitcnt vmcnt(0)
	global_store_dword v0, v1, s[0:1] sc1
	s_endpgm
	.section	.rodata,"a",@progbits
	.p2align	6, 0x0
	.amdhsa_kernel _ZN9rocsparseL17bsric0_2_8_kernelILi64ELi64ELi8E21rocsparse_complex_numIfEEEv20rocsparse_direction_iiPKiS5_PT2_S5_PiS5_S8_21rocsparse_index_base_
		.amdhsa_group_segment_fixed_size 3072
		.amdhsa_private_segment_fixed_size 0
		.amdhsa_kernarg_size 76
		.amdhsa_user_sgpr_count 2
		.amdhsa_user_sgpr_dispatch_ptr 0
		.amdhsa_user_sgpr_queue_ptr 0
		.amdhsa_user_sgpr_kernarg_segment_ptr 1
		.amdhsa_user_sgpr_dispatch_id 0
		.amdhsa_user_sgpr_kernarg_preload_length 0
		.amdhsa_user_sgpr_kernarg_preload_offset 0
		.amdhsa_user_sgpr_private_segment_size 0
		.amdhsa_uses_dynamic_stack 0
		.amdhsa_enable_private_segment 0
		.amdhsa_system_sgpr_workgroup_id_x 1
		.amdhsa_system_sgpr_workgroup_id_y 0
		.amdhsa_system_sgpr_workgroup_id_z 0
		.amdhsa_system_sgpr_workgroup_info 0
		.amdhsa_system_vgpr_workitem_id 1
		.amdhsa_next_free_vgpr 66
		.amdhsa_next_free_sgpr 50
		.amdhsa_accum_offset 68
		.amdhsa_reserve_vcc 1
		.amdhsa_float_round_mode_32 0
		.amdhsa_float_round_mode_16_64 0
		.amdhsa_float_denorm_mode_32 3
		.amdhsa_float_denorm_mode_16_64 3
		.amdhsa_dx10_clamp 1
		.amdhsa_ieee_mode 1
		.amdhsa_fp16_overflow 0
		.amdhsa_tg_split 0
		.amdhsa_exception_fp_ieee_invalid_op 0
		.amdhsa_exception_fp_denorm_src 0
		.amdhsa_exception_fp_ieee_div_zero 0
		.amdhsa_exception_fp_ieee_overflow 0
		.amdhsa_exception_fp_ieee_underflow 0
		.amdhsa_exception_fp_ieee_inexact 0
		.amdhsa_exception_int_div_zero 0
	.end_amdhsa_kernel
	.section	.text._ZN9rocsparseL17bsric0_2_8_kernelILi64ELi64ELi8E21rocsparse_complex_numIfEEEv20rocsparse_direction_iiPKiS5_PT2_S5_PiS5_S8_21rocsparse_index_base_,"axG",@progbits,_ZN9rocsparseL17bsric0_2_8_kernelILi64ELi64ELi8E21rocsparse_complex_numIfEEEv20rocsparse_direction_iiPKiS5_PT2_S5_PiS5_S8_21rocsparse_index_base_,comdat
.Lfunc_end51:
	.size	_ZN9rocsparseL17bsric0_2_8_kernelILi64ELi64ELi8E21rocsparse_complex_numIfEEEv20rocsparse_direction_iiPKiS5_PT2_S5_PiS5_S8_21rocsparse_index_base_, .Lfunc_end51-_ZN9rocsparseL17bsric0_2_8_kernelILi64ELi64ELi8E21rocsparse_complex_numIfEEEv20rocsparse_direction_iiPKiS5_PT2_S5_PiS5_S8_21rocsparse_index_base_
                                        ; -- End function
	.set _ZN9rocsparseL17bsric0_2_8_kernelILi64ELi64ELi8E21rocsparse_complex_numIfEEEv20rocsparse_direction_iiPKiS5_PT2_S5_PiS5_S8_21rocsparse_index_base_.num_vgpr, 66
	.set _ZN9rocsparseL17bsric0_2_8_kernelILi64ELi64ELi8E21rocsparse_complex_numIfEEEv20rocsparse_direction_iiPKiS5_PT2_S5_PiS5_S8_21rocsparse_index_base_.num_agpr, 0
	.set _ZN9rocsparseL17bsric0_2_8_kernelILi64ELi64ELi8E21rocsparse_complex_numIfEEEv20rocsparse_direction_iiPKiS5_PT2_S5_PiS5_S8_21rocsparse_index_base_.numbered_sgpr, 50
	.set _ZN9rocsparseL17bsric0_2_8_kernelILi64ELi64ELi8E21rocsparse_complex_numIfEEEv20rocsparse_direction_iiPKiS5_PT2_S5_PiS5_S8_21rocsparse_index_base_.num_named_barrier, 0
	.set _ZN9rocsparseL17bsric0_2_8_kernelILi64ELi64ELi8E21rocsparse_complex_numIfEEEv20rocsparse_direction_iiPKiS5_PT2_S5_PiS5_S8_21rocsparse_index_base_.private_seg_size, 0
	.set _ZN9rocsparseL17bsric0_2_8_kernelILi64ELi64ELi8E21rocsparse_complex_numIfEEEv20rocsparse_direction_iiPKiS5_PT2_S5_PiS5_S8_21rocsparse_index_base_.uses_vcc, 1
	.set _ZN9rocsparseL17bsric0_2_8_kernelILi64ELi64ELi8E21rocsparse_complex_numIfEEEv20rocsparse_direction_iiPKiS5_PT2_S5_PiS5_S8_21rocsparse_index_base_.uses_flat_scratch, 0
	.set _ZN9rocsparseL17bsric0_2_8_kernelILi64ELi64ELi8E21rocsparse_complex_numIfEEEv20rocsparse_direction_iiPKiS5_PT2_S5_PiS5_S8_21rocsparse_index_base_.has_dyn_sized_stack, 0
	.set _ZN9rocsparseL17bsric0_2_8_kernelILi64ELi64ELi8E21rocsparse_complex_numIfEEEv20rocsparse_direction_iiPKiS5_PT2_S5_PiS5_S8_21rocsparse_index_base_.has_recursion, 0
	.set _ZN9rocsparseL17bsric0_2_8_kernelILi64ELi64ELi8E21rocsparse_complex_numIfEEEv20rocsparse_direction_iiPKiS5_PT2_S5_PiS5_S8_21rocsparse_index_base_.has_indirect_call, 0
	.section	.AMDGPU.csdata,"",@progbits
; Kernel info:
; codeLenInByte = 4640
; TotalNumSgprs: 56
; NumVgprs: 66
; NumAgprs: 0
; TotalNumVgprs: 66
; ScratchSize: 0
; MemoryBound: 0
; FloatMode: 240
; IeeeMode: 1
; LDSByteSize: 3072 bytes/workgroup (compile time only)
; SGPRBlocks: 6
; VGPRBlocks: 8
; NumSGPRsForWavesPerEU: 56
; NumVGPRsForWavesPerEU: 66
; AccumOffset: 68
; Occupancy: 7
; WaveLimiterHint : 1
; COMPUTE_PGM_RSRC2:SCRATCH_EN: 0
; COMPUTE_PGM_RSRC2:USER_SGPR: 2
; COMPUTE_PGM_RSRC2:TRAP_HANDLER: 0
; COMPUTE_PGM_RSRC2:TGID_X_EN: 1
; COMPUTE_PGM_RSRC2:TGID_Y_EN: 0
; COMPUTE_PGM_RSRC2:TGID_Z_EN: 0
; COMPUTE_PGM_RSRC2:TIDIG_COMP_CNT: 1
; COMPUTE_PGM_RSRC3_GFX90A:ACCUM_OFFSET: 16
; COMPUTE_PGM_RSRC3_GFX90A:TG_SPLIT: 0
	.section	.text._ZN9rocsparseL18bsric0_9_16_kernelILi64ELi64ELi16E21rocsparse_complex_numIfEEEv20rocsparse_direction_iiPKiS5_PT2_S5_PiS5_S8_21rocsparse_index_base_,"axG",@progbits,_ZN9rocsparseL18bsric0_9_16_kernelILi64ELi64ELi16E21rocsparse_complex_numIfEEEv20rocsparse_direction_iiPKiS5_PT2_S5_PiS5_S8_21rocsparse_index_base_,comdat
	.globl	_ZN9rocsparseL18bsric0_9_16_kernelILi64ELi64ELi16E21rocsparse_complex_numIfEEEv20rocsparse_direction_iiPKiS5_PT2_S5_PiS5_S8_21rocsparse_index_base_ ; -- Begin function _ZN9rocsparseL18bsric0_9_16_kernelILi64ELi64ELi16E21rocsparse_complex_numIfEEEv20rocsparse_direction_iiPKiS5_PT2_S5_PiS5_S8_21rocsparse_index_base_
	.p2align	8
	.type	_ZN9rocsparseL18bsric0_9_16_kernelILi64ELi64ELi16E21rocsparse_complex_numIfEEEv20rocsparse_direction_iiPKiS5_PT2_S5_PiS5_S8_21rocsparse_index_base_,@function
_ZN9rocsparseL18bsric0_9_16_kernelILi64ELi64ELi16E21rocsparse_complex_numIfEEEv20rocsparse_direction_iiPKiS5_PT2_S5_PiS5_S8_21rocsparse_index_base_: ; @_ZN9rocsparseL18bsric0_9_16_kernelILi64ELi64ELi16E21rocsparse_complex_numIfEEEv20rocsparse_direction_iiPKiS5_PT2_S5_PiS5_S8_21rocsparse_index_base_
; %bb.0:
	s_load_dwordx8 s[12:19], s[0:1], 0x28
	s_mov_b32 s3, 0
	s_lshl_b64 s[2:3], s[2:3], 2
	v_and_b32_e32 v1, 0x3ff, v0
	v_bfe_u32 v0, v0, 10, 10
	s_waitcnt lgkmcnt(0)
	s_add_u32 s2, s16, s2
	s_addc_u32 s3, s17, s3
	s_load_dword s24, s[2:3], 0x0
	s_waitcnt lgkmcnt(0)
	s_ashr_i32 s25, s24, 31
	s_lshl_b64 s[16:17], s[24:25], 2
	s_add_u32 s2, s12, s16
	s_addc_u32 s3, s13, s17
	s_load_dword s33, s[2:3], 0x0
	s_load_dword s25, s[0:1], 0x48
	s_waitcnt lgkmcnt(0)
	s_cmp_lg_u32 s33, -1
	s_cbranch_scc0 .LBB52_148
; %bb.1:
	s_load_dwordx4 s[20:23], s[0:1], 0x10
	s_load_dwordx2 s[26:27], s[0:1], 0x20
	v_lshlrev_b32_e32 v2, 2, v0
	s_waitcnt lgkmcnt(0)
	s_add_u32 s2, s20, s16
	s_addc_u32 s3, s21, s17
	s_load_dword s2, s[2:3], 0x0
	s_waitcnt lgkmcnt(0)
	s_sub_i32 s50, s2, s25
	v_add3_u32 v2, v2, v1, s50
	v_cmp_ge_i32_e32 vcc, s33, v2
	s_and_saveexec_b64 s[2:3], vcc
	s_cbranch_execz .LBB52_4
; %bb.2:
	v_lshlrev_b32_e32 v3, 4, v0
	v_lshlrev_b32_e32 v4, 2, v1
	s_movk_i32 s4, 0x2400
	v_add3_u32 v4, v3, v4, s4
	s_mov_b64 s[4:5], 0
.LBB52_3:                               ; =>This Inner Loop Header: Depth=1
	v_ashrrev_i32_e32 v3, 31, v2
	v_lshl_add_u64 v[6:7], v[2:3], 2, s[22:23]
	global_load_dword v3, v[6:7], off
	v_add_u32_e32 v2, 64, v2
	v_cmp_lt_i32_e32 vcc, s33, v2
	s_or_b64 s[4:5], vcc, s[4:5]
	s_waitcnt vmcnt(0)
	v_subrev_u32_e32 v3, s25, v3
	ds_write_b32 v4, v3
	v_add_u32_e32 v4, 0x100, v4
	s_andn2_b64 exec, exec, s[4:5]
	s_cbranch_execnz .LBB52_3
.LBB52_4:
	s_or_b64 exec, exec, s[2:3]
	v_cmp_gt_u32_e32 vcc, 16, v1
	v_lshlrev_b32_e32 v16, 3, v1
	s_and_saveexec_b64 s[2:3], vcc
	s_cbranch_execz .LBB52_7
; %bb.5:
	v_mul_u32_u24_e32 v3, 0x88, v0
	v_lshlrev_b32_e32 v4, 3, v1
	s_movk_i32 s4, 0x1980
	v_add3_u32 v3, v3, v4, s4
	v_mov_b32_e32 v4, 0
	v_add_u32_e32 v2, -4, v1
	s_mov_b64 s[4:5], 0
	v_mov_b32_e32 v5, v4
.LBB52_6:                               ; =>This Inner Loop Header: Depth=1
	v_add_u32_e32 v2, 4, v2
	v_cmp_lt_u32_e32 vcc, 11, v2
	ds_write_b64 v3, v[4:5]
	s_or_b64 s[4:5], vcc, s[4:5]
	v_add_u32_e32 v3, 32, v3
	s_andn2_b64 exec, exec, s[4:5]
	s_cbranch_execnz .LBB52_6
.LBB52_7:
	s_or_b64 exec, exec, s[2:3]
	s_load_dword s48, s[0:1], 0x8
	s_load_dword s49, s[0:1], 0x0
	s_cmp_ge_i32 s50, s33
	s_waitcnt lgkmcnt(0)
	v_cmp_gt_i32_e64 s[0:1], s48, v1
	v_xad_u32 v17, v1, -1, s48
	s_cbranch_scc1 .LBB52_96
; %bb.8:
	s_movk_i32 s51, 0x88
	v_mov_b32_e32 v3, 0x880
	v_mad_u32_u24 v19, v0, s51, v3
	v_or_b32_e32 v3, v1, v0
	v_cmp_ne_u32_e64 s[4:5], 0, v3
	v_lshrrev_b32_e32 v3, 2, v17
	v_mov_b32_e32 v2, 0x1100
	v_add_u32_e32 v3, 1, v3
	s_cmp_lg_u32 s49, 0
	v_mad_u32_u24 v18, v0, s51, v2
	v_and_b32_e32 v21, 0x7ffffffe, v3
	v_lshlrev_b32_e32 v23, 3, v1
	s_mul_i32 s10, s48, s50
	v_mad_u32_u24 v29, v1, s51, v2
	v_mov_b32_e32 v2, 0x1980
	s_cselect_b64 s[28:29], -1, 0
	s_cmp_gt_i32 s48, 0
	v_cmp_ne_u32_e64 s[8:9], v3, v21
	v_mad_u32_u24 v24, v0, s51, v23
	v_add_u32_e32 v3, s10, v0
	v_mad_u32_u24 v31, v0, s51, v2
	v_mov_b32_e32 v2, 0
	v_cmp_gt_i32_e64 s[2:3], s48, v0
	s_mul_i32 s52, s48, s48
	v_mul_lo_u32 v20, s48, v0
	s_cselect_b64 s[30:31], -1, 0
	v_cmp_lt_u32_e64 s[6:7], 3, v17
	v_lshl_add_u32 v22, v21, 2, v1
	v_add_u32_e32 v25, 0x880, v24
	v_mul_lo_u32 v27, s48, v3
	v_mul_lo_u32 v26, v1, s48
	s_lshl_b32 s53, s48, 2
	v_mul_u32_u24_e32 v28, 0x88, v1
	v_add_u32_e32 v30, 0x1980, v24
	v_add_u32_e32 v32, 0x1100, v24
	v_mov_b32_e32 v4, 0
	v_mov_b32_e32 v5, v2
	s_mov_b32 s34, s50
	s_branch .LBB52_10
.LBB52_9:                               ;   in Loop: Header=BB52_10 Depth=1
	s_or_b64 exec, exec, s[10:11]
	s_add_i32 s34, s34, 1
	s_cmp_ge_i32 s34, s33
	buffer_wbl2 sc1
	s_waitcnt vmcnt(0)
	buffer_inv sc1
	v_add_u32_e32 v27, s52, v27
	s_cselect_b64 s[10:11], -1, 0
	s_and_b64 vcc, exec, s[10:11]
	s_cbranch_vccnz .LBB52_96
.LBB52_10:                              ; =>This Loop Header: Depth=1
                                        ;     Child Loop BB52_14 Depth 2
                                        ;     Child Loop BB52_26 Depth 2
	;; [unrolled: 1-line block ×5, first 2 shown]
                                        ;       Child Loop BB52_56 Depth 3
                                        ;     Child Loop BB52_70 Depth 2
                                        ;       Child Loop BB52_75 Depth 3
                                        ;       Child Loop BB52_79 Depth 3
	;; [unrolled: 1-line block ×3, first 2 shown]
                                        ;     Child Loop BB52_91 Depth 2
	s_ashr_i32 s35, s34, 31
	s_lshl_b64 s[10:11], s[34:35], 2
	s_add_u32 s10, s22, s10
	s_addc_u32 s11, s23, s11
	s_load_dword s54, s[10:11], 0x0
	s_waitcnt lgkmcnt(0)
	s_sub_i32 s36, s54, s25
	s_ashr_i32 s37, s36, 31
	s_lshl_b64 s[10:11], s[36:37], 2
	s_add_u32 s38, s12, s10
	s_addc_u32 s39, s13, s11
	s_load_dword s37, s[38:39], 0x0
	s_waitcnt lgkmcnt(0)
	s_cmp_eq_u32 s37, -1
	s_cbranch_scc1 .LBB52_95
; %bb.11:                               ;   in Loop: Header=BB52_10 Depth=1
	s_add_u32 s38, s20, s10
	s_addc_u32 s39, s21, s11
	s_load_dword s55, s[38:39], 0x0
	s_mul_i32 s35, s34, s48
	s_and_saveexec_b64 s[38:39], s[0:1]
	s_cbranch_execz .LBB52_24
; %bb.12:                               ;   in Loop: Header=BB52_10 Depth=1
	s_mov_b64 s[40:41], 0
	v_mov_b32_e32 v3, v25
	v_mov_b32_e32 v8, v1
	s_branch .LBB52_14
.LBB52_13:                              ;   in Loop: Header=BB52_14 Depth=2
	s_or_b64 exec, exec, s[44:45]
	v_add_u32_e32 v8, 4, v8
	v_cmp_le_i32_e32 vcc, s48, v8
	s_waitcnt vmcnt(0)
	ds_write_b64 v3, v[10:11] offset:2176
	ds_write_b64 v3, v[4:5]
	s_or_b64 s[40:41], vcc, s[40:41]
	v_add_u32_e32 v3, 32, v3
	s_andn2_b64 exec, exec, s[40:41]
	s_cbranch_execz .LBB52_24
.LBB52_14:                              ;   Parent Loop BB52_10 Depth=1
                                        ; =>  This Inner Loop Header: Depth=2
	s_and_b64 vcc, exec, s[28:29]
	s_cbranch_vccz .LBB52_21
; %bb.15:                               ;   in Loop: Header=BB52_14 Depth=2
	s_mov_b64 s[44:45], 0
	s_mov_b64 s[42:43], 0
                                        ; implicit-def: $vgpr6
	s_and_saveexec_b64 s[46:47], s[2:3]
	s_xor_b64 s[46:47], exec, s[46:47]
; %bb.16:                               ;   in Loop: Header=BB52_14 Depth=2
	v_add_u32_e32 v6, s35, v8
	s_mov_b64 s[42:43], exec
	v_mad_u64_u32 v[6:7], s[56:57], v6, s48, v[0:1]
; %bb.17:                               ;   in Loop: Header=BB52_14 Depth=2
	s_or_b64 exec, exec, s[46:47]
	s_and_b64 vcc, exec, s[44:45]
	s_cbranch_vccz .LBB52_22
.LBB52_18:                              ;   in Loop: Header=BB52_14 Depth=2
                                        ; implicit-def: $vgpr6
	s_and_saveexec_b64 s[44:45], s[2:3]
; %bb.19:                               ;   in Loop: Header=BB52_14 Depth=2
	v_add_u32_e32 v6, v27, v8
	s_or_b64 s[42:43], s[42:43], exec
; %bb.20:                               ;   in Loop: Header=BB52_14 Depth=2
	s_or_b64 exec, exec, s[44:45]
	v_mov_b32_e32 v10, 0
	v_mov_b32_e32 v11, 0
	s_and_saveexec_b64 s[44:45], s[42:43]
	s_cbranch_execz .LBB52_13
	s_branch .LBB52_23
.LBB52_21:                              ;   in Loop: Header=BB52_14 Depth=2
	s_mov_b64 s[42:43], 0
                                        ; implicit-def: $vgpr6
	s_cbranch_execnz .LBB52_18
.LBB52_22:                              ;   in Loop: Header=BB52_14 Depth=2
	v_mov_b32_e32 v10, 0
	v_mov_b32_e32 v11, 0
	s_and_saveexec_b64 s[44:45], s[42:43]
	s_cbranch_execz .LBB52_13
.LBB52_23:                              ;   in Loop: Header=BB52_14 Depth=2
	v_ashrrev_i32_e32 v7, 31, v6
	v_lshl_add_u64 v[6:7], v[6:7], 3, s[26:27]
	global_load_dwordx2 v[10:11], v[6:7], off
	s_branch .LBB52_13
.LBB52_24:                              ;   in Loop: Header=BB52_10 Depth=1
	s_or_b64 exec, exec, s[38:39]
	ds_read_b32 v3, v2 offset:9216
	s_waitcnt lgkmcnt(0)
	s_sub_i32 s38, s55, s25
	s_cmp_le_i32 s38, s37
	s_cselect_b64 s[40:41], -1, 0
	s_mov_b32 s44, 0
	v_cmp_ge_i32_e32 vcc, s36, v3
	s_and_b64 s[40:41], s[40:41], vcc
	s_andn2_b64 vcc, exec, s[40:41]
	s_cbranch_vccnz .LBB52_36
; %bb.25:                               ;   in Loop: Header=BB52_10 Depth=1
	s_mov_b32 s42, 0
	s_mov_b32 s43, 0
.LBB52_26:                              ;   Parent Loop BB52_10 Depth=1
                                        ; =>  This Inner Loop Header: Depth=2
	s_ashr_i32 s39, s38, 31
	s_lshl_b64 s[40:41], s[38:39], 2
	s_add_u32 s40, s22, s40
	s_addc_u32 s41, s23, s41
	s_load_dword s39, s[40:41], 0x0
	s_lshl_b32 s40, s43, 2
	v_mov_b32_e32 v3, s40
	ds_read_b32 v3, v3 offset:9216
	s_mov_b64 s[40:41], -1
	s_waitcnt lgkmcnt(0)
	s_sub_i32 s47, s39, s25
                                        ; implicit-def: $sgpr44
                                        ; implicit-def: $sgpr46
                                        ; implicit-def: $sgpr45
	v_cmp_ge_i32_e32 vcc, s47, v3
	v_readfirstlane_b32 s39, v3
	s_cbranch_vccz .LBB52_32
; %bb.27:                               ;   in Loop: Header=BB52_26 Depth=2
	s_cmp_le_i32 s47, s39
                                        ; implicit-def: $sgpr44
                                        ; implicit-def: $sgpr46
                                        ; implicit-def: $sgpr45
	s_cbranch_scc0 .LBB52_29
; %bb.28:                               ;   in Loop: Header=BB52_26 Depth=2
	s_add_i32 s40, s43, s50
	s_mul_i32 s40, s40, s52
	s_lshl_b32 s41, s42, 2
	v_mov_b32_e32 v6, s40
	s_mul_i32 s40, s38, s52
	v_mov_b32_e32 v3, s41
	v_mov_b32_e32 v7, s40
	ds_write2st64_b32 v3, v7, v6 offset0:34 offset1:35
	s_add_i32 s45, s43, 1
	s_add_i32 s46, s38, 1
	s_add_i32 s44, s42, 1
	s_mov_b64 s[40:41], 0
.LBB52_29:                              ;   in Loop: Header=BB52_26 Depth=2
	s_andn2_b64 vcc, exec, s[40:41]
	s_cbranch_vccnz .LBB52_31
; %bb.30:                               ;   in Loop: Header=BB52_26 Depth=2
	s_add_i32 s45, s43, 1
	s_mov_b32 s44, s42
	s_mov_b32 s46, s38
.LBB52_31:                              ;   in Loop: Header=BB52_26 Depth=2
	s_mov_b64 s[40:41], 0
.LBB52_32:                              ;   in Loop: Header=BB52_26 Depth=2
	s_andn2_b64 vcc, exec, s[40:41]
	s_cbranch_vccnz .LBB52_34
; %bb.33:                               ;   in Loop: Header=BB52_26 Depth=2
	s_add_i32 s46, s38, 1
	s_mov_b32 s45, s43
	s_mov_b32 s44, s42
.LBB52_34:                              ;   in Loop: Header=BB52_26 Depth=2
	s_cmp_le_i32 s46, s37
	s_cselect_b64 s[40:41], -1, 0
	s_cmp_le_i32 s39, s36
	s_cselect_b64 s[38:39], -1, 0
	s_and_b64 s[38:39], s[40:41], s[38:39]
	s_and_b64 vcc, exec, s[38:39]
	s_cbranch_vccz .LBB52_36
; %bb.35:                               ;   in Loop: Header=BB52_26 Depth=2
	s_mov_b32 s42, s44
	s_mov_b32 s38, s46
	;; [unrolled: 1-line block ×3, first 2 shown]
	s_branch .LBB52_26
.LBB52_36:                              ;   in Loop: Header=BB52_10 Depth=1
	s_add_u32 s10, s14, s10
	s_addc_u32 s11, s15, s11
	s_waitcnt lgkmcnt(0)
.LBB52_37:                              ;   Parent Loop BB52_10 Depth=1
                                        ; =>  This Inner Loop Header: Depth=2
	global_load_dword v3, v2, s[10:11] sc1
	s_waitcnt vmcnt(0)
	v_cmp_eq_u32_e32 vcc, 0, v3
	s_cbranch_vccnz .LBB52_37
; %bb.38:                               ;   in Loop: Header=BB52_10 Depth=1
	buffer_inv sc1
	s_and_saveexec_b64 s[10:11], s[0:1]
	s_cbranch_execz .LBB52_51
; %bb.39:                               ;   in Loop: Header=BB52_10 Depth=1
	s_mul_i32 s45, s37, s48
	v_add_u32_e32 v3, s45, v0
	v_mul_lo_u32 v3, v3, s48
	s_mov_b64 s[36:37], 0
	v_mov_b32_e32 v8, v24
	v_mov_b32_e32 v9, v1
	s_branch .LBB52_41
.LBB52_40:                              ;   in Loop: Header=BB52_41 Depth=2
	s_or_b64 exec, exec, s[40:41]
	v_add_u32_e32 v9, 4, v9
	v_cmp_le_i32_e32 vcc, s48, v9
	s_waitcnt vmcnt(0)
	ds_write_b64 v8, v[10:11]
	s_or_b64 s[36:37], vcc, s[36:37]
	v_add_u32_e32 v8, 32, v8
	s_andn2_b64 exec, exec, s[36:37]
	s_cbranch_execz .LBB52_51
.LBB52_41:                              ;   Parent Loop BB52_10 Depth=1
                                        ; =>  This Inner Loop Header: Depth=2
	s_and_b64 vcc, exec, s[28:29]
	s_cbranch_vccz .LBB52_48
; %bb.42:                               ;   in Loop: Header=BB52_41 Depth=2
	s_mov_b64 s[40:41], 0
	s_mov_b64 s[38:39], 0
                                        ; implicit-def: $vgpr6
	s_and_saveexec_b64 s[42:43], s[2:3]
	s_xor_b64 s[42:43], exec, s[42:43]
; %bb.43:                               ;   in Loop: Header=BB52_41 Depth=2
	v_add_u32_e32 v6, s45, v9
	s_mov_b64 s[38:39], exec
	v_mad_u64_u32 v[6:7], s[46:47], v6, s48, v[0:1]
; %bb.44:                               ;   in Loop: Header=BB52_41 Depth=2
	s_or_b64 exec, exec, s[42:43]
	s_and_b64 vcc, exec, s[40:41]
	s_cbranch_vccz .LBB52_49
.LBB52_45:                              ;   in Loop: Header=BB52_41 Depth=2
                                        ; implicit-def: $vgpr6
	s_and_saveexec_b64 s[40:41], s[2:3]
; %bb.46:                               ;   in Loop: Header=BB52_41 Depth=2
	v_add_u32_e32 v6, v3, v9
	s_or_b64 s[38:39], s[38:39], exec
; %bb.47:                               ;   in Loop: Header=BB52_41 Depth=2
	s_or_b64 exec, exec, s[40:41]
	v_mov_b32_e32 v10, 0
	v_mov_b32_e32 v11, 0
	s_and_saveexec_b64 s[40:41], s[38:39]
	s_cbranch_execz .LBB52_40
	s_branch .LBB52_50
.LBB52_48:                              ;   in Loop: Header=BB52_41 Depth=2
	s_mov_b64 s[38:39], 0
                                        ; implicit-def: $vgpr6
	s_cbranch_execnz .LBB52_45
.LBB52_49:                              ;   in Loop: Header=BB52_41 Depth=2
	v_mov_b32_e32 v10, 0
	v_mov_b32_e32 v11, 0
	s_and_saveexec_b64 s[40:41], s[38:39]
	s_cbranch_execz .LBB52_40
.LBB52_50:                              ;   in Loop: Header=BB52_41 Depth=2
	v_ashrrev_i32_e32 v7, 31, v6
	v_lshl_add_u64 v[6:7], v[6:7], 3, s[26:27]
	global_load_dwordx2 v[10:11], v[6:7], off
	s_branch .LBB52_40
.LBB52_51:                              ;   in Loop: Header=BB52_10 Depth=1
	s_or_b64 exec, exec, s[10:11]
	s_cmp_lt_i32 s44, 2
	s_cbranch_scc1 .LBB52_67
; %bb.52:                               ;   in Loop: Header=BB52_10 Depth=1
	s_add_i32 s40, s44, -2
	s_mov_b32 s41, 0
	s_branch .LBB52_54
.LBB52_53:                              ;   in Loop: Header=BB52_54 Depth=2
	s_or_b64 exec, exec, s[10:11]
	s_add_i32 s10, s41, 1
	s_cmp_eq_u32 s41, s40
	s_mov_b32 s41, s10
	s_cbranch_scc1 .LBB52_67
.LBB52_54:                              ;   Parent Loop BB52_10 Depth=1
                                        ; =>  This Loop Header: Depth=2
                                        ;       Child Loop BB52_56 Depth 3
	s_and_saveexec_b64 s[10:11], s[0:1]
	s_cbranch_execz .LBB52_53
; %bb.55:                               ;   in Loop: Header=BB52_54 Depth=2
	s_lshl_b32 s36, s41, 2
	v_mov_b32_e32 v3, s36
	ds_read2st64_b32 v[6:7], v3 offset0:34 offset1:35
	s_mov_b64 s[36:37], 0
	v_mov_b32_e32 v37, v1
	s_waitcnt lgkmcnt(0)
	v_add_u32_e32 v33, v7, v20
	v_add_u32_e32 v34, v0, v7
	;; [unrolled: 1-line block ×4, first 2 shown]
.LBB52_56:                              ;   Parent Loop BB52_10 Depth=1
                                        ;     Parent Loop BB52_54 Depth=2
                                        ; =>    This Inner Loop Header: Depth=3
	v_mov_b32_e32 v3, v2
	s_mov_b32 s42, 0
	v_mov_b32_e32 v6, v35
	v_mov_b32_e32 v8, v34
	v_mov_b64_e32 v[10:11], v[2:3]
	s_and_b64 vcc, exec, s[28:29]
	s_cbranch_vccnz .LBB52_59
	s_branch .LBB52_58
.LBB52_57:                              ;   in Loop: Header=BB52_56 Depth=3
	v_mov_b64_e32 v[10:11], v[12:13]
	s_and_b64 vcc, exec, s[28:29]
	s_cbranch_vccnz .LBB52_59
.LBB52_58:                              ;   in Loop: Header=BB52_56 Depth=3
                                        ; implicit-def: $vgpr12_vgpr13
	s_cbranch_execz .LBB52_65
	s_branch .LBB52_62
.LBB52_59:                              ;   in Loop: Header=BB52_56 Depth=3
	v_ashrrev_i32_e32 v7, 31, v6
	v_lshl_add_u64 v[12:13], v[6:7], 3, s[26:27]
	global_load_dwordx2 v[12:13], v[12:13], off
	v_mov_b32_e32 v14, 0
	v_mov_b32_e32 v15, 0
	s_and_saveexec_b64 s[38:39], s[2:3]
	s_cbranch_execz .LBB52_61
; %bb.60:                               ;   in Loop: Header=BB52_56 Depth=3
	v_ashrrev_i32_e32 v9, 31, v8
	v_lshl_add_u64 v[14:15], v[8:9], 3, s[26:27]
	global_load_dwordx2 v[14:15], v[14:15], off
.LBB52_61:                              ;   in Loop: Header=BB52_56 Depth=3
	s_or_b64 exec, exec, s[38:39]
	s_waitcnt vmcnt(0)
	v_pk_add_f32 v[40:41], v[14:15], 0 neg_lo:[1,1] neg_hi:[1,1]
	v_pk_fma_f32 v[38:39], v[12:13], v[14:15], v[10:11] op_sel_hi:[1,0,1]
	v_mov_b32_e32 v40, v15
	v_pk_fma_f32 v[12:13], v[12:13], v[40:41], v[38:39] op_sel:[1,0,0] op_sel_hi:[0,1,1]
	s_branch .LBB52_65
.LBB52_62:                              ;   in Loop: Header=BB52_56 Depth=3
	v_add_u32_e32 v12, s42, v36
	v_ashrrev_i32_e32 v13, 31, v12
	v_lshl_add_u64 v[12:13], v[12:13], 3, s[26:27]
	global_load_dwordx2 v[12:13], v[12:13], off
	v_mov_b32_e32 v14, 0
	v_mov_b32_e32 v15, 0
	s_and_saveexec_b64 s[38:39], s[2:3]
	s_cbranch_execz .LBB52_64
; %bb.63:                               ;   in Loop: Header=BB52_56 Depth=3
	v_add_u32_e32 v14, s42, v33
	v_ashrrev_i32_e32 v15, 31, v14
	v_lshl_add_u64 v[14:15], v[14:15], 3, s[26:27]
	global_load_dwordx2 v[14:15], v[14:15], off
.LBB52_64:                              ;   in Loop: Header=BB52_56 Depth=3
	s_or_b64 exec, exec, s[38:39]
	s_waitcnt vmcnt(0)
	v_pk_add_f32 v[38:39], v[14:15], 0 neg_lo:[1,1] neg_hi:[1,1]
	v_pk_fma_f32 v[10:11], v[12:13], v[14:15], v[10:11] op_sel_hi:[1,0,1]
	v_mov_b32_e32 v38, v15
	v_pk_fma_f32 v[12:13], v[12:13], v[38:39], v[10:11] op_sel:[1,0,0] op_sel_hi:[0,1,1]
.LBB52_65:                              ;   in Loop: Header=BB52_56 Depth=3
	s_add_i32 s42, s42, 1
	v_add_u32_e32 v8, s48, v8
	s_cmp_eq_u32 s48, s42
	v_add_u32_e32 v6, s48, v6
	s_cbranch_scc0 .LBB52_57
; %bb.66:                               ;   in Loop: Header=BB52_56 Depth=3
	v_lshl_add_u32 v3, v37, 3, v19
	ds_read_b64 v[6:7], v3
	v_add_u32_e32 v37, 4, v37
	v_cmp_le_i32_e32 vcc, s48, v37
	v_add_u32_e32 v35, 4, v35
	s_or_b64 s[36:37], vcc, s[36:37]
	s_waitcnt lgkmcnt(0)
	v_pk_add_f32 v[6:7], v[12:13], v[6:7]
	v_add_u32_e32 v36, s53, v36
	ds_write_b64 v3, v[6:7]
	s_andn2_b64 exec, exec, s[36:37]
	s_cbranch_execnz .LBB52_56
	s_branch .LBB52_53
.LBB52_67:                              ;   in Loop: Header=BB52_10 Depth=1
	s_andn2_b64 vcc, exec, s[30:31]
	s_waitcnt lgkmcnt(0)
	s_cbranch_vccnz .LBB52_86
; %bb.68:                               ;   in Loop: Header=BB52_10 Depth=1
	s_mov_b32 s42, 0
	v_mov_b32_e32 v15, s54
	v_mov_b32_e32 v3, v29
	s_mov_b32 s43, 0
	s_mov_b32 s44, 0
	s_branch .LBB52_70
.LBB52_69:                              ;   in Loop: Header=BB52_70 Depth=2
	s_or_b64 exec, exec, s[10:11]
	s_add_i32 s44, s44, 1
	s_addk_i32 s43, 0x88
	s_add_i32 s42, s42, 8
	s_cmp_eq_u32 s44, s48
	v_add_u32_e32 v3, 8, v3
	s_waitcnt lgkmcnt(0)
	s_cbranch_scc1 .LBB52_86
.LBB52_70:                              ;   Parent Loop BB52_10 Depth=1
                                        ; =>  This Loop Header: Depth=2
                                        ;       Child Loop BB52_75 Depth 3
                                        ;       Child Loop BB52_79 Depth 3
	;; [unrolled: 1-line block ×3, first 2 shown]
	s_lshl_b32 s10, s44, 3
	s_mul_i32 s11, s44, 0x88
	s_add_i32 s11, s11, s10
	v_mov_b32_e32 v6, s11
	ds_read_b64 v[10:11], v6
	v_add_u32_e32 v9, s10, v18
	ds_read_b64 v[6:7], v9
	s_waitcnt lgkmcnt(1)
	v_cmp_neq_f32_e32 vcc, 0, v10
	v_cmp_neq_f32_e64 s[10:11], 0, v11
	s_or_b64 vcc, vcc, s[10:11]
	v_cndmask_b32_e32 v8, 1.0, v10, vcc
	s_nor_b64 s[36:37], vcc, s[4:5]
	v_cndmask_b32_e32 v10, 0, v11, vcc
	s_and_saveexec_b64 s[10:11], s[36:37]
	s_cbranch_execz .LBB52_74
; %bb.71:                               ;   in Loop: Header=BB52_70 Depth=2
	v_mbcnt_lo_u32_b32 v8, exec_lo, 0
	v_mbcnt_hi_u32_b32 v8, exec_hi, v8
	v_cmp_eq_u32_e32 vcc, 0, v8
	s_and_saveexec_b64 s[36:37], vcc
	s_cbranch_execz .LBB52_73
; %bb.72:                               ;   in Loop: Header=BB52_70 Depth=2
	global_atomic_smin v2, v15, s[18:19]
.LBB52_73:                              ;   in Loop: Header=BB52_70 Depth=2
	s_or_b64 exec, exec, s[36:37]
	v_mov_b32_e32 v10, 0
	v_mov_b32_e32 v8, 1.0
.LBB52_74:                              ;   in Loop: Header=BB52_70 Depth=2
	s_or_b64 exec, exec, s[10:11]
	v_lshl_add_u32 v11, s44, 3, v19
	ds_read_b64 v[12:13], v11
	s_cmp_eq_u32 s44, 0
	v_mov_b32_e32 v11, v18
	s_mov_b32 s10, s43
	s_mov_b32 s11, s44
	s_cbranch_scc1 .LBB52_76
.LBB52_75:                              ;   Parent Loop BB52_10 Depth=1
                                        ;     Parent Loop BB52_70 Depth=2
                                        ; =>    This Inner Loop Header: Depth=3
	v_mov_b32_e32 v14, s10
	ds_read_b64 v[34:35], v11
	ds_read_b64 v[36:37], v14
	s_add_i32 s11, s11, -1
	s_add_i32 s10, s10, 8
	v_add_u32_e32 v11, 8, v11
	s_cmp_eq_u32 s11, 0
	s_waitcnt lgkmcnt(0)
	v_pk_fma_f32 v[12:13], v[36:37], v[34:35], v[12:13] op_sel_hi:[1,0,1]
	s_nop 0
	v_pk_fma_f32 v[12:13], v[36:37], v[34:35], v[12:13] op_sel:[1,1,0] op_sel_hi:[0,1,1] neg_hi:[0,1,0]
	s_cbranch_scc0 .LBB52_75
.LBB52_76:                              ;   in Loop: Header=BB52_70 Depth=2
	v_mul_f32_e32 v11, v10, v10
	v_fmac_f32_e32 v11, v8, v8
	v_div_scale_f32 v14, s[10:11], v11, v11, 1.0
	v_rcp_f32_e32 v33, v14
	v_div_scale_f32 v34, vcc, 1.0, v11, 1.0
	s_waitcnt lgkmcnt(0)
	v_pk_add_f32 v[6:7], v[6:7], v[12:13] neg_lo:[0,1] neg_hi:[0,1]
	v_fma_f32 v35, -v14, v33, 1.0
	v_fmac_f32_e32 v33, v35, v33
	v_mul_f32_e32 v35, v34, v33
	v_fma_f32 v36, -v14, v35, v34
	v_fmac_f32_e32 v35, v36, v33
	v_fma_f32 v14, -v14, v35, v34
	v_div_fmas_f32 v14, v14, v33, v35
	v_xor_b32_e32 v13, 0x80000000, v6
	v_mov_b32_e32 v12, v7
	v_div_fixup_f32 v14, v14, v11, 1.0
	v_pk_mul_f32 v[10:11], v[10:11], v[12:13] op_sel_hi:[0,1]
	v_pk_fma_f32 v[6:7], v[6:7], v[8:9], v[10:11] op_sel_hi:[1,0,1]
	s_nop 0
	v_pk_mul_f32 v[6:7], v[14:15], v[6:7] op_sel_hi:[0,1]
	ds_write_b64 v9, v[6:7]
	s_waitcnt lgkmcnt(0)
	s_and_saveexec_b64 s[10:11], s[0:1]
	s_cbranch_execz .LBB52_69
; %bb.77:                               ;   in Loop: Header=BB52_70 Depth=2
	s_mov_b64 s[38:39], -1
	v_mov_b32_e32 v8, v1
	v_mov_b32_e32 v9, v23
	;; [unrolled: 1-line block ×3, first 2 shown]
	s_and_saveexec_b64 s[36:37], s[6:7]
	s_cbranch_execz .LBB52_83
; %bb.78:                               ;   in Loop: Header=BB52_70 Depth=2
	v_mov_b32_e32 v8, v6
	v_mov_b32_e32 v9, v6
	;; [unrolled: 1-line block ×4, first 2 shown]
	s_mov_b64 s[38:39], 0
	v_mov_b32_e32 v12, v21
	v_mov_b32_e32 v13, v30
	;; [unrolled: 1-line block ×3, first 2 shown]
.LBB52_79:                              ;   Parent Loop BB52_10 Depth=1
                                        ;     Parent Loop BB52_70 Depth=2
                                        ; =>    This Inner Loop Header: Depth=3
	ds_read2_b64 v[34:37], v14 offset1:68
	ds_read2_b64 v[38:41], v13 offset1:4
	v_add_u32_e32 v12, -2, v12
	v_cmp_eq_u32_e32 vcc, 0, v12
	v_add_u32_e32 v14, 0x440, v14
	s_waitcnt lgkmcnt(1)
	v_mov_b32_e32 v42, v34
	v_mov_b32_e32 v43, v36
	;; [unrolled: 1-line block ×3, first 2 shown]
	s_waitcnt lgkmcnt(0)
	v_mov_b32_e32 v34, v38
	v_mov_b32_e32 v35, v40
	;; [unrolled: 1-line block ×3, first 2 shown]
	v_pk_fma_f32 v[34:35], v[8:9], v[42:43], v[34:35]
	v_pk_fma_f32 v[38:39], v[10:11], v[42:43], v[40:41]
	;; [unrolled: 1-line block ×3, first 2 shown]
	v_pk_fma_f32 v[36:37], v[8:9], v[36:37], v[38:39] neg_lo:[0,1,0] neg_hi:[0,1,0]
	v_mov_b32_e32 v38, v34
	v_mov_b32_e32 v39, v36
	;; [unrolled: 1-line block ×3, first 2 shown]
	ds_write2_b64 v13, v[38:39], v[36:37] offset1:4
	s_or_b64 s[38:39], vcc, s[38:39]
	v_add_u32_e32 v13, 64, v13
	s_andn2_b64 exec, exec, s[38:39]
	s_cbranch_execnz .LBB52_79
; %bb.80:                               ;   in Loop: Header=BB52_70 Depth=2
	s_or_b64 exec, exec, s[38:39]
	s_mov_b64 s[38:39], 0
                                        ; implicit-def: $vgpr9
                                        ; implicit-def: $vgpr10
	s_and_saveexec_b64 s[40:41], s[8:9]
; %bb.81:                               ;   in Loop: Header=BB52_70 Depth=2
	s_mov_b64 s[38:39], exec
	v_lshlrev_b32_e32 v9, 3, v22
	v_mul_lo_u32 v10, v22, s51
; %bb.82:                               ;   in Loop: Header=BB52_70 Depth=2
	s_or_b64 exec, exec, s[40:41]
	s_orn2_b64 s[38:39], s[38:39], exec
	v_mov_b32_e32 v8, v22
.LBB52_83:                              ;   in Loop: Header=BB52_70 Depth=2
	s_or_b64 exec, exec, s[36:37]
	s_and_b64 exec, exec, s[38:39]
	s_cbranch_execz .LBB52_69
; %bb.84:                               ;   in Loop: Header=BB52_70 Depth=2
	v_add_u32_e32 v9, v31, v9
	v_add_u32_e32 v10, s42, v10
	s_mov_b64 s[36:37], 0
.LBB52_85:                              ;   Parent Loop BB52_10 Depth=1
                                        ;     Parent Loop BB52_70 Depth=2
                                        ; =>    This Inner Loop Header: Depth=3
	ds_read_b64 v[12:13], v10 offset:4352
	ds_read_b64 v[34:35], v9
	v_add_u32_e32 v8, 4, v8
	v_cmp_le_i32_e32 vcc, s48, v8
	s_or_b64 s[36:37], vcc, s[36:37]
	v_add_u32_e32 v10, 0x220, v10
	s_waitcnt lgkmcnt(0)
	v_pk_fma_f32 v[34:35], v[6:7], v[12:13], v[34:35] op_sel_hi:[1,0,1]
	s_nop 0
	v_pk_fma_f32 v[12:13], v[6:7], v[12:13], v[34:35] op_sel:[0,1,1] op_sel_hi:[1,1,0] neg_lo:[0,1,0]
	s_nop 0
	v_pk_mov_b32 v[12:13], v[12:13], v[12:13] op_sel:[1,0]
	ds_write_b64 v9, v[12:13]
	v_add_u32_e32 v9, 32, v9
	s_andn2_b64 exec, exec, s[36:37]
	s_cbranch_execnz .LBB52_85
	s_branch .LBB52_69
.LBB52_86:                              ;   in Loop: Header=BB52_10 Depth=1
	s_and_saveexec_b64 s[10:11], s[0:1]
	s_cbranch_execz .LBB52_9
; %bb.87:                               ;   in Loop: Header=BB52_10 Depth=1
	s_mov_b64 s[36:37], 0
	v_mov_b32_e32 v3, v32
	v_mov_b32_e32 v8, v1
	s_branch .LBB52_91
.LBB52_88:                              ;   in Loop: Header=BB52_91 Depth=2
	v_add_u32_e32 v6, v27, v8
.LBB52_89:                              ;   in Loop: Header=BB52_91 Depth=2
	ds_read_b64 v[10:11], v3
	v_ashrrev_i32_e32 v7, 31, v6
	v_lshl_add_u64 v[6:7], v[6:7], 3, s[26:27]
	s_waitcnt lgkmcnt(0)
	global_store_dwordx2 v[6:7], v[10:11], off
.LBB52_90:                              ;   in Loop: Header=BB52_91 Depth=2
	s_or_b64 exec, exec, s[38:39]
	v_add_u32_e32 v8, 4, v8
	v_cmp_le_i32_e32 vcc, s48, v8
	s_or_b64 s[36:37], vcc, s[36:37]
	v_add_u32_e32 v3, 32, v3
	s_andn2_b64 exec, exec, s[36:37]
	s_cbranch_execz .LBB52_9
.LBB52_91:                              ;   Parent Loop BB52_10 Depth=1
                                        ; =>  This Inner Loop Header: Depth=2
	s_and_saveexec_b64 s[38:39], s[2:3]
	s_cbranch_execz .LBB52_90
; %bb.92:                               ;   in Loop: Header=BB52_91 Depth=2
	s_and_b64 vcc, exec, s[28:29]
	s_cbranch_vccz .LBB52_94
; %bb.93:                               ;   in Loop: Header=BB52_91 Depth=2
	v_add_u32_e32 v6, s35, v8
	v_mad_u64_u32 v[6:7], s[40:41], v6, s48, v[0:1]
	s_cbranch_execnz .LBB52_89
	s_branch .LBB52_88
.LBB52_94:                              ;   in Loop: Header=BB52_91 Depth=2
                                        ; implicit-def: $vgpr6
	s_branch .LBB52_88
.LBB52_95:                              ;   in Loop: Header=BB52_10 Depth=1
                                        ; implicit-def: $sgpr34
                                        ; implicit-def: $vgpr27
	s_cbranch_execz .LBB52_10
.LBB52_96:
	v_cmp_gt_i32_e64 s[0:1], s48, v1
	s_and_saveexec_b64 s[4:5], s[0:1]
	s_cbranch_execz .LBB52_109
; %bb.97:
	s_mul_i32 s22, s33, s48
	v_add_u32_e32 v2, s22, v0
	s_cmp_lg_u32 s49, 0
	v_mul_lo_u32 v4, v2, s48
	v_mul_u32_u24_e32 v2, 0x88, v0
	v_lshlrev_b32_e32 v3, 3, v1
	s_movk_i32 s8, 0x1100
	s_cselect_b64 s[6:7], -1, 0
	v_cmp_gt_i32_e64 s[2:3], s48, v0
	v_add3_u32 v5, v2, v3, s8
	s_mov_b64 s[8:9], 0
	v_mov_b32_e32 v6, v1
	s_branch .LBB52_99
.LBB52_98:                              ;   in Loop: Header=BB52_99 Depth=1
	s_or_b64 exec, exec, s[12:13]
	v_add_u32_e32 v6, 4, v6
	v_cmp_le_i32_e32 vcc, s48, v6
	s_waitcnt vmcnt(0)
	ds_write_b64 v5, v[8:9]
	s_or_b64 s[8:9], vcc, s[8:9]
	v_add_u32_e32 v5, 32, v5
	s_andn2_b64 exec, exec, s[8:9]
	s_cbranch_execz .LBB52_109
.LBB52_99:                              ; =>This Inner Loop Header: Depth=1
	s_and_b64 vcc, exec, s[6:7]
	s_cbranch_vccz .LBB52_106
; %bb.100:                              ;   in Loop: Header=BB52_99 Depth=1
	s_mov_b64 s[12:13], 0
	s_mov_b64 s[10:11], 0
                                        ; implicit-def: $vgpr2
	s_and_saveexec_b64 s[20:21], s[2:3]
	s_xor_b64 s[20:21], exec, s[20:21]
; %bb.101:                              ;   in Loop: Header=BB52_99 Depth=1
	v_add_u32_e32 v2, s22, v6
	s_mov_b64 s[10:11], exec
	v_mad_u64_u32 v[2:3], s[28:29], v2, s48, v[0:1]
; %bb.102:                              ;   in Loop: Header=BB52_99 Depth=1
	s_or_b64 exec, exec, s[20:21]
	s_and_b64 vcc, exec, s[12:13]
	s_cbranch_vccz .LBB52_107
.LBB52_103:                             ;   in Loop: Header=BB52_99 Depth=1
                                        ; implicit-def: $vgpr2
	s_and_saveexec_b64 s[12:13], s[2:3]
; %bb.104:                              ;   in Loop: Header=BB52_99 Depth=1
	v_add_u32_e32 v2, v4, v6
	s_or_b64 s[10:11], s[10:11], exec
; %bb.105:                              ;   in Loop: Header=BB52_99 Depth=1
	s_or_b64 exec, exec, s[12:13]
	v_mov_b32_e32 v8, 0
	v_mov_b32_e32 v9, 0
	s_and_saveexec_b64 s[12:13], s[10:11]
	s_cbranch_execz .LBB52_98
	s_branch .LBB52_108
.LBB52_106:                             ;   in Loop: Header=BB52_99 Depth=1
	s_mov_b64 s[10:11], 0
                                        ; implicit-def: $vgpr2
	s_cbranch_execnz .LBB52_103
.LBB52_107:                             ;   in Loop: Header=BB52_99 Depth=1
	v_mov_b32_e32 v8, 0
	v_mov_b32_e32 v9, 0
	s_and_saveexec_b64 s[12:13], s[10:11]
	s_cbranch_execz .LBB52_98
.LBB52_108:                             ;   in Loop: Header=BB52_99 Depth=1
	v_ashrrev_i32_e32 v3, 31, v2
	v_lshl_add_u64 v[2:3], v[2:3], 3, s[26:27]
	global_load_dwordx2 v[8:9], v[2:3], off
	s_branch .LBB52_98
.LBB52_109:
	s_or_b64 exec, exec, s[4:5]
	s_cmp_lt_i32 s48, 1
	s_waitcnt lgkmcnt(0)
	s_cbranch_scc1 .LBB52_135
; %bb.110:
	v_or_b32_e32 v4, v1, v0
	s_movk_i32 s8, 0x88
	v_mov_b32_e32 v2, 0x1100
	v_cmp_ne_u32_e64 s[2:3], 0, v4
	v_mov_b32_e32 v4, 0x1980
	v_mad_u32_u24 v10, v0, s8, v2
	v_mad_u32_u24 v11, v0, s8, v4
	v_lshlrev_b32_e32 v4, 3, v0
	v_add_u32_e32 v12, v10, v4
	v_add_u32_e32 v13, v11, v4
	v_lshrrev_b32_e32 v4, 2, v17
	v_add_u32_e32 v4, 1, v4
	v_and_b32_e32 v14, 0x7ffffffe, v4
	v_mul_u32_u24_e32 v3, 0x88, v0
	s_add_i32 s9, s24, s25
	s_movk_i32 s10, 0x1980
	v_lshl_add_u32 v15, v14, 2, v1
	s_mov_b32 s22, 0
	v_cmp_lt_u32_e64 s[4:5], 3, v17
	v_cmp_ne_u32_e64 s[6:7], v4, v14
	v_mul_u32_u24_e32 v17, 0x88, v1
	v_mad_u32_u24 v18, v1, s8, v2
	v_add3_u32 v19, v3, v16, s10
	s_mov_b32 s23, 0xf800000
	v_mov_b32_e32 v20, 0x260
	v_mov_b32_e32 v3, 0
	;; [unrolled: 1-line block ×3, first 2 shown]
	v_lshlrev_b32_e32 v21, 3, v15
	v_mul_lo_u32 v22, v15, s8
	s_mov_b32 s28, 0
	s_branch .LBB52_112
.LBB52_111:                             ;   in Loop: Header=BB52_112 Depth=1
	s_or_b64 exec, exec, s[8:9]
	s_add_i32 s28, s28, 1
	s_add_i32 s22, s22, 8
	s_cmp_eq_u32 s28, s48
	v_add_u32_e32 v18, 8, v18
	s_waitcnt lgkmcnt(0)
	s_cbranch_scc1 .LBB52_135
.LBB52_112:                             ; =>This Loop Header: Depth=1
                                        ;     Child Loop BB52_128 Depth 2
                                        ;     Child Loop BB52_134 Depth 2
	v_cmp_eq_u32_e32 vcc, s28, v0
	s_and_saveexec_b64 s[10:11], vcc
	s_cbranch_execz .LBB52_120
; %bb.113:                              ;   in Loop: Header=BB52_112 Depth=1
	ds_read_b64 v[4:5], v12
	ds_read_b64 v[6:7], v13
	s_waitcnt lgkmcnt(0)
	v_sub_f32_e32 v2, v4, v6
	v_sub_f32_e32 v6, v5, v7
	v_cmp_gt_f32_e32 vcc, 0, v2
                                        ; implicit-def: $vgpr5
	s_nop 1
	v_cndmask_b32_e64 v2, v2, -v2, vcc
	v_cmp_gt_f32_e32 vcc, 0, v6
	s_nop 1
	v_cndmask_b32_e64 v4, v6, -v6, vcc
	v_cmp_ngt_f32_e32 vcc, v2, v4
	s_and_saveexec_b64 s[8:9], vcc
	s_xor_b64 s[12:13], exec, s[8:9]
	s_cbranch_execz .LBB52_117
; %bb.114:                              ;   in Loop: Header=BB52_112 Depth=1
	v_mov_b32_e32 v5, 0
	v_cmp_neq_f32_e32 vcc, 0, v6
	s_and_saveexec_b64 s[20:21], vcc
	s_cbranch_execz .LBB52_116
; %bb.115:                              ;   in Loop: Header=BB52_112 Depth=1
	v_div_scale_f32 v5, s[8:9], v4, v4, v2
	v_rcp_f32_e32 v6, v5
	v_div_scale_f32 v7, vcc, v2, v4, v2
	v_fma_f32 v8, -v5, v6, 1.0
	v_fmac_f32_e32 v6, v8, v6
	v_mul_f32_e32 v8, v7, v6
	v_fma_f32 v9, -v5, v8, v7
	v_fmac_f32_e32 v8, v9, v6
	v_fma_f32 v5, -v5, v8, v7
	v_div_fmas_f32 v5, v5, v6, v8
	v_div_fixup_f32 v2, v5, v4, v2
	v_fma_f32 v2, v2, v2, 1.0
	v_mul_f32_e32 v5, 0x4f800000, v2
	v_cmp_gt_f32_e32 vcc, s23, v2
	s_nop 1
	v_cndmask_b32_e32 v2, v2, v5, vcc
	v_sqrt_f32_e32 v5, v2
	s_nop 0
	v_add_u32_e32 v6, -1, v5
	v_fma_f32 v7, -v6, v5, v2
	v_cmp_ge_f32_e64 s[8:9], 0, v7
	v_add_u32_e32 v7, 1, v5
	s_nop 0
	v_cndmask_b32_e64 v6, v5, v6, s[8:9]
	v_fma_f32 v5, -v7, v5, v2
	v_cmp_lt_f32_e64 s[8:9], 0, v5
	s_nop 1
	v_cndmask_b32_e64 v5, v6, v7, s[8:9]
	v_mul_f32_e32 v6, 0x37800000, v5
	v_cndmask_b32_e32 v5, v5, v6, vcc
	v_cmp_class_f32_e32 vcc, v2, v20
	s_nop 1
	v_cndmask_b32_e32 v2, v5, v2, vcc
	v_mul_f32_e32 v5, v4, v2
.LBB52_116:                             ;   in Loop: Header=BB52_112 Depth=1
	s_or_b64 exec, exec, s[20:21]
                                        ; implicit-def: $vgpr2
                                        ; implicit-def: $vgpr4
.LBB52_117:                             ;   in Loop: Header=BB52_112 Depth=1
	s_andn2_saveexec_b64 s[12:13], s[12:13]
	s_cbranch_execz .LBB52_119
; %bb.118:                              ;   in Loop: Header=BB52_112 Depth=1
	v_div_scale_f32 v5, s[8:9], v2, v2, v4
	v_rcp_f32_e32 v6, v5
	v_div_scale_f32 v7, vcc, v4, v2, v4
	v_fma_f32 v8, -v5, v6, 1.0
	v_fmac_f32_e32 v6, v8, v6
	v_mul_f32_e32 v8, v7, v6
	v_fma_f32 v9, -v5, v8, v7
	v_fmac_f32_e32 v8, v9, v6
	v_fma_f32 v5, -v5, v8, v7
	v_div_fmas_f32 v5, v5, v6, v8
	v_div_fixup_f32 v4, v5, v2, v4
	v_fma_f32 v4, v4, v4, 1.0
	v_mul_f32_e32 v5, 0x4f800000, v4
	v_cmp_gt_f32_e32 vcc, s23, v4
	s_nop 1
	v_cndmask_b32_e32 v4, v4, v5, vcc
	v_sqrt_f32_e32 v5, v4
	s_nop 0
	v_add_u32_e32 v6, -1, v5
	v_fma_f32 v7, -v6, v5, v4
	v_cmp_ge_f32_e64 s[8:9], 0, v7
	v_add_u32_e32 v7, 1, v5
	s_nop 0
	v_cndmask_b32_e64 v6, v5, v6, s[8:9]
	v_fma_f32 v5, -v7, v5, v4
	v_cmp_lt_f32_e64 s[8:9], 0, v5
	s_nop 1
	v_cndmask_b32_e64 v5, v6, v7, s[8:9]
	v_mul_f32_e32 v6, 0x37800000, v5
	v_cndmask_b32_e32 v5, v5, v6, vcc
	v_cmp_class_f32_e32 vcc, v4, v20
	s_nop 1
	v_cndmask_b32_e32 v4, v5, v4, vcc
	v_mul_f32_e32 v5, v2, v4
.LBB52_119:                             ;   in Loop: Header=BB52_112 Depth=1
	s_or_b64 exec, exec, s[12:13]
	v_mul_f32_e32 v2, 0x4f800000, v5
	v_cmp_gt_f32_e32 vcc, s23, v5
	s_nop 1
	v_cndmask_b32_e32 v2, v5, v2, vcc
	v_sqrt_f32_e32 v4, v2
	s_nop 0
	v_add_u32_e32 v5, -1, v4
	v_fma_f32 v7, -v5, v4, v2
	v_add_u32_e32 v6, 1, v4
	v_cmp_ge_f32_e64 s[8:9], 0, v7
	s_nop 1
	v_cndmask_b32_e64 v5, v4, v5, s[8:9]
	v_fma_f32 v4, -v6, v4, v2
	v_cmp_lt_f32_e64 s[8:9], 0, v4
	s_nop 1
	v_cndmask_b32_e64 v4, v5, v6, s[8:9]
	v_mul_f32_e32 v5, 0x37800000, v4
	v_cndmask_b32_e32 v4, v4, v5, vcc
	v_cmp_class_f32_e32 vcc, v2, v20
	s_nop 1
	v_cndmask_b32_e32 v2, v4, v2, vcc
	ds_write_b64 v12, v[2:3]
.LBB52_120:                             ;   in Loop: Header=BB52_112 Depth=1
	s_or_b64 exec, exec, s[10:11]
	s_lshl_b32 s8, s28, 3
	s_mul_i32 s9, s28, 0x88
	s_add_i32 s9, s9, s8
	v_mov_b32_e32 v2, s9
	s_waitcnt lgkmcnt(0)
	ds_read_b64 v[26:27], v2 offset:4352
	v_add_u32_e32 v6, s8, v10
	ds_read_b64 v[8:9], v6
	s_waitcnt lgkmcnt(1)
	v_cmp_neq_f32_e32 vcc, 0, v26
	v_cmp_neq_f32_e64 s[8:9], 0, v27
	s_or_b64 vcc, vcc, s[8:9]
	v_cndmask_b32_e32 v4, 0, v27, vcc
	s_nor_b64 s[10:11], vcc, s[2:3]
	v_cndmask_b32_e32 v2, 1.0, v26, vcc
	s_and_saveexec_b64 s[8:9], s[10:11]
	s_cbranch_execz .LBB52_124
; %bb.121:                              ;   in Loop: Header=BB52_112 Depth=1
	v_mbcnt_lo_u32_b32 v2, exec_lo, 0
	v_mbcnt_hi_u32_b32 v2, exec_hi, v2
	v_cmp_eq_u32_e32 vcc, 0, v2
	s_and_saveexec_b64 s[10:11], vcc
	s_cbranch_execz .LBB52_123
; %bb.122:                              ;   in Loop: Header=BB52_112 Depth=1
	global_atomic_smin v3, v25, s[18:19]
.LBB52_123:                             ;   in Loop: Header=BB52_112 Depth=1
	s_or_b64 exec, exec, s[10:11]
	v_mov_b32_e32 v2, 1.0
	v_mov_b32_e32 v4, 0
.LBB52_124:                             ;   in Loop: Header=BB52_112 Depth=1
	s_or_b64 exec, exec, s[8:9]
	v_cmp_lt_u32_e32 vcc, s28, v0
	s_and_saveexec_b64 s[8:9], vcc
	s_cbranch_execz .LBB52_111
; %bb.125:                              ;   in Loop: Header=BB52_112 Depth=1
	v_mul_f32_e32 v5, v4, v4
	v_fmac_f32_e32 v5, v2, v2
	v_div_scale_f32 v7, s[10:11], v5, v5, 1.0
	v_rcp_f32_e32 v23, v7
	v_lshl_add_u32 v24, s28, 3, v11
	s_waitcnt lgkmcnt(0)
	v_mov_b32_e32 v29, v8
	v_fma_f32 v26, -v7, v23, 1.0
	v_fmac_f32_e32 v23, v26, v23
	v_div_scale_f32 v26, vcc, 1.0, v5, 1.0
	v_mul_f32_e32 v28, v26, v23
	v_fma_f32 v27, -v7, v28, v26
	v_fmac_f32_e32 v28, v27, v23
	v_fma_f32 v7, -v7, v28, v26
	ds_read_b64 v[26:27], v24
	v_div_fmas_f32 v7, v7, v23, v28
	v_mov_b32_e32 v28, v9
	v_div_fixup_f32 v24, v7, v5, 1.0
	s_waitcnt lgkmcnt(0)
	v_pk_add_f32 v[8:9], v[28:29], v[26:27] op_sel:[0,1] op_sel_hi:[1,0] neg_lo:[0,1] neg_hi:[0,1]
	s_nop 0
	v_xor_b32_e32 v26, 0x80000000, v9
	v_mov_b32_e32 v27, v8
	v_pk_mul_f32 v[4:5], v[4:5], v[26:27] op_sel_hi:[0,1]
	v_pk_fma_f32 v[4:5], v[8:9], v[2:3], v[4:5] op_sel_hi:[1,0,1]
	s_nop 0
	v_pk_mul_f32 v[4:5], v[24:25], v[4:5] op_sel_hi:[0,1]
	v_pk_mov_b32 v[8:9], v[4:5], v[4:5] op_sel:[1,0]
	ds_write_b64 v6, v[8:9]
	s_waitcnt lgkmcnt(0)
	s_and_b64 exec, exec, s[0:1]
	s_cbranch_execz .LBB52_111
; %bb.126:                              ;   in Loop: Header=BB52_112 Depth=1
	s_mov_b64 s[12:13], -1
	v_mov_b32_e32 v2, v1
	v_mov_b32_e32 v8, v16
	;; [unrolled: 1-line block ×3, first 2 shown]
	s_and_saveexec_b64 s[10:11], s[4:5]
	s_cbranch_execz .LBB52_132
; %bb.127:                              ;   in Loop: Header=BB52_112 Depth=1
	v_mov_b32_e32 v6, v5
	v_mov_b32_e32 v7, v5
	;; [unrolled: 1-line block ×4, first 2 shown]
	s_mov_b64 s[12:13], 0
	v_mov_b32_e32 v2, v14
	v_mov_b32_e32 v23, v19
	;; [unrolled: 1-line block ×3, first 2 shown]
.LBB52_128:                             ;   Parent Loop BB52_112 Depth=1
                                        ; =>  This Inner Loop Header: Depth=2
	ds_read2_b64 v[26:29], v24 offset1:68
	ds_read2_b64 v[30:33], v23 offset1:4
	v_add_u32_e32 v2, -2, v2
	v_cmp_eq_u32_e32 vcc, 0, v2
	v_add_u32_e32 v24, 0x440, v24
	s_waitcnt lgkmcnt(1)
	v_mov_b32_e32 v34, v26
	v_mov_b32_e32 v35, v28
	;; [unrolled: 1-line block ×3, first 2 shown]
	s_waitcnt lgkmcnt(0)
	v_mov_b32_e32 v26, v30
	v_mov_b32_e32 v27, v32
	;; [unrolled: 1-line block ×3, first 2 shown]
	v_pk_fma_f32 v[26:27], v[6:7], v[34:35], v[26:27]
	v_pk_fma_f32 v[30:31], v[8:9], v[34:35], v[32:33]
	;; [unrolled: 1-line block ×3, first 2 shown]
	v_pk_fma_f32 v[28:29], v[6:7], v[28:29], v[30:31] neg_lo:[0,1,0] neg_hi:[0,1,0]
	v_mov_b32_e32 v30, v26
	v_mov_b32_e32 v31, v28
	;; [unrolled: 1-line block ×3, first 2 shown]
	ds_write2_b64 v23, v[30:31], v[28:29] offset1:4
	s_or_b64 s[12:13], vcc, s[12:13]
	v_add_u32_e32 v23, 64, v23
	s_andn2_b64 exec, exec, s[12:13]
	s_cbranch_execnz .LBB52_128
; %bb.129:                              ;   in Loop: Header=BB52_112 Depth=1
	s_or_b64 exec, exec, s[12:13]
	s_mov_b64 s[12:13], 0
	s_and_saveexec_b64 s[20:21], s[6:7]
; %bb.130:                              ;   in Loop: Header=BB52_112 Depth=1
	s_mov_b64 s[12:13], exec
; %bb.131:                              ;   in Loop: Header=BB52_112 Depth=1
	s_or_b64 exec, exec, s[20:21]
	s_orn2_b64 s[12:13], s[12:13], exec
	v_mov_b32_e32 v2, v15
	v_mov_b32_e32 v8, v21
	;; [unrolled: 1-line block ×3, first 2 shown]
.LBB52_132:                             ;   in Loop: Header=BB52_112 Depth=1
	s_or_b64 exec, exec, s[10:11]
	s_and_b64 exec, exec, s[12:13]
	s_cbranch_execz .LBB52_111
; %bb.133:                              ;   in Loop: Header=BB52_112 Depth=1
	v_pk_mov_b32 v[6:7], v[4:5], v[4:5] op_sel:[1,0]
	v_add_u32_e32 v8, v11, v8
	v_add_u32_e32 v9, s22, v9
	s_mov_b64 s[10:11], 0
.LBB52_134:                             ;   Parent Loop BB52_112 Depth=1
                                        ; =>  This Inner Loop Header: Depth=2
	ds_read_b64 v[26:27], v9 offset:4352
	ds_read_b64 v[28:29], v8
	v_add_u32_e32 v2, 4, v2
	v_cmp_le_i32_e32 vcc, s48, v2
	s_or_b64 s[10:11], vcc, s[10:11]
	v_add_u32_e32 v9, 0x220, v9
	s_waitcnt lgkmcnt(0)
	v_pk_fma_f32 v[28:29], v[6:7], v[26:27], v[28:29] op_sel_hi:[1,0,1]
	s_nop 0
	v_pk_fma_f32 v[26:27], v[4:5], v[26:27], v[28:29] op_sel:[0,1,0] neg_hi:[0,1,0]
	ds_write_b64 v8, v[26:27]
	v_add_u32_e32 v8, 32, v8
	s_andn2_b64 exec, exec, s[10:11]
	s_cbranch_execnz .LBB52_134
	s_branch .LBB52_111
.LBB52_135:
	s_and_saveexec_b64 s[2:3], s[0:1]
	s_cbranch_execz .LBB52_144
; %bb.136:
	s_mul_i32 s33, s33, s48
	v_add_u32_e32 v2, s33, v0
	s_cmp_lg_u32 s49, 0
	v_mul_lo_u32 v4, v2, s48
	v_mul_u32_u24_e32 v2, 0x88, v0
	s_movk_i32 s6, 0x1100
	v_cmp_gt_i32_e64 s[0:1], s48, v0
	s_cselect_b64 s[4:5], -1, 0
	v_add3_u32 v5, v2, v16, s6
	s_mov_b64 s[6:7], 0
	v_mov_b32_e32 v6, v1
	s_branch .LBB52_140
.LBB52_137:                             ;   in Loop: Header=BB52_140 Depth=1
	v_add_u32_e32 v2, v4, v6
.LBB52_138:                             ;   in Loop: Header=BB52_140 Depth=1
	ds_read_b64 v[8:9], v5
	v_ashrrev_i32_e32 v3, 31, v2
	v_lshl_add_u64 v[2:3], v[2:3], 3, s[26:27]
	s_waitcnt lgkmcnt(0)
	global_store_dwordx2 v[2:3], v[8:9], off
.LBB52_139:                             ;   in Loop: Header=BB52_140 Depth=1
	s_or_b64 exec, exec, s[8:9]
	v_add_u32_e32 v6, 4, v6
	v_cmp_le_i32_e32 vcc, s48, v6
	s_or_b64 s[6:7], vcc, s[6:7]
	v_add_u32_e32 v5, 32, v5
	s_andn2_b64 exec, exec, s[6:7]
	s_cbranch_execz .LBB52_144
.LBB52_140:                             ; =>This Inner Loop Header: Depth=1
	s_and_saveexec_b64 s[8:9], s[0:1]
	s_cbranch_execz .LBB52_139
; %bb.141:                              ;   in Loop: Header=BB52_140 Depth=1
	s_and_b64 vcc, exec, s[4:5]
	s_cbranch_vccz .LBB52_143
; %bb.142:                              ;   in Loop: Header=BB52_140 Depth=1
	v_add_u32_e32 v2, s33, v6
	v_mad_u64_u32 v[2:3], s[10:11], v2, s48, v[0:1]
	s_cbranch_execnz .LBB52_138
	s_branch .LBB52_137
.LBB52_143:                             ;   in Loop: Header=BB52_140 Depth=1
                                        ; implicit-def: $vgpr2
	s_branch .LBB52_137
.LBB52_144:
	s_or_b64 exec, exec, s[2:3]
	v_or_b32_e32 v2, v1, v0
	v_cmp_eq_u32_e32 vcc, 0, v2
	s_and_saveexec_b64 s[0:1], vcc
	s_cbranch_execz .LBB52_146
; %bb.145:
	s_add_u32 s2, s14, s16
	s_addc_u32 s3, s15, s17
	v_mov_b32_e32 v2, 0
	v_mov_b32_e32 v3, 1
	buffer_wbl2 sc1
	s_waitcnt vmcnt(0)
	global_store_dword v2, v3, s[2:3] sc1
.LBB52_146:
	s_or_b64 exec, exec, s[0:1]
.LBB52_147:
	s_endpgm
.LBB52_148:
	s_cbranch_execz .LBB52_147
; %bb.149:
	v_or_b32_e32 v0, v1, v0
	v_cmp_eq_u32_e32 vcc, 0, v0
	s_and_saveexec_b64 s[0:1], vcc
	s_cbranch_execz .LBB52_147
; %bb.150:
	v_mbcnt_lo_u32_b32 v0, exec_lo, 0
	v_mbcnt_hi_u32_b32 v0, exec_hi, v0
	v_cmp_eq_u32_e32 vcc, 0, v0
	s_and_saveexec_b64 s[0:1], vcc
	s_cbranch_execz .LBB52_152
; %bb.151:
	s_add_i32 s2, s24, s25
	v_mov_b32_e32 v0, 0
	v_mov_b32_e32 v1, s2
	global_atomic_smin v0, v1, s[18:19]
.LBB52_152:
	s_or_b64 exec, exec, s[0:1]
	s_add_u32 s0, s14, s16
	s_addc_u32 s1, s15, s17
	v_mov_b32_e32 v0, 0
	v_mov_b32_e32 v1, 1
	buffer_wbl2 sc1
	s_waitcnt vmcnt(0)
	global_store_dword v0, v1, s[0:1] sc1
	s_endpgm
	.section	.rodata,"a",@progbits
	.p2align	6, 0x0
	.amdhsa_kernel _ZN9rocsparseL18bsric0_9_16_kernelILi64ELi64ELi16E21rocsparse_complex_numIfEEEv20rocsparse_direction_iiPKiS5_PT2_S5_PiS5_S8_21rocsparse_index_base_
		.amdhsa_group_segment_fixed_size 9472
		.amdhsa_private_segment_fixed_size 0
		.amdhsa_kernarg_size 76
		.amdhsa_user_sgpr_count 2
		.amdhsa_user_sgpr_dispatch_ptr 0
		.amdhsa_user_sgpr_queue_ptr 0
		.amdhsa_user_sgpr_kernarg_segment_ptr 1
		.amdhsa_user_sgpr_dispatch_id 0
		.amdhsa_user_sgpr_kernarg_preload_length 0
		.amdhsa_user_sgpr_kernarg_preload_offset 0
		.amdhsa_user_sgpr_private_segment_size 0
		.amdhsa_uses_dynamic_stack 0
		.amdhsa_enable_private_segment 0
		.amdhsa_system_sgpr_workgroup_id_x 1
		.amdhsa_system_sgpr_workgroup_id_y 0
		.amdhsa_system_sgpr_workgroup_id_z 0
		.amdhsa_system_sgpr_workgroup_info 0
		.amdhsa_system_vgpr_workitem_id 1
		.amdhsa_next_free_vgpr 81
		.amdhsa_next_free_sgpr 96
		.amdhsa_accum_offset 44
		.amdhsa_reserve_vcc 1
		.amdhsa_float_round_mode_32 0
		.amdhsa_float_round_mode_16_64 0
		.amdhsa_float_denorm_mode_32 3
		.amdhsa_float_denorm_mode_16_64 3
		.amdhsa_dx10_clamp 1
		.amdhsa_ieee_mode 1
		.amdhsa_fp16_overflow 0
		.amdhsa_tg_split 0
		.amdhsa_exception_fp_ieee_invalid_op 0
		.amdhsa_exception_fp_denorm_src 0
		.amdhsa_exception_fp_ieee_div_zero 0
		.amdhsa_exception_fp_ieee_overflow 0
		.amdhsa_exception_fp_ieee_underflow 0
		.amdhsa_exception_fp_ieee_inexact 0
		.amdhsa_exception_int_div_zero 0
	.end_amdhsa_kernel
	.section	.text._ZN9rocsparseL18bsric0_9_16_kernelILi64ELi64ELi16E21rocsparse_complex_numIfEEEv20rocsparse_direction_iiPKiS5_PT2_S5_PiS5_S8_21rocsparse_index_base_,"axG",@progbits,_ZN9rocsparseL18bsric0_9_16_kernelILi64ELi64ELi16E21rocsparse_complex_numIfEEEv20rocsparse_direction_iiPKiS5_PT2_S5_PiS5_S8_21rocsparse_index_base_,comdat
.Lfunc_end52:
	.size	_ZN9rocsparseL18bsric0_9_16_kernelILi64ELi64ELi16E21rocsparse_complex_numIfEEEv20rocsparse_direction_iiPKiS5_PT2_S5_PiS5_S8_21rocsparse_index_base_, .Lfunc_end52-_ZN9rocsparseL18bsric0_9_16_kernelILi64ELi64ELi16E21rocsparse_complex_numIfEEEv20rocsparse_direction_iiPKiS5_PT2_S5_PiS5_S8_21rocsparse_index_base_
                                        ; -- End function
	.set _ZN9rocsparseL18bsric0_9_16_kernelILi64ELi64ELi16E21rocsparse_complex_numIfEEEv20rocsparse_direction_iiPKiS5_PT2_S5_PiS5_S8_21rocsparse_index_base_.num_vgpr, 44
	.set _ZN9rocsparseL18bsric0_9_16_kernelILi64ELi64ELi16E21rocsparse_complex_numIfEEEv20rocsparse_direction_iiPKiS5_PT2_S5_PiS5_S8_21rocsparse_index_base_.num_agpr, 0
	.set _ZN9rocsparseL18bsric0_9_16_kernelILi64ELi64ELi16E21rocsparse_complex_numIfEEEv20rocsparse_direction_iiPKiS5_PT2_S5_PiS5_S8_21rocsparse_index_base_.numbered_sgpr, 58
	.set _ZN9rocsparseL18bsric0_9_16_kernelILi64ELi64ELi16E21rocsparse_complex_numIfEEEv20rocsparse_direction_iiPKiS5_PT2_S5_PiS5_S8_21rocsparse_index_base_.num_named_barrier, 0
	.set _ZN9rocsparseL18bsric0_9_16_kernelILi64ELi64ELi16E21rocsparse_complex_numIfEEEv20rocsparse_direction_iiPKiS5_PT2_S5_PiS5_S8_21rocsparse_index_base_.private_seg_size, 0
	.set _ZN9rocsparseL18bsric0_9_16_kernelILi64ELi64ELi16E21rocsparse_complex_numIfEEEv20rocsparse_direction_iiPKiS5_PT2_S5_PiS5_S8_21rocsparse_index_base_.uses_vcc, 1
	.set _ZN9rocsparseL18bsric0_9_16_kernelILi64ELi64ELi16E21rocsparse_complex_numIfEEEv20rocsparse_direction_iiPKiS5_PT2_S5_PiS5_S8_21rocsparse_index_base_.uses_flat_scratch, 0
	.set _ZN9rocsparseL18bsric0_9_16_kernelILi64ELi64ELi16E21rocsparse_complex_numIfEEEv20rocsparse_direction_iiPKiS5_PT2_S5_PiS5_S8_21rocsparse_index_base_.has_dyn_sized_stack, 0
	.set _ZN9rocsparseL18bsric0_9_16_kernelILi64ELi64ELi16E21rocsparse_complex_numIfEEEv20rocsparse_direction_iiPKiS5_PT2_S5_PiS5_S8_21rocsparse_index_base_.has_recursion, 0
	.set _ZN9rocsparseL18bsric0_9_16_kernelILi64ELi64ELi16E21rocsparse_complex_numIfEEEv20rocsparse_direction_iiPKiS5_PT2_S5_PiS5_S8_21rocsparse_index_base_.has_indirect_call, 0
	.section	.AMDGPU.csdata,"",@progbits
; Kernel info:
; codeLenInByte = 5040
; TotalNumSgprs: 64
; NumVgprs: 44
; NumAgprs: 0
; TotalNumVgprs: 44
; ScratchSize: 0
; MemoryBound: 0
; FloatMode: 240
; IeeeMode: 1
; LDSByteSize: 9472 bytes/workgroup (compile time only)
; SGPRBlocks: 12
; VGPRBlocks: 10
; NumSGPRsForWavesPerEU: 102
; NumVGPRsForWavesPerEU: 81
; AccumOffset: 44
; Occupancy: 5
; WaveLimiterHint : 1
; COMPUTE_PGM_RSRC2:SCRATCH_EN: 0
; COMPUTE_PGM_RSRC2:USER_SGPR: 2
; COMPUTE_PGM_RSRC2:TRAP_HANDLER: 0
; COMPUTE_PGM_RSRC2:TGID_X_EN: 1
; COMPUTE_PGM_RSRC2:TGID_Y_EN: 0
; COMPUTE_PGM_RSRC2:TGID_Z_EN: 0
; COMPUTE_PGM_RSRC2:TIDIG_COMP_CNT: 1
; COMPUTE_PGM_RSRC3_GFX90A:ACCUM_OFFSET: 10
; COMPUTE_PGM_RSRC3_GFX90A:TG_SPLIT: 0
	.section	.text._ZN9rocsparseL19bsric0_17_32_kernelILi64ELi64ELi32E21rocsparse_complex_numIfEEEv20rocsparse_direction_iiPKiS5_PT2_S5_PiS5_S8_21rocsparse_index_base_,"axG",@progbits,_ZN9rocsparseL19bsric0_17_32_kernelILi64ELi64ELi32E21rocsparse_complex_numIfEEEv20rocsparse_direction_iiPKiS5_PT2_S5_PiS5_S8_21rocsparse_index_base_,comdat
	.globl	_ZN9rocsparseL19bsric0_17_32_kernelILi64ELi64ELi32E21rocsparse_complex_numIfEEEv20rocsparse_direction_iiPKiS5_PT2_S5_PiS5_S8_21rocsparse_index_base_ ; -- Begin function _ZN9rocsparseL19bsric0_17_32_kernelILi64ELi64ELi32E21rocsparse_complex_numIfEEEv20rocsparse_direction_iiPKiS5_PT2_S5_PiS5_S8_21rocsparse_index_base_
	.p2align	8
	.type	_ZN9rocsparseL19bsric0_17_32_kernelILi64ELi64ELi32E21rocsparse_complex_numIfEEEv20rocsparse_direction_iiPKiS5_PT2_S5_PiS5_S8_21rocsparse_index_base_,@function
_ZN9rocsparseL19bsric0_17_32_kernelILi64ELi64ELi32E21rocsparse_complex_numIfEEEv20rocsparse_direction_iiPKiS5_PT2_S5_PiS5_S8_21rocsparse_index_base_: ; @_ZN9rocsparseL19bsric0_17_32_kernelILi64ELi64ELi32E21rocsparse_complex_numIfEEEv20rocsparse_direction_iiPKiS5_PT2_S5_PiS5_S8_21rocsparse_index_base_
; %bb.0:
	s_load_dwordx8 s[12:19], s[0:1], 0x28
	s_mov_b32 s3, 0
	s_lshl_b64 s[2:3], s[2:3], 2
	v_and_b32_e32 v1, 0x3ff, v0
	v_bfe_u32 v0, v0, 10, 10
	s_waitcnt lgkmcnt(0)
	s_add_u32 s2, s16, s2
	s_addc_u32 s3, s17, s3
	s_load_dword s24, s[2:3], 0x0
	s_waitcnt lgkmcnt(0)
	s_ashr_i32 s25, s24, 31
	s_lshl_b64 s[16:17], s[24:25], 2
	s_add_u32 s2, s12, s16
	s_addc_u32 s3, s13, s17
	s_load_dword s33, s[2:3], 0x0
	s_load_dword s25, s[0:1], 0x48
	s_waitcnt lgkmcnt(0)
	s_cmp_lg_u32 s33, -1
	s_cbranch_scc0 .LBB53_138
; %bb.1:
	s_load_dwordx4 s[20:23], s[0:1], 0x10
	s_load_dwordx2 s[26:27], s[0:1], 0x20
	v_lshlrev_b32_e32 v2, 1, v0
	v_lshlrev_b32_e32 v17, 3, v0
	s_waitcnt lgkmcnt(0)
	s_add_u32 s2, s20, s16
	s_addc_u32 s3, s21, s17
	s_load_dword s2, s[2:3], 0x0
	s_waitcnt lgkmcnt(0)
	s_sub_i32 s52, s2, s25
	v_add3_u32 v2, v2, v1, s52
	v_cmp_ge_i32_e32 vcc, s33, v2
	s_and_saveexec_b64 s[2:3], vcc
	s_cbranch_execz .LBB53_4
; %bb.2:
	v_lshlrev_b32_e32 v3, 2, v1
	s_movk_i32 s4, 0x6500
	v_add3_u32 v4, v17, v3, s4
	s_mov_b64 s[4:5], 0
.LBB53_3:                               ; =>This Inner Loop Header: Depth=1
	v_ashrrev_i32_e32 v3, 31, v2
	v_lshl_add_u64 v[6:7], v[2:3], 2, s[22:23]
	global_load_dword v3, v[6:7], off
	v_add_u32_e32 v2, 64, v2
	v_cmp_lt_i32_e32 vcc, s33, v2
	s_or_b64 s[4:5], vcc, s[4:5]
	s_waitcnt vmcnt(0)
	v_subrev_u32_e32 v3, s25, v3
	ds_write_b32 v4, v3
	v_add_u32_e32 v4, 0x100, v4
	s_andn2_b64 exec, exec, s[4:5]
	s_cbranch_execnz .LBB53_3
.LBB53_4:
	s_or_b64 exec, exec, s[2:3]
	v_cmp_gt_u32_e32 vcc, 32, v1
	v_lshlrev_b32_e32 v16, 3, v1
	s_and_saveexec_b64 s[2:3], vcc
	s_cbranch_execz .LBB53_7
; %bb.5:
	v_mul_u32_u24_e32 v3, 0x108, v0
	v_lshlrev_b32_e32 v4, 3, v1
	s_movk_i32 s4, 0x4200
	v_add3_u32 v3, v3, v4, s4
	v_mov_b32_e32 v4, 0
	v_add_u32_e32 v2, -2, v1
	s_mov_b64 s[4:5], 0
	v_mov_b32_e32 v5, v4
.LBB53_6:                               ; =>This Inner Loop Header: Depth=1
	v_add_u32_e32 v2, 2, v2
	v_cmp_lt_u32_e32 vcc, 29, v2
	ds_write_b64 v3, v[4:5]
	s_or_b64 s[4:5], vcc, s[4:5]
	v_add_u32_e32 v3, 16, v3
	s_andn2_b64 exec, exec, s[4:5]
	s_cbranch_execnz .LBB53_6
.LBB53_7:
	s_or_b64 exec, exec, s[2:3]
	s_load_dword s50, s[0:1], 0x8
	s_load_dword s51, s[0:1], 0x0
	s_cmp_ge_i32 s52, s33
	s_waitcnt lgkmcnt(0)
	v_cmp_gt_i32_e64 s[0:1], s50, v1
	v_xad_u32 v18, v1, -1, s50
	s_cbranch_scc1 .LBB53_86
; %bb.8:
	v_or_b32_e32 v3, v1, v0
	v_cmp_ne_u32_e64 s[4:5], 0, v3
	v_lshrrev_b32_e32 v3, 1, v18
	s_cmp_eq_u32 s51, 0
	s_movk_i32 s10, 0x108
	v_mov_b32_e32 v2, 0x2100
	v_add_u32_e32 v3, 1, v3
	s_cselect_b64 s[28:29], -1, 0
	s_cmp_lg_u32 s51, 0
	v_mad_u32_u24 v20, v0, s10, v2
	v_and_b32_e32 v22, -2, v3
	v_lshlrev_b32_e32 v24, 3, v1
	s_mul_i32 s11, s50, s52
	v_mad_u32_u24 v29, v1, s10, v2
	v_mov_b32_e32 v2, 0x4200
	s_cselect_b64 s[30:31], -1, 0
	s_cmp_gt_i32 s50, 0
	v_lshl_add_u32 v23, v22, 1, v1
	v_cmp_ne_u32_e64 s[8:9], v3, v22
	v_mad_u32_u24 v25, v0, s10, v24
	v_add_u32_e32 v3, s11, v0
	v_mad_u32_u24 v31, v0, s10, v2
	v_mov_b32_e32 v2, 0
	s_mul_i32 s53, s50, s50
	v_cmp_gt_i32_e64 s[2:3], s50, v0
	v_mul_u32_u24_e32 v19, 0x108, v0
	v_mul_lo_u32 v21, s50, v0
	s_cselect_b64 s[34:35], -1, 0
	v_cmp_lt_u32_e64 s[6:7], 1, v18
	v_mul_lo_u32 v27, s50, v3
	v_mul_lo_u32 v26, v1, s50
	s_lshl_b32 s54, s50, 1
	v_mul_u32_u24_e32 v28, 0x108, v1
	v_add_u32_e32 v30, 0x4200, v25
	v_add_u32_e32 v32, 0x2100, v25
	v_lshlrev_b32_e32 v33, 3, v23
	v_mul_lo_u32 v34, v23, s10
	v_mov_b32_e32 v4, 0
	v_mov_b32_e32 v5, v2
	s_mov_b32 s36, s52
	s_branch .LBB53_10
.LBB53_9:                               ;   in Loop: Header=BB53_10 Depth=1
	s_or_b64 exec, exec, s[10:11]
	s_add_i32 s36, s36, 1
	s_cmp_ge_i32 s36, s33
	buffer_wbl2 sc1
	s_waitcnt vmcnt(0)
	buffer_inv sc1
	v_add_u32_e32 v27, s53, v27
	s_cselect_b64 s[10:11], -1, 0
	s_and_b64 vcc, exec, s[10:11]
	s_cbranch_vccnz .LBB53_86
.LBB53_10:                              ; =>This Loop Header: Depth=1
                                        ;     Child Loop BB53_14 Depth 2
                                        ;     Child Loop BB53_26 Depth 2
	;; [unrolled: 1-line block ×4, first 2 shown]
                                        ;       Child Loop BB53_43 Depth 3
                                        ;         Child Loop BB53_48 Depth 4
                                        ;     Child Loop BB53_57 Depth 2
                                        ;       Child Loop BB53_64 Depth 3
                                        ;       Child Loop BB53_69 Depth 3
	;; [unrolled: 1-line block ×3, first 2 shown]
                                        ;     Child Loop BB53_80 Depth 2
	s_ashr_i32 s37, s36, 31
	s_lshl_b64 s[10:11], s[36:37], 2
	s_add_u32 s10, s22, s10
	s_addc_u32 s11, s23, s11
	s_load_dword s55, s[10:11], 0x0
	s_waitcnt lgkmcnt(0)
	s_sub_i32 s38, s55, s25
	s_ashr_i32 s39, s38, 31
	s_lshl_b64 s[10:11], s[38:39], 2
	s_add_u32 s40, s12, s10
	s_addc_u32 s41, s13, s11
	s_load_dword s56, s[40:41], 0x0
	s_waitcnt lgkmcnt(0)
	s_cmp_eq_u32 s56, -1
	s_cbranch_scc1 .LBB53_85
; %bb.11:                               ;   in Loop: Header=BB53_10 Depth=1
	s_add_u32 s40, s20, s10
	s_addc_u32 s41, s21, s11
	s_load_dword s39, s[40:41], 0x0
	s_mul_i32 s37, s36, s50
	s_and_saveexec_b64 s[40:41], s[0:1]
	s_cbranch_execz .LBB53_24
; %bb.12:                               ;   in Loop: Header=BB53_10 Depth=1
	s_mov_b64 s[42:43], 0
	v_mov_b32_e32 v3, v25
	v_mov_b32_e32 v8, v1
	s_branch .LBB53_14
.LBB53_13:                              ;   in Loop: Header=BB53_14 Depth=2
	s_or_b64 exec, exec, s[46:47]
	v_add_u32_e32 v8, 2, v8
	v_cmp_le_i32_e32 vcc, s50, v8
	s_waitcnt vmcnt(0)
	ds_write_b64 v3, v[10:11] offset:8448
	ds_write_b64 v3, v[4:5]
	s_or_b64 s[42:43], vcc, s[42:43]
	v_add_u32_e32 v3, 16, v3
	s_andn2_b64 exec, exec, s[42:43]
	s_cbranch_execz .LBB53_24
.LBB53_14:                              ;   Parent Loop BB53_10 Depth=1
                                        ; =>  This Inner Loop Header: Depth=2
	s_mov_b64 s[46:47], -1
	s_and_b64 vcc, exec, s[30:31]
	s_mov_b64 s[44:45], 0
                                        ; implicit-def: $vgpr6
	s_cbranch_vccz .LBB53_19
; %bb.15:                               ;   in Loop: Header=BB53_14 Depth=2
	s_mov_b64 s[46:47], 0
                                        ; implicit-def: $vgpr6
	s_and_saveexec_b64 s[48:49], s[2:3]
	s_xor_b64 s[48:49], exec, s[48:49]
; %bb.16:                               ;   in Loop: Header=BB53_14 Depth=2
	v_add_u32_e32 v6, s37, v8
	s_mov_b64 s[44:45], exec
	v_mad_u64_u32 v[6:7], s[58:59], v6, s50, v[0:1]
; %bb.17:                               ;   in Loop: Header=BB53_14 Depth=2
	s_or_b64 exec, exec, s[48:49]
	s_and_b64 vcc, exec, s[46:47]
	s_cbranch_vccnz .LBB53_20
.LBB53_18:                              ;   in Loop: Header=BB53_14 Depth=2
	v_mov_b32_e32 v10, 0
	v_mov_b32_e32 v11, 0
	s_and_saveexec_b64 s[46:47], s[44:45]
	s_cbranch_execz .LBB53_13
	s_branch .LBB53_23
.LBB53_19:                              ;   in Loop: Header=BB53_14 Depth=2
	s_and_b64 vcc, exec, s[46:47]
	s_cbranch_vccz .LBB53_18
.LBB53_20:                              ;   in Loop: Header=BB53_14 Depth=2
                                        ; implicit-def: $vgpr6
	s_and_saveexec_b64 s[46:47], s[2:3]
; %bb.21:                               ;   in Loop: Header=BB53_14 Depth=2
	v_add_u32_e32 v6, v27, v8
	s_or_b64 s[44:45], s[44:45], exec
; %bb.22:                               ;   in Loop: Header=BB53_14 Depth=2
	s_or_b64 exec, exec, s[46:47]
	v_mov_b32_e32 v10, 0
	v_mov_b32_e32 v11, 0
	s_and_saveexec_b64 s[46:47], s[44:45]
	s_cbranch_execz .LBB53_13
.LBB53_23:                              ;   in Loop: Header=BB53_14 Depth=2
	v_ashrrev_i32_e32 v7, 31, v6
	v_lshl_add_u64 v[6:7], v[6:7], 3, s[26:27]
	global_load_dwordx2 v[10:11], v[6:7], off
	s_branch .LBB53_13
.LBB53_24:                              ;   in Loop: Header=BB53_10 Depth=1
	s_or_b64 exec, exec, s[40:41]
	ds_read_b32 v3, v2 offset:25856
	s_waitcnt lgkmcnt(0)
	s_sub_i32 s40, s39, s25
	s_cmp_le_i32 s40, s56
	s_cselect_b64 s[42:43], -1, 0
	s_mov_b32 s41, 0
	v_cmp_ge_i32_e32 vcc, s38, v3
	s_and_b64 s[42:43], s[42:43], vcc
	s_andn2_b64 vcc, exec, s[42:43]
	s_cbranch_vccnz .LBB53_36
; %bb.25:                               ;   in Loop: Header=BB53_10 Depth=1
	s_mov_b32 s39, 0
	s_mov_b32 s44, 0
.LBB53_26:                              ;   Parent Loop BB53_10 Depth=1
                                        ; =>  This Inner Loop Header: Depth=2
	s_ashr_i32 s41, s40, 31
	s_lshl_b64 s[42:43], s[40:41], 2
	s_add_u32 s42, s22, s42
	s_addc_u32 s43, s23, s43
	s_load_dword s41, s[42:43], 0x0
	s_lshl_b32 s42, s44, 2
	v_mov_b32_e32 v3, s42
	ds_read_b32 v3, v3 offset:25856
	s_mov_b64 s[42:43], -1
	s_waitcnt lgkmcnt(0)
	s_sub_i32 s48, s41, s25
                                        ; implicit-def: $sgpr41
                                        ; implicit-def: $sgpr47
                                        ; implicit-def: $sgpr46
	v_cmp_ge_i32_e32 vcc, s48, v3
	v_readfirstlane_b32 s45, v3
	s_cbranch_vccz .LBB53_32
; %bb.27:                               ;   in Loop: Header=BB53_26 Depth=2
	s_cmp_le_i32 s48, s45
                                        ; implicit-def: $sgpr41
                                        ; implicit-def: $sgpr47
                                        ; implicit-def: $sgpr46
	s_cbranch_scc0 .LBB53_29
; %bb.28:                               ;   in Loop: Header=BB53_26 Depth=2
	s_add_i32 s41, s44, s52
	s_mul_i32 s41, s41, s53
	s_lshl_b32 s42, s39, 2
	v_mov_b32_e32 v6, s41
	s_mul_i32 s41, s40, s53
	v_mov_b32_e32 v3, s42
	v_mov_b32_e32 v7, s41
	ds_write2st64_b32 v3, v7, v6 offset0:99 offset1:100
	s_add_i32 s46, s44, 1
	s_add_i32 s47, s40, 1
	;; [unrolled: 1-line block ×3, first 2 shown]
	s_mov_b64 s[42:43], 0
.LBB53_29:                              ;   in Loop: Header=BB53_26 Depth=2
	s_andn2_b64 vcc, exec, s[42:43]
	s_cbranch_vccnz .LBB53_31
; %bb.30:                               ;   in Loop: Header=BB53_26 Depth=2
	s_add_i32 s46, s44, 1
	s_mov_b32 s41, s39
	s_mov_b32 s47, s40
.LBB53_31:                              ;   in Loop: Header=BB53_26 Depth=2
	s_mov_b64 s[42:43], 0
.LBB53_32:                              ;   in Loop: Header=BB53_26 Depth=2
	s_andn2_b64 vcc, exec, s[42:43]
	s_cbranch_vccnz .LBB53_34
; %bb.33:                               ;   in Loop: Header=BB53_26 Depth=2
	s_add_i32 s47, s40, 1
	s_mov_b32 s46, s44
	s_mov_b32 s41, s39
.LBB53_34:                              ;   in Loop: Header=BB53_26 Depth=2
	s_cmp_le_i32 s47, s56
	s_cselect_b64 s[42:43], -1, 0
	s_cmp_le_i32 s45, s38
	s_cselect_b64 s[44:45], -1, 0
	s_and_b64 s[42:43], s[42:43], s[44:45]
	s_and_b64 vcc, exec, s[42:43]
	s_cbranch_vccz .LBB53_36
; %bb.35:                               ;   in Loop: Header=BB53_26 Depth=2
	s_mov_b32 s39, s41
	s_mov_b32 s40, s47
	s_mov_b32 s44, s46
	s_branch .LBB53_26
.LBB53_36:                              ;   in Loop: Header=BB53_10 Depth=1
	s_add_u32 s10, s14, s10
	s_addc_u32 s11, s15, s11
	s_waitcnt lgkmcnt(0)
.LBB53_37:                              ;   Parent Loop BB53_10 Depth=1
                                        ; =>  This Inner Loop Header: Depth=2
	global_load_dword v3, v2, s[10:11] sc1
	s_waitcnt vmcnt(0)
	v_cmp_eq_u32_e32 vcc, 0, v3
	s_cbranch_vccnz .LBB53_37
; %bb.38:                               ;   in Loop: Header=BB53_10 Depth=1
	s_cmp_lt_i32 s41, 2
	buffer_inv sc1
	s_cbranch_scc1 .LBB53_54
; %bb.39:                               ;   in Loop: Header=BB53_10 Depth=1
	s_add_i32 s42, s41, -2
	s_mov_b32 s43, 0
	s_branch .LBB53_41
.LBB53_40:                              ;   in Loop: Header=BB53_41 Depth=2
	s_or_b64 exec, exec, s[10:11]
	s_add_i32 s10, s43, 1
	s_cmp_eq_u32 s43, s42
	s_mov_b32 s43, s10
	s_cbranch_scc1 .LBB53_54
.LBB53_41:                              ;   Parent Loop BB53_10 Depth=1
                                        ; =>  This Loop Header: Depth=2
                                        ;       Child Loop BB53_43 Depth 3
                                        ;         Child Loop BB53_48 Depth 4
	s_and_saveexec_b64 s[10:11], s[0:1]
	s_cbranch_execz .LBB53_40
; %bb.42:                               ;   in Loop: Header=BB53_41 Depth=2
	s_lshl_b32 s38, s43, 2
	v_mov_b32_e32 v3, s38
	ds_read2st64_b32 v[6:7], v3 offset0:99 offset1:100
	s_mov_b64 s[38:39], 0
	v_mov_b32_e32 v39, v1
	s_waitcnt lgkmcnt(0)
	v_add_u32_e32 v35, v7, v21
	v_add_u32_e32 v36, v0, v7
	;; [unrolled: 1-line block ×4, first 2 shown]
.LBB53_43:                              ;   Parent Loop BB53_10 Depth=1
                                        ;     Parent Loop BB53_41 Depth=2
                                        ; =>    This Loop Header: Depth=3
                                        ;         Child Loop BB53_48 Depth 4
	v_mov_b32_e32 v3, v2
	s_mov_b32 s44, 0
	v_mov_b32_e32 v6, v37
	v_mov_b32_e32 v8, v36
	v_mov_b64_e32 v[10:11], v[2:3]
	s_mov_b64 s[40:41], -1
	s_and_b64 vcc, exec, s[30:31]
                                        ; implicit-def: $vgpr12_vgpr13
	s_cbranch_vccz .LBB53_48
	s_branch .LBB53_45
.LBB53_44:                              ;   in Loop: Header=BB53_48 Depth=4
	v_mov_b64_e32 v[10:11], v[12:13]
	s_mov_b64 s[40:41], -1
	s_and_b64 vcc, exec, s[30:31]
                                        ; implicit-def: $vgpr12_vgpr13
	s_cbranch_vccz .LBB53_48
.LBB53_45:                              ;   in Loop: Header=BB53_43 Depth=3
	v_ashrrev_i32_e32 v7, 31, v6
	v_lshl_add_u64 v[12:13], v[6:7], 3, s[26:27]
	global_load_dwordx2 v[12:13], v[12:13], off
	v_mov_b32_e32 v14, 0
	v_mov_b32_e32 v15, 0
	s_and_saveexec_b64 s[40:41], s[2:3]
	s_cbranch_execz .LBB53_47
; %bb.46:                               ;   in Loop: Header=BB53_43 Depth=3
	v_ashrrev_i32_e32 v9, 31, v8
	v_lshl_add_u64 v[14:15], v[8:9], 3, s[26:27]
	global_load_dwordx2 v[14:15], v[14:15], off
.LBB53_47:                              ;   in Loop: Header=BB53_43 Depth=3
	s_or_b64 exec, exec, s[40:41]
	s_waitcnt vmcnt(0)
	v_pk_add_f32 v[42:43], v[14:15], 0 neg_lo:[1,1] neg_hi:[1,1]
	v_pk_fma_f32 v[40:41], v[12:13], v[14:15], v[10:11] op_sel_hi:[1,0,1]
	v_mov_b32_e32 v42, v15
	v_pk_fma_f32 v[12:13], v[12:13], v[42:43], v[40:41] op_sel:[1,0,0] op_sel_hi:[0,1,1]
	s_mov_b64 s[40:41], 0
.LBB53_48:                              ;   Parent Loop BB53_10 Depth=1
                                        ;     Parent Loop BB53_41 Depth=2
                                        ;       Parent Loop BB53_43 Depth=3
                                        ; =>      This Inner Loop Header: Depth=4
	s_and_b64 vcc, exec, s[40:41]
	s_cbranch_vccz .LBB53_52
; %bb.49:                               ;   in Loop: Header=BB53_48 Depth=4
	v_add_u32_e32 v12, s44, v38
	v_ashrrev_i32_e32 v13, 31, v12
	v_lshl_add_u64 v[12:13], v[12:13], 3, s[26:27]
	global_load_dwordx2 v[12:13], v[12:13], off
	v_mov_b32_e32 v14, 0
	v_mov_b32_e32 v15, 0
	s_and_saveexec_b64 s[40:41], s[2:3]
	s_cbranch_execz .LBB53_51
; %bb.50:                               ;   in Loop: Header=BB53_48 Depth=4
	v_add_u32_e32 v14, s44, v35
	v_ashrrev_i32_e32 v15, 31, v14
	v_lshl_add_u64 v[14:15], v[14:15], 3, s[26:27]
	global_load_dwordx2 v[14:15], v[14:15], off
.LBB53_51:                              ;   in Loop: Header=BB53_48 Depth=4
	s_or_b64 exec, exec, s[40:41]
	s_waitcnt vmcnt(0)
	v_pk_add_f32 v[40:41], v[14:15], 0 neg_lo:[1,1] neg_hi:[1,1]
	v_pk_fma_f32 v[10:11], v[12:13], v[14:15], v[10:11] op_sel_hi:[1,0,1]
	v_mov_b32_e32 v40, v15
	v_pk_fma_f32 v[12:13], v[12:13], v[40:41], v[10:11] op_sel:[1,0,0] op_sel_hi:[0,1,1]
.LBB53_52:                              ;   in Loop: Header=BB53_48 Depth=4
	s_add_i32 s44, s44, 1
	v_add_u32_e32 v8, s50, v8
	s_cmp_eq_u32 s50, s44
	v_add_u32_e32 v6, s50, v6
	s_cbranch_scc0 .LBB53_44
; %bb.53:                               ;   in Loop: Header=BB53_43 Depth=3
	v_lshl_add_u32 v3, v39, 3, v19
	ds_read_b64 v[6:7], v3
	v_add_u32_e32 v39, 2, v39
	v_cmp_le_i32_e32 vcc, s50, v39
	v_add_u32_e32 v37, 2, v37
	s_or_b64 s[38:39], vcc, s[38:39]
	s_waitcnt lgkmcnt(0)
	v_pk_add_f32 v[6:7], v[12:13], v[6:7]
	v_add_u32_e32 v38, s54, v38
	ds_write_b64 v3, v[6:7]
	s_andn2_b64 exec, exec, s[38:39]
	s_cbranch_execnz .LBB53_43
	s_branch .LBB53_40
.LBB53_54:                              ;   in Loop: Header=BB53_10 Depth=1
	s_andn2_b64 vcc, exec, s[34:35]
	s_waitcnt lgkmcnt(0)
	s_cbranch_vccnz .LBB53_76
; %bb.55:                               ;   in Loop: Header=BB53_10 Depth=1
	s_mul_i32 s44, s53, s56
	s_mov_b32 s45, 0
	v_mov_b32_e32 v15, s55
	v_mov_b32_e32 v3, v29
	s_mov_b32 s46, s44
	s_mov_b32 s47, 0
	s_branch .LBB53_57
.LBB53_56:                              ;   in Loop: Header=BB53_57 Depth=2
	s_or_b64 exec, exec, s[10:11]
	s_add_i32 s47, s47, 1
	s_add_i32 s46, s46, 1
	;; [unrolled: 1-line block ×3, first 2 shown]
	s_cmp_eq_u32 s47, s50
	v_add_u32_e32 v3, 8, v3
	s_waitcnt lgkmcnt(0)
	s_cbranch_scc1 .LBB53_76
.LBB53_57:                              ;   Parent Loop BB53_10 Depth=1
                                        ; =>  This Loop Header: Depth=2
                                        ;       Child Loop BB53_64 Depth 3
                                        ;       Child Loop BB53_69 Depth 3
	;; [unrolled: 1-line block ×3, first 2 shown]
	s_mul_i32 s40, s47, s50
	s_add_i32 s40, s40, s44
	s_add_i32 s10, s40, s47
	s_ashr_i32 s11, s10, 31
	s_lshl_b64 s[10:11], s[10:11], 3
	s_add_u32 s10, s26, s10
	s_addc_u32 s11, s27, s11
	global_load_dwordx2 v[10:11], v2, s[10:11]
	v_lshl_add_u32 v9, s47, 3, v20
	ds_read_b64 v[6:7], v9
	s_waitcnt vmcnt(0)
	v_cmp_neq_f32_e32 vcc, 0, v10
	v_cmp_neq_f32_e64 s[10:11], 0, v11
	s_or_b64 vcc, vcc, s[10:11]
	v_cndmask_b32_e32 v8, 1.0, v10, vcc
	s_nor_b64 s[38:39], vcc, s[4:5]
	v_cndmask_b32_e32 v10, 0, v11, vcc
	s_and_saveexec_b64 s[10:11], s[38:39]
	s_cbranch_execz .LBB53_61
; %bb.58:                               ;   in Loop: Header=BB53_57 Depth=2
	v_mbcnt_lo_u32_b32 v8, exec_lo, 0
	v_mbcnt_hi_u32_b32 v8, exec_hi, v8
	v_cmp_eq_u32_e32 vcc, 0, v8
	s_and_saveexec_b64 s[38:39], vcc
	s_cbranch_execz .LBB53_60
; %bb.59:                               ;   in Loop: Header=BB53_57 Depth=2
	global_atomic_smin v2, v15, s[18:19]
.LBB53_60:                              ;   in Loop: Header=BB53_57 Depth=2
	s_or_b64 exec, exec, s[38:39]
	v_mov_b32_e32 v10, 0
	v_mov_b32_e32 v8, 1.0
.LBB53_61:                              ;   in Loop: Header=BB53_57 Depth=2
	s_or_b64 exec, exec, s[10:11]
	v_lshl_add_u32 v11, s47, 3, v19
	ds_read_b64 v[12:13], v11
	s_cmp_eq_u32 s47, 0
	s_cbranch_scc1 .LBB53_66
; %bb.62:                               ;   in Loop: Header=BB53_57 Depth=2
	s_mov_b32 s38, 0
	s_mov_b32 s39, s47
	;; [unrolled: 1-line block ×3, first 2 shown]
	v_mov_b32_e32 v11, v20
	s_branch .LBB53_64
.LBB53_63:                              ;   in Loop: Header=BB53_64 Depth=3
	s_ashr_i32 s11, s10, 31
	s_lshl_b64 s[10:11], s[10:11], 3
	s_add_u32 s10, s26, s10
	s_addc_u32 s11, s27, s11
	global_load_dwordx2 v[36:37], v2, s[10:11]
	ds_read_b64 v[38:39], v11
	s_add_i32 s38, s38, 1
	s_add_i32 s41, s41, s50
	s_add_i32 s39, s39, -1
	s_cmp_eq_u32 s39, 0
	v_add_u32_e32 v11, 8, v11
	s_waitcnt vmcnt(0) lgkmcnt(0)
	v_pk_fma_f32 v[12:13], v[36:37], v[38:39], v[12:13] op_sel_hi:[1,0,1]
	s_nop 0
	v_pk_fma_f32 v[12:13], v[36:37], v[38:39], v[12:13] op_sel:[1,1,0] op_sel_hi:[0,1,1] neg_hi:[0,1,0]
	s_cbranch_scc1 .LBB53_66
.LBB53_64:                              ;   Parent Loop BB53_10 Depth=1
                                        ;     Parent Loop BB53_57 Depth=2
                                        ; =>    This Inner Loop Header: Depth=3
	s_andn2_b64 vcc, exec, s[28:29]
	s_mov_b32 s10, s41
	s_cbranch_vccnz .LBB53_63
; %bb.65:                               ;   in Loop: Header=BB53_64 Depth=3
	s_add_i32 s10, s38, s40
	s_branch .LBB53_63
.LBB53_66:                              ;   in Loop: Header=BB53_57 Depth=2
	v_mul_f32_e32 v11, v10, v10
	v_fmac_f32_e32 v11, v8, v8
	v_div_scale_f32 v14, s[10:11], v11, v11, 1.0
	v_rcp_f32_e32 v35, v14
	v_div_scale_f32 v36, vcc, 1.0, v11, 1.0
	s_waitcnt lgkmcnt(0)
	v_pk_add_f32 v[6:7], v[6:7], v[12:13] neg_lo:[0,1] neg_hi:[0,1]
	v_fma_f32 v37, -v14, v35, 1.0
	v_fmac_f32_e32 v35, v37, v35
	v_mul_f32_e32 v37, v36, v35
	v_fma_f32 v38, -v14, v37, v36
	v_fmac_f32_e32 v37, v38, v35
	v_fma_f32 v14, -v14, v37, v36
	v_div_fmas_f32 v14, v14, v35, v37
	v_xor_b32_e32 v13, 0x80000000, v6
	v_mov_b32_e32 v12, v7
	v_div_fixup_f32 v14, v14, v11, 1.0
	v_pk_mul_f32 v[10:11], v[10:11], v[12:13] op_sel_hi:[0,1]
	v_pk_fma_f32 v[6:7], v[6:7], v[8:9], v[10:11] op_sel_hi:[1,0,1]
	s_nop 0
	v_pk_mul_f32 v[6:7], v[14:15], v[6:7] op_sel_hi:[0,1]
	ds_write_b64 v9, v[6:7]
	s_waitcnt lgkmcnt(0)
	s_and_saveexec_b64 s[10:11], s[0:1]
	s_cbranch_execz .LBB53_56
; %bb.67:                               ;   in Loop: Header=BB53_57 Depth=2
	s_mov_b64 s[40:41], -1
	v_mov_b32_e32 v8, v1
	v_mov_b32_e32 v9, v24
	;; [unrolled: 1-line block ×3, first 2 shown]
	s_and_saveexec_b64 s[38:39], s[6:7]
	s_cbranch_execz .LBB53_73
; %bb.68:                               ;   in Loop: Header=BB53_57 Depth=2
	v_mov_b32_e32 v8, v6
	v_mov_b32_e32 v9, v6
	;; [unrolled: 1-line block ×4, first 2 shown]
	s_mov_b64 s[40:41], 0
	v_mov_b32_e32 v12, v22
	v_mov_b32_e32 v13, v30
	;; [unrolled: 1-line block ×3, first 2 shown]
.LBB53_69:                              ;   Parent Loop BB53_10 Depth=1
                                        ;     Parent Loop BB53_57 Depth=2
                                        ; =>    This Inner Loop Header: Depth=3
	ds_read2_b64 v[36:39], v14 offset1:66
	ds_read2_b64 v[40:43], v13 offset1:2
	v_add_u32_e32 v12, -2, v12
	v_cmp_eq_u32_e32 vcc, 0, v12
	v_add_u32_e32 v14, 0x420, v14
	s_waitcnt lgkmcnt(1)
	v_mov_b32_e32 v44, v36
	v_mov_b32_e32 v45, v38
	;; [unrolled: 1-line block ×3, first 2 shown]
	s_waitcnt lgkmcnt(0)
	v_mov_b32_e32 v36, v40
	v_mov_b32_e32 v37, v42
	;; [unrolled: 1-line block ×3, first 2 shown]
	v_pk_fma_f32 v[36:37], v[8:9], v[44:45], v[36:37]
	v_pk_fma_f32 v[40:41], v[10:11], v[44:45], v[42:43]
	;; [unrolled: 1-line block ×3, first 2 shown]
	v_pk_fma_f32 v[38:39], v[8:9], v[38:39], v[40:41] neg_lo:[0,1,0] neg_hi:[0,1,0]
	v_mov_b32_e32 v40, v36
	v_mov_b32_e32 v41, v38
	;; [unrolled: 1-line block ×3, first 2 shown]
	ds_write2_b64 v13, v[40:41], v[38:39] offset1:2
	s_or_b64 s[40:41], vcc, s[40:41]
	v_add_u32_e32 v13, 32, v13
	s_andn2_b64 exec, exec, s[40:41]
	s_cbranch_execnz .LBB53_69
; %bb.70:                               ;   in Loop: Header=BB53_57 Depth=2
	s_or_b64 exec, exec, s[40:41]
	s_mov_b64 s[40:41], 0
	s_and_saveexec_b64 s[42:43], s[8:9]
; %bb.71:                               ;   in Loop: Header=BB53_57 Depth=2
	s_mov_b64 s[40:41], exec
; %bb.72:                               ;   in Loop: Header=BB53_57 Depth=2
	s_or_b64 exec, exec, s[42:43]
	s_orn2_b64 s[40:41], s[40:41], exec
	v_mov_b32_e32 v8, v23
	v_mov_b32_e32 v9, v33
	;; [unrolled: 1-line block ×3, first 2 shown]
.LBB53_73:                              ;   in Loop: Header=BB53_57 Depth=2
	s_or_b64 exec, exec, s[38:39]
	s_and_b64 exec, exec, s[40:41]
	s_cbranch_execz .LBB53_56
; %bb.74:                               ;   in Loop: Header=BB53_57 Depth=2
	v_add_u32_e32 v9, v31, v9
	v_add_u32_e32 v10, s45, v10
	s_mov_b64 s[38:39], 0
.LBB53_75:                              ;   Parent Loop BB53_10 Depth=1
                                        ;     Parent Loop BB53_57 Depth=2
                                        ; =>    This Inner Loop Header: Depth=3
	ds_read_b64 v[12:13], v10 offset:8448
	ds_read_b64 v[36:37], v9
	v_add_u32_e32 v8, 2, v8
	v_cmp_le_i32_e32 vcc, s50, v8
	s_or_b64 s[38:39], vcc, s[38:39]
	v_add_u32_e32 v10, 0x210, v10
	s_waitcnt lgkmcnt(0)
	v_pk_fma_f32 v[36:37], v[6:7], v[12:13], v[36:37] op_sel_hi:[1,0,1]
	s_nop 0
	v_pk_fma_f32 v[12:13], v[6:7], v[12:13], v[36:37] op_sel:[0,1,1] op_sel_hi:[1,1,0] neg_lo:[0,1,0]
	s_nop 0
	v_pk_mov_b32 v[12:13], v[12:13], v[12:13] op_sel:[1,0]
	ds_write_b64 v9, v[12:13]
	v_add_u32_e32 v9, 16, v9
	s_andn2_b64 exec, exec, s[38:39]
	s_cbranch_execnz .LBB53_75
	s_branch .LBB53_56
.LBB53_76:                              ;   in Loop: Header=BB53_10 Depth=1
	s_and_saveexec_b64 s[10:11], s[0:1]
	s_cbranch_execz .LBB53_9
; %bb.77:                               ;   in Loop: Header=BB53_10 Depth=1
	s_mov_b64 s[38:39], 0
	v_mov_b32_e32 v3, v32
	v_mov_b32_e32 v8, v1
	s_branch .LBB53_80
.LBB53_78:                              ;   in Loop: Header=BB53_80 Depth=2
	ds_read_b64 v[10:11], v3
	v_ashrrev_i32_e32 v7, 31, v6
	v_lshl_add_u64 v[6:7], v[6:7], 3, s[26:27]
	s_waitcnt lgkmcnt(0)
	global_store_dwordx2 v[6:7], v[10:11], off
.LBB53_79:                              ;   in Loop: Header=BB53_80 Depth=2
	s_or_b64 exec, exec, s[40:41]
	v_add_u32_e32 v8, 2, v8
	v_cmp_le_i32_e32 vcc, s50, v8
	s_or_b64 s[38:39], vcc, s[38:39]
	v_add_u32_e32 v3, 16, v3
	s_andn2_b64 exec, exec, s[38:39]
	s_cbranch_execz .LBB53_9
.LBB53_80:                              ;   Parent Loop BB53_10 Depth=1
                                        ; =>  This Inner Loop Header: Depth=2
	s_and_saveexec_b64 s[40:41], s[2:3]
	s_cbranch_execz .LBB53_79
; %bb.81:                               ;   in Loop: Header=BB53_80 Depth=2
	s_mov_b64 s[42:43], -1
	s_and_b64 vcc, exec, s[30:31]
                                        ; implicit-def: $vgpr6
	s_cbranch_vccz .LBB53_83
; %bb.82:                               ;   in Loop: Header=BB53_80 Depth=2
	v_add_u32_e32 v6, s37, v8
	v_mad_u64_u32 v[6:7], s[42:43], v6, s50, v[0:1]
	s_mov_b64 s[42:43], 0
.LBB53_83:                              ;   in Loop: Header=BB53_80 Depth=2
	s_andn2_b64 vcc, exec, s[42:43]
	s_cbranch_vccnz .LBB53_78
; %bb.84:                               ;   in Loop: Header=BB53_80 Depth=2
	v_add_u32_e32 v6, v27, v8
	s_branch .LBB53_78
.LBB53_85:                              ;   in Loop: Header=BB53_10 Depth=1
                                        ; implicit-def: $sgpr36
                                        ; implicit-def: $vgpr27
	s_cbranch_execz .LBB53_10
.LBB53_86:
	v_cmp_gt_i32_e64 s[0:1], s50, v1
	s_and_saveexec_b64 s[4:5], s[0:1]
	s_cbranch_execz .LBB53_99
; %bb.87:
	s_mul_i32 s22, s33, s50
	v_add_u32_e32 v2, s22, v0
	s_cmp_lg_u32 s51, 0
	v_mul_lo_u32 v4, v2, s50
	v_mul_u32_u24_e32 v2, 0x108, v0
	v_lshlrev_b32_e32 v3, 3, v1
	s_movk_i32 s8, 0x2100
	s_cselect_b64 s[6:7], -1, 0
	v_cmp_gt_i32_e64 s[2:3], s50, v0
	v_add3_u32 v5, v2, v3, s8
	s_mov_b64 s[8:9], 0
	v_mov_b32_e32 v6, v1
	s_branch .LBB53_89
.LBB53_88:                              ;   in Loop: Header=BB53_89 Depth=1
	s_or_b64 exec, exec, s[12:13]
	v_add_u32_e32 v6, 2, v6
	v_cmp_le_i32_e32 vcc, s50, v6
	s_waitcnt vmcnt(0)
	ds_write_b64 v5, v[8:9]
	s_or_b64 s[8:9], vcc, s[8:9]
	v_add_u32_e32 v5, 16, v5
	s_andn2_b64 exec, exec, s[8:9]
	s_cbranch_execz .LBB53_99
.LBB53_89:                              ; =>This Inner Loop Header: Depth=1
	s_and_b64 vcc, exec, s[6:7]
	s_cbranch_vccz .LBB53_96
; %bb.90:                               ;   in Loop: Header=BB53_89 Depth=1
	s_mov_b64 s[12:13], 0
	s_mov_b64 s[10:11], 0
                                        ; implicit-def: $vgpr2
	s_and_saveexec_b64 s[20:21], s[2:3]
	s_xor_b64 s[20:21], exec, s[20:21]
; %bb.91:                               ;   in Loop: Header=BB53_89 Depth=1
	v_add_u32_e32 v2, s22, v6
	s_mov_b64 s[10:11], exec
	v_mad_u64_u32 v[2:3], s[28:29], v2, s50, v[0:1]
; %bb.92:                               ;   in Loop: Header=BB53_89 Depth=1
	s_or_b64 exec, exec, s[20:21]
	s_and_b64 vcc, exec, s[12:13]
	s_cbranch_vccz .LBB53_97
.LBB53_93:                              ;   in Loop: Header=BB53_89 Depth=1
                                        ; implicit-def: $vgpr2
	s_and_saveexec_b64 s[12:13], s[2:3]
; %bb.94:                               ;   in Loop: Header=BB53_89 Depth=1
	v_add_u32_e32 v2, v4, v6
	s_or_b64 s[10:11], s[10:11], exec
; %bb.95:                               ;   in Loop: Header=BB53_89 Depth=1
	s_or_b64 exec, exec, s[12:13]
	v_mov_b32_e32 v8, 0
	v_mov_b32_e32 v9, 0
	s_and_saveexec_b64 s[12:13], s[10:11]
	s_cbranch_execz .LBB53_88
	s_branch .LBB53_98
.LBB53_96:                              ;   in Loop: Header=BB53_89 Depth=1
	s_mov_b64 s[10:11], 0
                                        ; implicit-def: $vgpr2
	s_cbranch_execnz .LBB53_93
.LBB53_97:                              ;   in Loop: Header=BB53_89 Depth=1
	v_mov_b32_e32 v8, 0
	v_mov_b32_e32 v9, 0
	s_and_saveexec_b64 s[12:13], s[10:11]
	s_cbranch_execz .LBB53_88
.LBB53_98:                              ;   in Loop: Header=BB53_89 Depth=1
	v_ashrrev_i32_e32 v3, 31, v2
	v_lshl_add_u64 v[2:3], v[2:3], 3, s[26:27]
	global_load_dwordx2 v[8:9], v[2:3], off
	s_branch .LBB53_88
.LBB53_99:
	s_or_b64 exec, exec, s[4:5]
	s_cmp_lt_i32 s50, 1
	s_waitcnt lgkmcnt(0)
	s_cbranch_scc1 .LBB53_125
; %bb.100:
	v_or_b32_e32 v4, v1, v0
	s_movk_i32 s8, 0x108
	v_cmp_ne_u32_e64 s[2:3], 0, v4
	v_mov_b32_e32 v4, 0x4200
	v_mad_u32_u24 v11, v0, s8, v4
	v_lshrrev_b32_e32 v4, 1, v18
	v_add_u32_e32 v4, 1, v4
	v_mov_b32_e32 v2, 0x2100
	v_and_b32_e32 v14, -2, v4
	v_mad_u32_u24 v10, v0, s8, v2
	v_mul_u32_u24_e32 v3, 0x108, v0
	s_add_i32 s9, s24, s25
	s_movk_i32 s10, 0x4200
	v_lshl_add_u32 v15, v14, 1, v1
	s_mov_b32 s22, 0
	v_add_u32_e32 v12, v10, v17
	v_add_u32_e32 v13, v11, v17
	v_cmp_lt_u32_e64 s[4:5], 1, v18
	v_cmp_ne_u32_e64 s[6:7], v4, v14
	v_mul_u32_u24_e32 v17, 0x108, v1
	v_mad_u32_u24 v18, v1, s8, v2
	v_add3_u32 v19, v3, v16, s10
	s_mov_b32 s23, 0xf800000
	v_mov_b32_e32 v20, 0x260
	v_mov_b32_e32 v3, 0
	;; [unrolled: 1-line block ×3, first 2 shown]
	v_lshlrev_b32_e32 v21, 3, v15
	v_mul_lo_u32 v22, v15, s8
	s_mov_b32 s28, 0
	s_branch .LBB53_102
.LBB53_101:                             ;   in Loop: Header=BB53_102 Depth=1
	s_or_b64 exec, exec, s[8:9]
	s_add_i32 s28, s28, 1
	s_add_i32 s22, s22, 8
	s_cmp_eq_u32 s28, s50
	v_add_u32_e32 v18, 8, v18
	s_waitcnt lgkmcnt(0)
	s_cbranch_scc1 .LBB53_125
.LBB53_102:                             ; =>This Loop Header: Depth=1
                                        ;     Child Loop BB53_118 Depth 2
                                        ;     Child Loop BB53_124 Depth 2
	v_cmp_eq_u32_e32 vcc, s28, v0
	s_and_saveexec_b64 s[10:11], vcc
	s_cbranch_execz .LBB53_110
; %bb.103:                              ;   in Loop: Header=BB53_102 Depth=1
	ds_read_b64 v[4:5], v12
	ds_read_b64 v[6:7], v13
	s_waitcnt lgkmcnt(0)
	v_sub_f32_e32 v2, v4, v6
	v_sub_f32_e32 v6, v5, v7
	v_cmp_gt_f32_e32 vcc, 0, v2
                                        ; implicit-def: $vgpr5
	s_nop 1
	v_cndmask_b32_e64 v2, v2, -v2, vcc
	v_cmp_gt_f32_e32 vcc, 0, v6
	s_nop 1
	v_cndmask_b32_e64 v4, v6, -v6, vcc
	v_cmp_ngt_f32_e32 vcc, v2, v4
	s_and_saveexec_b64 s[8:9], vcc
	s_xor_b64 s[12:13], exec, s[8:9]
	s_cbranch_execz .LBB53_107
; %bb.104:                              ;   in Loop: Header=BB53_102 Depth=1
	v_mov_b32_e32 v5, 0
	v_cmp_neq_f32_e32 vcc, 0, v6
	s_and_saveexec_b64 s[20:21], vcc
	s_cbranch_execz .LBB53_106
; %bb.105:                              ;   in Loop: Header=BB53_102 Depth=1
	v_div_scale_f32 v5, s[8:9], v4, v4, v2
	v_rcp_f32_e32 v6, v5
	v_div_scale_f32 v7, vcc, v2, v4, v2
	v_fma_f32 v8, -v5, v6, 1.0
	v_fmac_f32_e32 v6, v8, v6
	v_mul_f32_e32 v8, v7, v6
	v_fma_f32 v9, -v5, v8, v7
	v_fmac_f32_e32 v8, v9, v6
	v_fma_f32 v5, -v5, v8, v7
	v_div_fmas_f32 v5, v5, v6, v8
	v_div_fixup_f32 v2, v5, v4, v2
	v_fma_f32 v2, v2, v2, 1.0
	v_mul_f32_e32 v5, 0x4f800000, v2
	v_cmp_gt_f32_e32 vcc, s23, v2
	s_nop 1
	v_cndmask_b32_e32 v2, v2, v5, vcc
	v_sqrt_f32_e32 v5, v2
	s_nop 0
	v_add_u32_e32 v6, -1, v5
	v_fma_f32 v7, -v6, v5, v2
	v_cmp_ge_f32_e64 s[8:9], 0, v7
	v_add_u32_e32 v7, 1, v5
	s_nop 0
	v_cndmask_b32_e64 v6, v5, v6, s[8:9]
	v_fma_f32 v5, -v7, v5, v2
	v_cmp_lt_f32_e64 s[8:9], 0, v5
	s_nop 1
	v_cndmask_b32_e64 v5, v6, v7, s[8:9]
	v_mul_f32_e32 v6, 0x37800000, v5
	v_cndmask_b32_e32 v5, v5, v6, vcc
	v_cmp_class_f32_e32 vcc, v2, v20
	s_nop 1
	v_cndmask_b32_e32 v2, v5, v2, vcc
	v_mul_f32_e32 v5, v4, v2
.LBB53_106:                             ;   in Loop: Header=BB53_102 Depth=1
	s_or_b64 exec, exec, s[20:21]
                                        ; implicit-def: $vgpr2
                                        ; implicit-def: $vgpr4
.LBB53_107:                             ;   in Loop: Header=BB53_102 Depth=1
	s_andn2_saveexec_b64 s[12:13], s[12:13]
	s_cbranch_execz .LBB53_109
; %bb.108:                              ;   in Loop: Header=BB53_102 Depth=1
	v_div_scale_f32 v5, s[8:9], v2, v2, v4
	v_rcp_f32_e32 v6, v5
	v_div_scale_f32 v7, vcc, v4, v2, v4
	v_fma_f32 v8, -v5, v6, 1.0
	v_fmac_f32_e32 v6, v8, v6
	v_mul_f32_e32 v8, v7, v6
	v_fma_f32 v9, -v5, v8, v7
	v_fmac_f32_e32 v8, v9, v6
	v_fma_f32 v5, -v5, v8, v7
	v_div_fmas_f32 v5, v5, v6, v8
	v_div_fixup_f32 v4, v5, v2, v4
	v_fma_f32 v4, v4, v4, 1.0
	v_mul_f32_e32 v5, 0x4f800000, v4
	v_cmp_gt_f32_e32 vcc, s23, v4
	s_nop 1
	v_cndmask_b32_e32 v4, v4, v5, vcc
	v_sqrt_f32_e32 v5, v4
	s_nop 0
	v_add_u32_e32 v6, -1, v5
	v_fma_f32 v7, -v6, v5, v4
	v_cmp_ge_f32_e64 s[8:9], 0, v7
	v_add_u32_e32 v7, 1, v5
	s_nop 0
	v_cndmask_b32_e64 v6, v5, v6, s[8:9]
	v_fma_f32 v5, -v7, v5, v4
	v_cmp_lt_f32_e64 s[8:9], 0, v5
	s_nop 1
	v_cndmask_b32_e64 v5, v6, v7, s[8:9]
	v_mul_f32_e32 v6, 0x37800000, v5
	v_cndmask_b32_e32 v5, v5, v6, vcc
	v_cmp_class_f32_e32 vcc, v4, v20
	s_nop 1
	v_cndmask_b32_e32 v4, v5, v4, vcc
	v_mul_f32_e32 v5, v2, v4
.LBB53_109:                             ;   in Loop: Header=BB53_102 Depth=1
	s_or_b64 exec, exec, s[12:13]
	v_mul_f32_e32 v2, 0x4f800000, v5
	v_cmp_gt_f32_e32 vcc, s23, v5
	s_nop 1
	v_cndmask_b32_e32 v2, v5, v2, vcc
	v_sqrt_f32_e32 v4, v2
	s_nop 0
	v_add_u32_e32 v5, -1, v4
	v_fma_f32 v7, -v5, v4, v2
	v_add_u32_e32 v6, 1, v4
	v_cmp_ge_f32_e64 s[8:9], 0, v7
	s_nop 1
	v_cndmask_b32_e64 v5, v4, v5, s[8:9]
	v_fma_f32 v4, -v6, v4, v2
	v_cmp_lt_f32_e64 s[8:9], 0, v4
	s_nop 1
	v_cndmask_b32_e64 v4, v5, v6, s[8:9]
	v_mul_f32_e32 v5, 0x37800000, v4
	v_cndmask_b32_e32 v4, v4, v5, vcc
	v_cmp_class_f32_e32 vcc, v2, v20
	s_nop 1
	v_cndmask_b32_e32 v2, v4, v2, vcc
	ds_write_b64 v12, v[2:3]
.LBB53_110:                             ;   in Loop: Header=BB53_102 Depth=1
	s_or_b64 exec, exec, s[10:11]
	s_lshl_b32 s8, s28, 3
	s_mul_i32 s9, s28, 0x108
	s_add_i32 s9, s9, s8
	v_mov_b32_e32 v2, s9
	s_waitcnt lgkmcnt(0)
	ds_read_b64 v[26:27], v2 offset:8448
	v_add_u32_e32 v6, s8, v10
	ds_read_b64 v[8:9], v6
	s_waitcnt lgkmcnt(1)
	v_cmp_neq_f32_e32 vcc, 0, v26
	v_cmp_neq_f32_e64 s[8:9], 0, v27
	s_or_b64 vcc, vcc, s[8:9]
	v_cndmask_b32_e32 v4, 0, v27, vcc
	s_nor_b64 s[10:11], vcc, s[2:3]
	v_cndmask_b32_e32 v2, 1.0, v26, vcc
	s_and_saveexec_b64 s[8:9], s[10:11]
	s_cbranch_execz .LBB53_114
; %bb.111:                              ;   in Loop: Header=BB53_102 Depth=1
	v_mbcnt_lo_u32_b32 v2, exec_lo, 0
	v_mbcnt_hi_u32_b32 v2, exec_hi, v2
	v_cmp_eq_u32_e32 vcc, 0, v2
	s_and_saveexec_b64 s[10:11], vcc
	s_cbranch_execz .LBB53_113
; %bb.112:                              ;   in Loop: Header=BB53_102 Depth=1
	global_atomic_smin v3, v25, s[18:19]
.LBB53_113:                             ;   in Loop: Header=BB53_102 Depth=1
	s_or_b64 exec, exec, s[10:11]
	v_mov_b32_e32 v2, 1.0
	v_mov_b32_e32 v4, 0
.LBB53_114:                             ;   in Loop: Header=BB53_102 Depth=1
	s_or_b64 exec, exec, s[8:9]
	v_cmp_lt_u32_e32 vcc, s28, v0
	s_and_saveexec_b64 s[8:9], vcc
	s_cbranch_execz .LBB53_101
; %bb.115:                              ;   in Loop: Header=BB53_102 Depth=1
	v_mul_f32_e32 v5, v4, v4
	v_fmac_f32_e32 v5, v2, v2
	v_div_scale_f32 v7, s[10:11], v5, v5, 1.0
	v_rcp_f32_e32 v23, v7
	v_lshl_add_u32 v24, s28, 3, v11
	s_waitcnt lgkmcnt(0)
	v_mov_b32_e32 v29, v8
	v_fma_f32 v26, -v7, v23, 1.0
	v_fmac_f32_e32 v23, v26, v23
	v_div_scale_f32 v26, vcc, 1.0, v5, 1.0
	v_mul_f32_e32 v28, v26, v23
	v_fma_f32 v27, -v7, v28, v26
	v_fmac_f32_e32 v28, v27, v23
	v_fma_f32 v7, -v7, v28, v26
	ds_read_b64 v[26:27], v24
	v_div_fmas_f32 v7, v7, v23, v28
	v_mov_b32_e32 v28, v9
	v_div_fixup_f32 v24, v7, v5, 1.0
	s_waitcnt lgkmcnt(0)
	v_pk_add_f32 v[8:9], v[28:29], v[26:27] op_sel:[0,1] op_sel_hi:[1,0] neg_lo:[0,1] neg_hi:[0,1]
	s_nop 0
	v_xor_b32_e32 v26, 0x80000000, v9
	v_mov_b32_e32 v27, v8
	v_pk_mul_f32 v[4:5], v[4:5], v[26:27] op_sel_hi:[0,1]
	v_pk_fma_f32 v[4:5], v[8:9], v[2:3], v[4:5] op_sel_hi:[1,0,1]
	s_nop 0
	v_pk_mul_f32 v[4:5], v[24:25], v[4:5] op_sel_hi:[0,1]
	v_pk_mov_b32 v[8:9], v[4:5], v[4:5] op_sel:[1,0]
	ds_write_b64 v6, v[8:9]
	s_waitcnt lgkmcnt(0)
	s_and_b64 exec, exec, s[0:1]
	s_cbranch_execz .LBB53_101
; %bb.116:                              ;   in Loop: Header=BB53_102 Depth=1
	s_mov_b64 s[12:13], -1
	v_mov_b32_e32 v2, v1
	v_mov_b32_e32 v8, v16
	;; [unrolled: 1-line block ×3, first 2 shown]
	s_and_saveexec_b64 s[10:11], s[4:5]
	s_cbranch_execz .LBB53_122
; %bb.117:                              ;   in Loop: Header=BB53_102 Depth=1
	v_mov_b32_e32 v6, v5
	v_mov_b32_e32 v7, v5
	;; [unrolled: 1-line block ×4, first 2 shown]
	s_mov_b64 s[12:13], 0
	v_mov_b32_e32 v2, v14
	v_mov_b32_e32 v23, v19
	;; [unrolled: 1-line block ×3, first 2 shown]
.LBB53_118:                             ;   Parent Loop BB53_102 Depth=1
                                        ; =>  This Inner Loop Header: Depth=2
	ds_read2_b64 v[26:29], v24 offset1:66
	ds_read2_b64 v[30:33], v23 offset1:2
	v_add_u32_e32 v2, -2, v2
	v_cmp_eq_u32_e32 vcc, 0, v2
	v_add_u32_e32 v24, 0x420, v24
	s_waitcnt lgkmcnt(1)
	v_mov_b32_e32 v34, v26
	v_mov_b32_e32 v35, v28
	;; [unrolled: 1-line block ×3, first 2 shown]
	s_waitcnt lgkmcnt(0)
	v_mov_b32_e32 v26, v30
	v_mov_b32_e32 v27, v32
	;; [unrolled: 1-line block ×3, first 2 shown]
	v_pk_fma_f32 v[26:27], v[6:7], v[34:35], v[26:27]
	v_pk_fma_f32 v[30:31], v[8:9], v[34:35], v[32:33]
	;; [unrolled: 1-line block ×3, first 2 shown]
	v_pk_fma_f32 v[28:29], v[6:7], v[28:29], v[30:31] neg_lo:[0,1,0] neg_hi:[0,1,0]
	v_mov_b32_e32 v30, v26
	v_mov_b32_e32 v31, v28
	;; [unrolled: 1-line block ×3, first 2 shown]
	ds_write2_b64 v23, v[30:31], v[28:29] offset1:2
	s_or_b64 s[12:13], vcc, s[12:13]
	v_add_u32_e32 v23, 32, v23
	s_andn2_b64 exec, exec, s[12:13]
	s_cbranch_execnz .LBB53_118
; %bb.119:                              ;   in Loop: Header=BB53_102 Depth=1
	s_or_b64 exec, exec, s[12:13]
	s_mov_b64 s[12:13], 0
	s_and_saveexec_b64 s[20:21], s[6:7]
; %bb.120:                              ;   in Loop: Header=BB53_102 Depth=1
	s_mov_b64 s[12:13], exec
; %bb.121:                              ;   in Loop: Header=BB53_102 Depth=1
	s_or_b64 exec, exec, s[20:21]
	s_orn2_b64 s[12:13], s[12:13], exec
	v_mov_b32_e32 v2, v15
	v_mov_b32_e32 v8, v21
	;; [unrolled: 1-line block ×3, first 2 shown]
.LBB53_122:                             ;   in Loop: Header=BB53_102 Depth=1
	s_or_b64 exec, exec, s[10:11]
	s_and_b64 exec, exec, s[12:13]
	s_cbranch_execz .LBB53_101
; %bb.123:                              ;   in Loop: Header=BB53_102 Depth=1
	v_pk_mov_b32 v[6:7], v[4:5], v[4:5] op_sel:[1,0]
	v_add_u32_e32 v8, v11, v8
	v_add_u32_e32 v9, s22, v9
	s_mov_b64 s[10:11], 0
.LBB53_124:                             ;   Parent Loop BB53_102 Depth=1
                                        ; =>  This Inner Loop Header: Depth=2
	ds_read_b64 v[26:27], v9 offset:8448
	ds_read_b64 v[28:29], v8
	v_add_u32_e32 v2, 2, v2
	v_cmp_le_i32_e32 vcc, s50, v2
	s_or_b64 s[10:11], vcc, s[10:11]
	v_add_u32_e32 v9, 0x210, v9
	s_waitcnt lgkmcnt(0)
	v_pk_fma_f32 v[28:29], v[6:7], v[26:27], v[28:29] op_sel_hi:[1,0,1]
	s_nop 0
	v_pk_fma_f32 v[26:27], v[4:5], v[26:27], v[28:29] op_sel:[0,1,0] neg_hi:[0,1,0]
	ds_write_b64 v8, v[26:27]
	v_add_u32_e32 v8, 16, v8
	s_andn2_b64 exec, exec, s[10:11]
	s_cbranch_execnz .LBB53_124
	s_branch .LBB53_101
.LBB53_125:
	s_and_saveexec_b64 s[2:3], s[0:1]
	s_cbranch_execz .LBB53_134
; %bb.126:
	s_mul_i32 s33, s33, s50
	v_add_u32_e32 v2, s33, v0
	s_cmp_lg_u32 s51, 0
	v_mul_lo_u32 v4, v2, s50
	v_mul_u32_u24_e32 v2, 0x108, v0
	s_movk_i32 s6, 0x2100
	v_cmp_gt_i32_e64 s[0:1], s50, v0
	s_cselect_b64 s[4:5], -1, 0
	v_add3_u32 v5, v2, v16, s6
	s_mov_b64 s[6:7], 0
	v_mov_b32_e32 v6, v1
	s_branch .LBB53_130
.LBB53_127:                             ;   in Loop: Header=BB53_130 Depth=1
	v_add_u32_e32 v2, v4, v6
.LBB53_128:                             ;   in Loop: Header=BB53_130 Depth=1
	ds_read_b64 v[8:9], v5
	v_ashrrev_i32_e32 v3, 31, v2
	v_lshl_add_u64 v[2:3], v[2:3], 3, s[26:27]
	s_waitcnt lgkmcnt(0)
	global_store_dwordx2 v[2:3], v[8:9], off
.LBB53_129:                             ;   in Loop: Header=BB53_130 Depth=1
	s_or_b64 exec, exec, s[8:9]
	v_add_u32_e32 v6, 2, v6
	v_cmp_le_i32_e32 vcc, s50, v6
	s_or_b64 s[6:7], vcc, s[6:7]
	v_add_u32_e32 v5, 16, v5
	s_andn2_b64 exec, exec, s[6:7]
	s_cbranch_execz .LBB53_134
.LBB53_130:                             ; =>This Inner Loop Header: Depth=1
	s_and_saveexec_b64 s[8:9], s[0:1]
	s_cbranch_execz .LBB53_129
; %bb.131:                              ;   in Loop: Header=BB53_130 Depth=1
	s_and_b64 vcc, exec, s[4:5]
	s_cbranch_vccz .LBB53_133
; %bb.132:                              ;   in Loop: Header=BB53_130 Depth=1
	v_add_u32_e32 v2, s33, v6
	v_mad_u64_u32 v[2:3], s[10:11], v2, s50, v[0:1]
	s_cbranch_execnz .LBB53_128
	s_branch .LBB53_127
.LBB53_133:                             ;   in Loop: Header=BB53_130 Depth=1
                                        ; implicit-def: $vgpr2
	s_branch .LBB53_127
.LBB53_134:
	s_or_b64 exec, exec, s[2:3]
	v_or_b32_e32 v2, v1, v0
	v_cmp_eq_u32_e32 vcc, 0, v2
	s_and_saveexec_b64 s[0:1], vcc
	s_cbranch_execz .LBB53_136
; %bb.135:
	s_add_u32 s2, s14, s16
	s_addc_u32 s3, s15, s17
	v_mov_b32_e32 v2, 0
	v_mov_b32_e32 v3, 1
	buffer_wbl2 sc1
	s_waitcnt vmcnt(0)
	global_store_dword v2, v3, s[2:3] sc1
.LBB53_136:
	s_or_b64 exec, exec, s[0:1]
.LBB53_137:
	s_endpgm
.LBB53_138:
	s_cbranch_execz .LBB53_137
; %bb.139:
	v_or_b32_e32 v0, v1, v0
	v_cmp_eq_u32_e32 vcc, 0, v0
	s_and_saveexec_b64 s[0:1], vcc
	s_cbranch_execz .LBB53_137
; %bb.140:
	v_mbcnt_lo_u32_b32 v0, exec_lo, 0
	v_mbcnt_hi_u32_b32 v0, exec_hi, v0
	v_cmp_eq_u32_e32 vcc, 0, v0
	s_and_saveexec_b64 s[0:1], vcc
	s_cbranch_execz .LBB53_142
; %bb.141:
	s_add_i32 s2, s24, s25
	v_mov_b32_e32 v0, 0
	v_mov_b32_e32 v1, s2
	global_atomic_smin v0, v1, s[18:19]
.LBB53_142:
	s_or_b64 exec, exec, s[0:1]
	s_add_u32 s0, s14, s16
	s_addc_u32 s1, s15, s17
	v_mov_b32_e32 v0, 0
	v_mov_b32_e32 v1, 1
	buffer_wbl2 sc1
	s_waitcnt vmcnt(0)
	global_store_dword v0, v1, s[0:1] sc1
	s_endpgm
	.section	.rodata,"a",@progbits
	.p2align	6, 0x0
	.amdhsa_kernel _ZN9rocsparseL19bsric0_17_32_kernelILi64ELi64ELi32E21rocsparse_complex_numIfEEEv20rocsparse_direction_iiPKiS5_PT2_S5_PiS5_S8_21rocsparse_index_base_
		.amdhsa_group_segment_fixed_size 26112
		.amdhsa_private_segment_fixed_size 0
		.amdhsa_kernarg_size 76
		.amdhsa_user_sgpr_count 2
		.amdhsa_user_sgpr_dispatch_ptr 0
		.amdhsa_user_sgpr_queue_ptr 0
		.amdhsa_user_sgpr_kernarg_segment_ptr 1
		.amdhsa_user_sgpr_dispatch_id 0
		.amdhsa_user_sgpr_kernarg_preload_length 0
		.amdhsa_user_sgpr_kernarg_preload_offset 0
		.amdhsa_user_sgpr_private_segment_size 0
		.amdhsa_uses_dynamic_stack 0
		.amdhsa_enable_private_segment 0
		.amdhsa_system_sgpr_workgroup_id_x 1
		.amdhsa_system_sgpr_workgroup_id_y 0
		.amdhsa_system_sgpr_workgroup_id_z 0
		.amdhsa_system_sgpr_workgroup_info 0
		.amdhsa_system_vgpr_workitem_id 1
		.amdhsa_next_free_vgpr 169
		.amdhsa_next_free_sgpr 96
		.amdhsa_accum_offset 48
		.amdhsa_reserve_vcc 1
		.amdhsa_float_round_mode_32 0
		.amdhsa_float_round_mode_16_64 0
		.amdhsa_float_denorm_mode_32 3
		.amdhsa_float_denorm_mode_16_64 3
		.amdhsa_dx10_clamp 1
		.amdhsa_ieee_mode 1
		.amdhsa_fp16_overflow 0
		.amdhsa_tg_split 0
		.amdhsa_exception_fp_ieee_invalid_op 0
		.amdhsa_exception_fp_denorm_src 0
		.amdhsa_exception_fp_ieee_div_zero 0
		.amdhsa_exception_fp_ieee_overflow 0
		.amdhsa_exception_fp_ieee_underflow 0
		.amdhsa_exception_fp_ieee_inexact 0
		.amdhsa_exception_int_div_zero 0
	.end_amdhsa_kernel
	.section	.text._ZN9rocsparseL19bsric0_17_32_kernelILi64ELi64ELi32E21rocsparse_complex_numIfEEEv20rocsparse_direction_iiPKiS5_PT2_S5_PiS5_S8_21rocsparse_index_base_,"axG",@progbits,_ZN9rocsparseL19bsric0_17_32_kernelILi64ELi64ELi32E21rocsparse_complex_numIfEEEv20rocsparse_direction_iiPKiS5_PT2_S5_PiS5_S8_21rocsparse_index_base_,comdat
.Lfunc_end53:
	.size	_ZN9rocsparseL19bsric0_17_32_kernelILi64ELi64ELi32E21rocsparse_complex_numIfEEEv20rocsparse_direction_iiPKiS5_PT2_S5_PiS5_S8_21rocsparse_index_base_, .Lfunc_end53-_ZN9rocsparseL19bsric0_17_32_kernelILi64ELi64ELi32E21rocsparse_complex_numIfEEEv20rocsparse_direction_iiPKiS5_PT2_S5_PiS5_S8_21rocsparse_index_base_
                                        ; -- End function
	.set _ZN9rocsparseL19bsric0_17_32_kernelILi64ELi64ELi32E21rocsparse_complex_numIfEEEv20rocsparse_direction_iiPKiS5_PT2_S5_PiS5_S8_21rocsparse_index_base_.num_vgpr, 46
	.set _ZN9rocsparseL19bsric0_17_32_kernelILi64ELi64ELi32E21rocsparse_complex_numIfEEEv20rocsparse_direction_iiPKiS5_PT2_S5_PiS5_S8_21rocsparse_index_base_.num_agpr, 0
	.set _ZN9rocsparseL19bsric0_17_32_kernelILi64ELi64ELi32E21rocsparse_complex_numIfEEEv20rocsparse_direction_iiPKiS5_PT2_S5_PiS5_S8_21rocsparse_index_base_.numbered_sgpr, 60
	.set _ZN9rocsparseL19bsric0_17_32_kernelILi64ELi64ELi32E21rocsparse_complex_numIfEEEv20rocsparse_direction_iiPKiS5_PT2_S5_PiS5_S8_21rocsparse_index_base_.num_named_barrier, 0
	.set _ZN9rocsparseL19bsric0_17_32_kernelILi64ELi64ELi32E21rocsparse_complex_numIfEEEv20rocsparse_direction_iiPKiS5_PT2_S5_PiS5_S8_21rocsparse_index_base_.private_seg_size, 0
	.set _ZN9rocsparseL19bsric0_17_32_kernelILi64ELi64ELi32E21rocsparse_complex_numIfEEEv20rocsparse_direction_iiPKiS5_PT2_S5_PiS5_S8_21rocsparse_index_base_.uses_vcc, 1
	.set _ZN9rocsparseL19bsric0_17_32_kernelILi64ELi64ELi32E21rocsparse_complex_numIfEEEv20rocsparse_direction_iiPKiS5_PT2_S5_PiS5_S8_21rocsparse_index_base_.uses_flat_scratch, 0
	.set _ZN9rocsparseL19bsric0_17_32_kernelILi64ELi64ELi32E21rocsparse_complex_numIfEEEv20rocsparse_direction_iiPKiS5_PT2_S5_PiS5_S8_21rocsparse_index_base_.has_dyn_sized_stack, 0
	.set _ZN9rocsparseL19bsric0_17_32_kernelILi64ELi64ELi32E21rocsparse_complex_numIfEEEv20rocsparse_direction_iiPKiS5_PT2_S5_PiS5_S8_21rocsparse_index_base_.has_recursion, 0
	.set _ZN9rocsparseL19bsric0_17_32_kernelILi64ELi64ELi32E21rocsparse_complex_numIfEEEv20rocsparse_direction_iiPKiS5_PT2_S5_PiS5_S8_21rocsparse_index_base_.has_indirect_call, 0
	.section	.AMDGPU.csdata,"",@progbits
; Kernel info:
; codeLenInByte = 4888
; TotalNumSgprs: 66
; NumVgprs: 46
; NumAgprs: 0
; TotalNumVgprs: 46
; ScratchSize: 0
; MemoryBound: 0
; FloatMode: 240
; IeeeMode: 1
; LDSByteSize: 26112 bytes/workgroup (compile time only)
; SGPRBlocks: 12
; VGPRBlocks: 21
; NumSGPRsForWavesPerEU: 102
; NumVGPRsForWavesPerEU: 169
; AccumOffset: 48
; Occupancy: 2
; WaveLimiterHint : 1
; COMPUTE_PGM_RSRC2:SCRATCH_EN: 0
; COMPUTE_PGM_RSRC2:USER_SGPR: 2
; COMPUTE_PGM_RSRC2:TRAP_HANDLER: 0
; COMPUTE_PGM_RSRC2:TGID_X_EN: 1
; COMPUTE_PGM_RSRC2:TGID_Y_EN: 0
; COMPUTE_PGM_RSRC2:TGID_Z_EN: 0
; COMPUTE_PGM_RSRC2:TIDIG_COMP_CNT: 1
; COMPUTE_PGM_RSRC3_GFX90A:ACCUM_OFFSET: 11
; COMPUTE_PGM_RSRC3_GFX90A:TG_SPLIT: 0
	.section	.text._ZN9rocsparseL17bsric0_2_8_kernelILi64ELi128ELi8E21rocsparse_complex_numIfEEEv20rocsparse_direction_iiPKiS5_PT2_S5_PiS5_S8_21rocsparse_index_base_,"axG",@progbits,_ZN9rocsparseL17bsric0_2_8_kernelILi64ELi128ELi8E21rocsparse_complex_numIfEEEv20rocsparse_direction_iiPKiS5_PT2_S5_PiS5_S8_21rocsparse_index_base_,comdat
	.globl	_ZN9rocsparseL17bsric0_2_8_kernelILi64ELi128ELi8E21rocsparse_complex_numIfEEEv20rocsparse_direction_iiPKiS5_PT2_S5_PiS5_S8_21rocsparse_index_base_ ; -- Begin function _ZN9rocsparseL17bsric0_2_8_kernelILi64ELi128ELi8E21rocsparse_complex_numIfEEEv20rocsparse_direction_iiPKiS5_PT2_S5_PiS5_S8_21rocsparse_index_base_
	.p2align	8
	.type	_ZN9rocsparseL17bsric0_2_8_kernelILi64ELi128ELi8E21rocsparse_complex_numIfEEEv20rocsparse_direction_iiPKiS5_PT2_S5_PiS5_S8_21rocsparse_index_base_,@function
_ZN9rocsparseL17bsric0_2_8_kernelILi64ELi128ELi8E21rocsparse_complex_numIfEEEv20rocsparse_direction_iiPKiS5_PT2_S5_PiS5_S8_21rocsparse_index_base_: ; @_ZN9rocsparseL17bsric0_2_8_kernelILi64ELi128ELi8E21rocsparse_complex_numIfEEEv20rocsparse_direction_iiPKiS5_PT2_S5_PiS5_S8_21rocsparse_index_base_
; %bb.0:
	s_load_dwordx8 s[8:15], s[0:1], 0x28
	s_mov_b32 s3, 0
	s_lshl_b64 s[2:3], s[2:3], 2
	v_and_b32_e32 v15, 0x3ff, v0
	v_bfe_u32 v16, v0, 10, 10
	s_waitcnt lgkmcnt(0)
	s_add_u32 s2, s12, s2
	s_addc_u32 s3, s13, s3
	s_load_dword s20, s[2:3], 0x0
	s_waitcnt lgkmcnt(0)
	s_ashr_i32 s21, s20, 31
	s_lshl_b64 s[12:13], s[20:21], 2
	s_add_u32 s2, s8, s12
	s_addc_u32 s3, s9, s13
	s_load_dword s33, s[2:3], 0x0
	s_load_dword s21, s[0:1], 0x48
	s_waitcnt lgkmcnt(0)
	s_cmp_lg_u32 s33, -1
	s_cbranch_scc0 .LBB54_93
; %bb.1:
	s_load_dwordx4 s[16:19], s[0:1], 0x10
	s_load_dwordx2 s[22:23], s[0:1], 0x20
	v_lshlrev_b32_e32 v17, 3, v16
	v_add_u32_e32 v1, v17, v15
	s_waitcnt lgkmcnt(0)
	s_add_u32 s2, s16, s12
	s_addc_u32 s3, s17, s13
	s_load_dword s26, s[2:3], 0x0
	s_waitcnt lgkmcnt(0)
	s_sub_i32 s40, s26, s21
	v_add_u32_e32 v0, s40, v1
	v_cmp_ge_i32_e32 vcc, s33, v0
	s_and_saveexec_b64 s[2:3], vcc
	s_cbranch_execz .LBB54_14
; %bb.2:
	v_add_u32_e32 v1, s26, v1
	v_subrev_u32_e32 v1, s21, v1
	v_add_u32_e32 v1, 64, v1
	s_add_i32 s4, s33, 1
	v_max_i32_e32 v1, s4, v1
	v_not_b32_e32 v2, v15
	v_add3_u32 v1, s21, v1, v2
	v_add_u32_e32 v2, s26, v17
	v_sub_u32_e32 v1, v1, v2
	v_cmp_lt_u32_e32 vcc, 63, v1
	s_mov_b64 s[6:7], -1
	s_and_saveexec_b64 s[4:5], vcc
	s_cbranch_execz .LBB54_11
; %bb.3:
	v_lshrrev_b32_e32 v4, 6, v1
	v_add_u32_e32 v2, -1, v4
	v_add_u32_e32 v1, 64, v0
	v_lshrrev_b32_e32 v3, 1, v2
	v_add_u32_e32 v5, 1, v3
	v_cmp_lt_u32_e32 vcc, 13, v2
	v_mov_b64_e32 v[2:3], v[0:1]
	s_and_saveexec_b64 s[6:7], vcc
	s_cbranch_execz .LBB54_7
; %bb.4:
	v_and_b32_e32 v6, -8, v5
	s_mov_b64 s[24:25], 0
	v_mov_b64_e32 v[2:3], v[0:1]
.LBB54_5:                               ; =>This Inner Loop Header: Depth=1
	v_ashrrev_i32_e32 v11, 31, v2
	v_mov_b32_e32 v10, v2
	v_ashrrev_i32_e32 v9, 31, v3
	v_mov_b32_e32 v8, v3
	v_add_u32_e32 v12, 0x80, v2
	v_add_u32_e32 v18, 0x80, v3
	v_lshl_add_u64 v[10:11], v[10:11], 2, s[18:19]
	v_add_u32_e32 v20, 0x100, v2
	v_add_u32_e32 v22, 0x100, v3
	;; [unrolled: 1-line block ×12, first 2 shown]
	v_lshl_add_u64 v[8:9], v[8:9], 2, s[18:19]
	v_ashrrev_i32_e32 v19, 31, v18
	v_ashrrev_i32_e32 v13, 31, v12
	global_load_dword v1, v[10:11], off
	global_load_dword v7, v[8:9], off
	v_ashrrev_i32_e32 v23, 31, v22
	v_ashrrev_i32_e32 v21, 31, v20
	;; [unrolled: 1-line block ×12, first 2 shown]
	v_lshl_add_u64 v[8:9], v[12:13], 2, s[18:19]
	v_lshl_add_u64 v[10:11], v[18:19], 2, s[18:19]
	v_lshl_add_u64 v[44:45], v[20:21], 2, s[18:19]
	v_lshl_add_u64 v[46:47], v[22:23], 2, s[18:19]
	v_lshl_add_u64 v[48:49], v[24:25], 2, s[18:19]
	v_lshl_add_u64 v[50:51], v[26:27], 2, s[18:19]
	v_lshl_add_u64 v[52:53], v[28:29], 2, s[18:19]
	v_lshl_add_u64 v[54:55], v[30:31], 2, s[18:19]
	v_lshl_add_u64 v[56:57], v[32:33], 2, s[18:19]
	v_lshl_add_u64 v[58:59], v[34:35], 2, s[18:19]
	v_lshl_add_u64 v[60:61], v[36:37], 2, s[18:19]
	v_lshl_add_u64 v[62:63], v[38:39], 2, s[18:19]
	v_lshl_add_u64 v[64:65], v[40:41], 2, s[18:19]
	global_load_dword v13, v[10:11], off
	v_lshl_add_u64 v[10:11], v[42:43], 2, s[18:19]
	global_load_dword v14, v[8:9], off
	global_load_dword v19, v[46:47], off
	;; [unrolled: 1-line block ×13, first 2 shown]
	v_subrev_u32_e32 v9, s40, v2
	v_add_u32_e32 v6, -8, v6
	v_subrev_u32_e32 v8, s40, v3
	v_lshlrev_b32_e32 v9, 2, v9
	v_subrev_u32_e32 v11, s40, v12
	v_cmp_eq_u32_e32 vcc, 0, v6
	v_add_u32_e32 v3, 0x400, v3
	v_add_u32_e32 v2, 0x400, v2
	v_lshlrev_b32_e32 v8, 2, v8
	v_subrev_u32_e32 v10, s40, v18
	v_subrev_u32_e32 v12, s40, v22
	v_subrev_u32_e32 v18, s40, v20
	v_subrev_u32_e32 v20, s40, v26
	v_subrev_u32_e32 v22, s40, v24
	v_subrev_u32_e32 v24, s40, v30
	v_subrev_u32_e32 v26, s40, v28
	v_subrev_u32_e32 v28, s40, v34
	v_subrev_u32_e32 v30, s40, v32
	v_subrev_u32_e32 v32, s40, v38
	v_subrev_u32_e32 v34, s40, v36
	v_subrev_u32_e32 v36, s40, v42
	v_subrev_u32_e32 v38, s40, v40
	v_lshlrev_b32_e32 v11, 2, v11
	s_or_b64 s[24:25], vcc, s[24:25]
	v_lshlrev_b32_e32 v10, 2, v10
	v_lshlrev_b32_e32 v18, 2, v18
	;; [unrolled: 1-line block ×13, first 2 shown]
	s_waitcnt vmcnt(15)
	v_subrev_u32_e32 v1, s21, v1
	s_waitcnt vmcnt(14)
	v_subrev_u32_e32 v7, s21, v7
	ds_write_b32 v9, v1 offset:3328
	ds_write_b32 v8, v7 offset:3328
	s_waitcnt vmcnt(12)
	v_subrev_u32_e32 v7, s21, v14
	s_waitcnt vmcnt(11)
	v_subrev_u32_e32 v8, s21, v19
	;; [unrolled: 2-line block ×8, first 2 shown]
	v_subrev_u32_e32 v1, s21, v13
	v_subrev_u32_e32 v13, s21, v23
	;; [unrolled: 1-line block ×3, first 2 shown]
	s_waitcnt vmcnt(2)
	v_subrev_u32_e32 v29, s21, v37
	s_waitcnt vmcnt(1)
	v_subrev_u32_e32 v31, s21, v39
	;; [unrolled: 2-line block ×3, first 2 shown]
	ds_write_b32 v11, v7 offset:3328
	ds_write_b32 v10, v1 offset:3328
	;; [unrolled: 1-line block ×14, first 2 shown]
	s_andn2_b64 exec, exec, s[24:25]
	s_cbranch_execnz .LBB54_5
; %bb.6:
	s_or_b64 exec, exec, s[24:25]
.LBB54_7:
	s_or_b64 exec, exec, s[6:7]
	v_and_b32_e32 v1, 7, v5
	v_cmp_ne_u32_e32 vcc, 0, v1
	s_and_saveexec_b64 s[6:7], vcc
	s_cbranch_execz .LBB54_10
; %bb.8:
	s_mov_b64 s[24:25], 0
.LBB54_9:                               ; =>This Inner Loop Header: Depth=1
	v_ashrrev_i32_e32 v7, 31, v3
	v_mov_b32_e32 v6, v3
	v_ashrrev_i32_e32 v9, 31, v2
	v_mov_b32_e32 v8, v2
	v_lshl_add_u64 v[6:7], v[6:7], 2, s[18:19]
	v_lshl_add_u64 v[8:9], v[8:9], 2, s[18:19]
	global_load_dword v5, v[6:7], off
	global_load_dword v10, v[8:9], off
	v_add_u32_e32 v1, -1, v1
	v_subrev_u32_e32 v7, s40, v2
	v_cmp_eq_u32_e32 vcc, 0, v1
	v_subrev_u32_e32 v6, s40, v3
	v_add_u32_e32 v3, 0x80, v3
	v_add_u32_e32 v2, 0x80, v2
	v_lshlrev_b32_e32 v7, 2, v7
	s_or_b64 s[24:25], vcc, s[24:25]
	v_lshlrev_b32_e32 v6, 2, v6
	s_waitcnt vmcnt(1)
	v_subrev_u32_e32 v5, s21, v5
	s_waitcnt vmcnt(0)
	v_subrev_u32_e32 v8, s21, v10
	ds_write_b32 v7, v8 offset:3328
	ds_write_b32 v6, v5 offset:3328
	s_andn2_b64 exec, exec, s[24:25]
	s_cbranch_execnz .LBB54_9
.LBB54_10:
	s_or_b64 exec, exec, s[6:7]
	v_add_u32_e32 v1, 1, v4
	v_and_b32_e32 v2, 0x7fffffe, v1
	v_cmp_ne_u32_e32 vcc, v1, v2
	v_lshl_add_u32 v0, v2, 6, v0
	s_orn2_b64 s[6:7], vcc, exec
.LBB54_11:
	s_or_b64 exec, exec, s[4:5]
	s_and_b64 exec, exec, s[6:7]
	s_cbranch_execz .LBB54_14
; %bb.12:
	v_add_u32_e32 v1, s21, v0
	v_subrev_u32_e32 v1, s26, v1
	v_mov_b32_e32 v2, 0xd00
	v_lshl_add_u32 v4, v1, 2, v2
	v_ashrrev_i32_e32 v1, 31, v0
	v_lshl_add_u64 v[2:3], v[0:1], 2, s[18:19]
	s_mov_b64 s[4:5], 0
	s_mov_b64 s[6:7], 0x100
.LBB54_13:                              ; =>This Inner Loop Header: Depth=1
	global_load_dword v1, v[2:3], off
	v_add_u32_e32 v0, 64, v0
	v_cmp_lt_i32_e32 vcc, s33, v0
	v_lshl_add_u64 v[2:3], v[2:3], 0, s[6:7]
	s_or_b64 s[4:5], vcc, s[4:5]
	s_waitcnt vmcnt(0)
	v_subrev_u32_e32 v1, s21, v1
	ds_write_b32 v4, v1
	v_add_u32_e32 v4, 0x100, v4
	s_andn2_b64 exec, exec, s[4:5]
	s_cbranch_execnz .LBB54_13
.LBB54_14:
	s_or_b64 exec, exec, s[2:3]
	s_load_dword s42, s[0:1], 0x0
	s_load_dword s41, s[0:1], 0x8
	s_movk_i32 s6, 0x48
	v_mov_b32_e32 v0, 0x6c0
	v_mad_u32_u24 v18, v16, s6, v0
	v_mov_b32_e32 v30, 0
	v_lshl_add_u32 v1, v15, 3, v18
	v_mov_b32_e32 v31, v30
	s_cmp_ge_i32 s40, s33
	ds_write_b64 v1, v[30:31]
	s_waitcnt lgkmcnt(0)
	s_cbranch_scc1 .LBB54_68
; %bb.15:
	s_cmp_lg_u32 s42, 0
	s_cselect_b64 s[24:25], -1, 0
	s_cmp_eq_u32 s42, 0
	v_cmp_gt_i32_e64 s[0:1], s41, v15
	v_cmp_gt_i32_e64 s[2:3], s41, v16
	v_mov_b32_e32 v0, 0x480
	v_mov_b32_e32 v3, 0x240
	s_cselect_b64 vcc, -1, 0
	s_and_b64 s[26:27], s[0:1], s[2:3]
	v_mad_u32_u24 v19, v16, s6, v0
	v_lshlrev_b32_e32 v2, 3, v15
	v_mad_u32_u24 v24, v16, s6, v3
	v_add_u32_e32 v20, v19, v2
	v_mad_u32_u24 v21, v16, s6, v2
	s_cmp_gt_i32 s41, 0
	v_add_u32_e32 v25, v24, v2
	v_or_b32_e32 v2, v15, v16
	s_mul_i32 s43, s41, s41
	v_mul_lo_u32 v22, s41, v15
	v_mul_lo_u32 v23, s41, v16
	v_cmp_ne_u32_e64 s[4:5], 0, v2
	v_mad_u32_u24 v26, v15, s6, v0
	v_cndmask_b32_e32 v0, v16, v15, vcc
	v_cndmask_b32_e32 v27, v15, v16, vcc
	v_mov_b32_e32 v2, 0
	s_cselect_b64 s[28:29], -1, 0
	s_mov_b32 s30, s40
	s_branch .LBB54_17
.LBB54_16:                              ;   in Loop: Header=BB54_17 Depth=1
	s_or_b64 exec, exec, s[6:7]
	s_add_i32 s30, s30, 1
	s_cmp_ge_i32 s30, s33
	s_cselect_b64 s[6:7], -1, 0
	buffer_wbl2 sc1
	s_waitcnt vmcnt(0)
	buffer_inv sc1
	s_and_b64 vcc, exec, s[6:7]
	s_cbranch_vccnz .LBB54_68
.LBB54_17:                              ; =>This Loop Header: Depth=1
                                        ;     Child Loop BB54_22 Depth 2
                                        ;     Child Loop BB54_33 Depth 2
	;; [unrolled: 1-line block ×4, first 2 shown]
                                        ;       Child Loop BB54_64 Depth 3
	s_ashr_i32 s31, s30, 31
	s_lshl_b64 s[6:7], s[30:31], 2
	s_add_u32 s6, s18, s6
	s_addc_u32 s7, s19, s7
	s_load_dword s31, s[6:7], 0x0
	s_waitcnt lgkmcnt(0)
	s_sub_i32 s34, s31, s21
	s_ashr_i32 s35, s34, 31
	s_lshl_b64 s[6:7], s[34:35], 2
	s_add_u32 s36, s8, s6
	s_addc_u32 s37, s9, s7
	s_load_dword s35, s[36:37], 0x0
	s_waitcnt lgkmcnt(0)
	s_cmp_eq_u32 s35, -1
	s_cbranch_scc1 .LBB54_67
; %bb.18:                               ;   in Loop: Header=BB54_17 Depth=1
	s_add_u32 s36, s16, s6
	v_mov_b32_e32 v4, 0
	s_mul_i32 s38, s30, s41
	s_addc_u32 s37, s17, s7
	v_add_u32_e32 v28, s38, v27
	v_mov_b32_e32 v5, v4
	s_and_saveexec_b64 s[38:39], s[26:27]
	s_cbranch_execz .LBB54_20
; %bb.19:                               ;   in Loop: Header=BB54_17 Depth=1
	v_mad_u64_u32 v[4:5], s[44:45], v28, s41, v[0:1]
	v_ashrrev_i32_e32 v5, 31, v4
	v_lshl_add_u64 v[4:5], v[4:5], 3, s[22:23]
	global_load_dwordx2 v[4:5], v[4:5], off
.LBB54_20:                              ;   in Loop: Header=BB54_17 Depth=1
	s_or_b64 exec, exec, s[38:39]
	s_load_dword s36, s[36:37], 0x0
	ds_read_b32 v3, v2 offset:3328
	s_mov_b32 s37, 0
	s_waitcnt vmcnt(0)
	ds_write_b64 v20, v[4:5]
	s_waitcnt lgkmcnt(0)
	s_sub_i32 s36, s36, s21
	s_cmp_le_i32 s36, s35
	v_cmp_ge_i32_e32 vcc, s34, v3
	s_cselect_b64 s[38:39], -1, 0
	s_and_b64 s[38:39], s[38:39], vcc
	s_andn2_b64 vcc, exec, s[38:39]
	s_cbranch_vccnz .LBB54_32
; %bb.21:                               ;   in Loop: Header=BB54_17 Depth=1
	s_mov_b32 s44, 0
	s_mov_b32 s45, 0
.LBB54_22:                              ;   Parent Loop BB54_17 Depth=1
                                        ; =>  This Inner Loop Header: Depth=2
	s_ashr_i32 s37, s36, 31
	s_lshl_b64 s[38:39], s[36:37], 2
	s_add_u32 s38, s18, s38
	s_addc_u32 s39, s19, s39
	s_load_dword s37, s[38:39], 0x0
	s_lshl_b32 s38, s45, 2
	v_mov_b32_e32 v3, s38
	ds_read_b32 v3, v3 offset:3328
	s_mov_b64 s[38:39], -1
	s_waitcnt lgkmcnt(0)
	s_sub_i32 s49, s37, s21
                                        ; implicit-def: $sgpr37
                                        ; implicit-def: $sgpr48
                                        ; implicit-def: $sgpr47
	v_cmp_ge_i32_e32 vcc, s49, v3
	v_readfirstlane_b32 s46, v3
	s_cbranch_vccz .LBB54_28
; %bb.23:                               ;   in Loop: Header=BB54_22 Depth=2
	s_cmp_le_i32 s49, s46
                                        ; implicit-def: $sgpr37
                                        ; implicit-def: $sgpr48
                                        ; implicit-def: $sgpr47
	s_cbranch_scc0 .LBB54_25
; %bb.24:                               ;   in Loop: Header=BB54_22 Depth=2
	s_add_i32 s37, s45, s40
	s_mul_i32 s37, s37, s43
	s_lshl_b32 s38, s44, 2
	v_mov_b32_e32 v4, s37
	s_mul_i32 s37, s36, s43
	v_mov_b32_e32 v3, s38
	v_mov_b32_e32 v5, s37
	ds_write2st64_b32 v3, v5, v4 offset0:9 offset1:11
	s_add_i32 s47, s45, 1
	s_add_i32 s48, s36, 1
	;; [unrolled: 1-line block ×3, first 2 shown]
	s_mov_b64 s[38:39], 0
.LBB54_25:                              ;   in Loop: Header=BB54_22 Depth=2
	s_andn2_b64 vcc, exec, s[38:39]
	s_cbranch_vccnz .LBB54_27
; %bb.26:                               ;   in Loop: Header=BB54_22 Depth=2
	s_add_i32 s47, s45, 1
	s_mov_b32 s37, s44
	s_mov_b32 s48, s36
.LBB54_27:                              ;   in Loop: Header=BB54_22 Depth=2
	s_mov_b64 s[38:39], 0
.LBB54_28:                              ;   in Loop: Header=BB54_22 Depth=2
	s_andn2_b64 vcc, exec, s[38:39]
	s_cbranch_vccnz .LBB54_30
; %bb.29:                               ;   in Loop: Header=BB54_22 Depth=2
	s_add_i32 s48, s36, 1
	s_mov_b32 s47, s45
	s_mov_b32 s37, s44
.LBB54_30:                              ;   in Loop: Header=BB54_22 Depth=2
	s_cmp_le_i32 s48, s35
	s_cselect_b64 s[38:39], -1, 0
	s_cmp_le_i32 s46, s34
	s_cselect_b64 s[44:45], -1, 0
	s_and_b64 s[38:39], s[38:39], s[44:45]
	s_and_b64 vcc, exec, s[38:39]
	s_cbranch_vccz .LBB54_32
; %bb.31:                               ;   in Loop: Header=BB54_22 Depth=2
	s_mov_b32 s44, s37
	s_mov_b32 s36, s48
	;; [unrolled: 1-line block ×3, first 2 shown]
	s_branch .LBB54_22
.LBB54_32:                              ;   in Loop: Header=BB54_17 Depth=1
	s_add_u32 s6, s10, s6
	s_addc_u32 s7, s11, s7
	s_waitcnt lgkmcnt(0)
.LBB54_33:                              ;   Parent Loop BB54_17 Depth=1
                                        ; =>  This Inner Loop Header: Depth=2
	global_load_dword v3, v2, s[6:7] sc1
	s_waitcnt vmcnt(0)
	v_cmp_eq_u32_e32 vcc, 0, v3
	s_cbranch_vccnz .LBB54_33
; %bb.34:                               ;   in Loop: Header=BB54_17 Depth=1
	v_mov_b32_e32 v5, 0
	v_mov_b32_e32 v6, 0
	v_mov_b32_e32 v7, 0
	buffer_inv sc1
	s_and_saveexec_b64 s[6:7], s[26:27]
	s_cbranch_execz .LBB54_36
; %bb.35:                               ;   in Loop: Header=BB54_17 Depth=1
	s_mul_i32 s35, s35, s41
	v_add_u32_e32 v3, s35, v27
	v_mad_u64_u32 v[6:7], s[34:35], v3, s41, v[0:1]
	v_ashrrev_i32_e32 v7, 31, v6
	v_lshl_add_u64 v[6:7], v[6:7], 3, s[22:23]
	global_load_dwordx2 v[6:7], v[6:7], off
.LBB54_36:                              ;   in Loop: Header=BB54_17 Depth=1
	s_or_b64 exec, exec, s[6:7]
	s_cmp_lt_i32 s37, 2
	v_mov_b32_e32 v4, 0
	s_waitcnt vmcnt(0)
	ds_write_b64 v21, v[6:7]
	s_waitcnt lgkmcnt(0)
	s_cbranch_scc1 .LBB54_56
; %bb.37:                               ;   in Loop: Header=BB54_17 Depth=1
	v_mov_b32_e32 v3, v2
	s_add_i32 s34, s37, -2
	s_mov_b32 s35, 0
	v_mov_b64_e32 v[8:9], v[2:3]
	s_andn2_b64 vcc, exec, s[28:29]
	s_cbranch_vccz .LBB54_40
	s_branch .LBB54_39
.LBB54_38:                              ;   in Loop: Header=BB54_17 Depth=1
	s_mov_b32 s35, s6
	v_mov_b64_e32 v[8:9], v[10:11]
	s_andn2_b64 vcc, exec, s[28:29]
	s_cbranch_vccz .LBB54_40
.LBB54_39:                              ;   in Loop: Header=BB54_17 Depth=1
	v_mov_b64_e32 v[10:11], v[8:9]
	s_branch .LBB54_54
.LBB54_40:                              ;   in Loop: Header=BB54_17 Depth=1
	s_lshl_b32 s6, s35, 2
	v_mov_b32_e32 v3, s6
	ds_read2st64_b32 v[6:7], v3 offset0:9 offset1:11
	s_mov_b32 s36, 0
	s_waitcnt lgkmcnt(0)
	v_add_u32_e32 v3, v6, v22
	v_add_u32_e32 v29, v7, v23
	;; [unrolled: 1-line block ×4, first 2 shown]
	s_mov_b64 s[6:7], -1
	s_and_b64 vcc, exec, s[24:25]
                                        ; implicit-def: $vgpr10_vgpr11
	s_cbranch_vccz .LBB54_47
	s_branch .LBB54_42
.LBB54_41:                              ;   in Loop: Header=BB54_47 Depth=2
	v_mov_b64_e32 v[8:9], v[10:11]
	s_mov_b64 s[6:7], -1
	s_and_b64 vcc, exec, s[24:25]
                                        ; implicit-def: $vgpr10_vgpr11
	s_cbranch_vccz .LBB54_47
.LBB54_42:                              ;   in Loop: Header=BB54_17 Depth=1
	v_mov_b32_e32 v12, 0
	v_mov_b32_e32 v10, 0
	;; [unrolled: 1-line block ×3, first 2 shown]
	s_and_saveexec_b64 s[6:7], s[0:1]
	s_cbranch_execz .LBB54_44
; %bb.43:                               ;   in Loop: Header=BB54_17 Depth=1
	v_ashrrev_i32_e32 v7, 31, v6
	v_lshl_add_u64 v[10:11], v[6:7], 3, s[22:23]
	global_load_dwordx2 v[10:11], v[10:11], off
.LBB54_44:                              ;   in Loop: Header=BB54_17 Depth=1
	s_or_b64 exec, exec, s[6:7]
	v_mov_b32_e32 v14, 0
	s_and_saveexec_b64 s[6:7], s[2:3]
	s_cbranch_execz .LBB54_46
; %bb.45:                               ;   in Loop: Header=BB54_17 Depth=1
	v_ashrrev_i32_e32 v5, 31, v4
	v_lshl_add_u64 v[12:13], v[4:5], 3, s[22:23]
	global_load_dwordx2 v[12:13], v[12:13], off
	s_waitcnt vmcnt(0)
	v_mov_b32_e32 v14, v13
.LBB54_46:                              ;   in Loop: Header=BB54_17 Depth=1
	s_or_b64 exec, exec, s[6:7]
	s_waitcnt vmcnt(0)
	v_pk_fma_f32 v[12:13], v[10:11], v[12:13], v[8:9] op_sel:[1,0,0] op_sel_hi:[0,0,1]
	v_pk_fma_f32 v[10:11], v[10:11], v[14:15], v[12:13] op_sel_hi:[1,0,1] neg_lo:[0,1,0]
	s_mov_b64 s[6:7], 0
.LBB54_47:                              ;   Parent Loop BB54_17 Depth=1
                                        ; =>  This Inner Loop Header: Depth=2
	s_and_b64 vcc, exec, s[6:7]
	s_cbranch_vccz .LBB54_53
; %bb.48:                               ;   in Loop: Header=BB54_47 Depth=2
	v_mov_b32_e32 v12, 0
	v_mov_b32_e32 v10, 0
	;; [unrolled: 1-line block ×3, first 2 shown]
	s_and_saveexec_b64 s[6:7], s[0:1]
	s_cbranch_execz .LBB54_50
; %bb.49:                               ;   in Loop: Header=BB54_47 Depth=2
	v_add_u32_e32 v10, s36, v3
	v_ashrrev_i32_e32 v11, 31, v10
	v_lshl_add_u64 v[10:11], v[10:11], 3, s[22:23]
	global_load_dwordx2 v[10:11], v[10:11], off
.LBB54_50:                              ;   in Loop: Header=BB54_47 Depth=2
	s_or_b64 exec, exec, s[6:7]
	v_mov_b32_e32 v14, 0
	s_and_saveexec_b64 s[6:7], s[2:3]
	s_cbranch_execz .LBB54_52
; %bb.51:                               ;   in Loop: Header=BB54_47 Depth=2
	v_add_u32_e32 v12, s36, v29
	v_ashrrev_i32_e32 v13, 31, v12
	v_lshl_add_u64 v[12:13], v[12:13], 3, s[22:23]
	global_load_dwordx2 v[12:13], v[12:13], off
	s_waitcnt vmcnt(0)
	v_mov_b32_e32 v14, v13
.LBB54_52:                              ;   in Loop: Header=BB54_47 Depth=2
	s_or_b64 exec, exec, s[6:7]
	s_waitcnt vmcnt(0)
	v_pk_fma_f32 v[8:9], v[10:11], v[12:13], v[8:9] op_sel:[1,0,0] op_sel_hi:[0,0,1]
	v_pk_fma_f32 v[10:11], v[10:11], v[14:15], v[8:9] op_sel_hi:[1,0,1] neg_lo:[0,1,0]
.LBB54_53:                              ;   in Loop: Header=BB54_47 Depth=2
	s_add_i32 s36, s36, 1
	v_add_u32_e32 v4, s41, v4
	s_cmp_eq_u32 s41, s36
	v_add_u32_e32 v6, s41, v6
	s_cbranch_scc0 .LBB54_41
.LBB54_54:                              ;   in Loop: Header=BB54_17 Depth=1
	s_add_i32 s6, s35, 1
	s_cmp_eq_u32 s35, s34
	s_cbranch_scc0 .LBB54_38
; %bb.55:                               ;   in Loop: Header=BB54_17 Depth=1
	v_mov_b32_e32 v5, v10
	v_mov_b32_e32 v4, v11
.LBB54_56:                              ;   in Loop: Header=BB54_17 Depth=1
	s_andn2_b64 vcc, exec, s[28:29]
	ds_write_b64 v25, v[4:5]
	s_waitcnt lgkmcnt(0)
	s_cbranch_vccnz .LBB54_65
; %bb.57:                               ;   in Loop: Header=BB54_17 Depth=1
	s_mov_b32 s36, 0
	v_mov_b32_e32 v9, s31
	s_mov_b32 s31, 0
	s_branch .LBB54_59
.LBB54_58:                              ;   in Loop: Header=BB54_59 Depth=2
	v_mul_f32_e32 v7, v8, v8
	v_fmac_f32_e32 v7, v6, v6
	v_div_scale_f32 v12, s[6:7], v7, v7, 1.0
	v_rcp_f32_e32 v13, v12
	v_div_scale_f32 v14, vcc, 1.0, v7, 1.0
	s_waitcnt lgkmcnt(0)
	v_pk_add_f32 v[4:5], v[4:5], v[10:11] neg_lo:[0,1] neg_hi:[0,1]
	v_fma_f32 v29, -v12, v13, 1.0
	v_fmac_f32_e32 v13, v29, v13
	v_mul_f32_e32 v29, v14, v13
	v_fma_f32 v31, -v12, v29, v14
	v_fmac_f32_e32 v29, v31, v13
	v_fma_f32 v12, -v12, v29, v14
	v_div_fmas_f32 v12, v12, v13, v29
	v_xor_b32_e32 v11, 0x80000000, v4
	v_mov_b32_e32 v10, v5
	v_div_fixup_f32 v12, v12, v7, 1.0
	v_lshl_add_u32 v7, s31, 3, v26
	v_pk_mul_f32 v[10:11], v[8:9], v[10:11] op_sel_hi:[0,1]
	v_pk_fma_f32 v[4:5], v[4:5], v[6:7], v[10:11] op_sel_hi:[1,0,1]
	s_add_i32 s31, s31, 1
	v_pk_mul_f32 v[4:5], v[12:13], v[4:5] op_sel_hi:[0,1]
	ds_write_b64 v3, v[4:5]
	s_waitcnt lgkmcnt(0)
	ds_read_b64 v[6:7], v7
	ds_read_b64 v[10:11], v1
	s_addk_i32 s36, 0x48
	s_cmp_eq_u32 s31, s41
	s_waitcnt lgkmcnt(0)
	v_pk_fma_f32 v[10:11], v[4:5], v[6:7], v[10:11] op_sel_hi:[1,0,1]
	s_nop 0
	v_pk_fma_f32 v[4:5], v[4:5], v[6:7], v[10:11] op_sel:[0,1,1] op_sel_hi:[1,1,0] neg_lo:[0,1,0]
	s_nop 0
	v_pk_mov_b32 v[4:5], v[4:5], v[4:5] op_sel:[1,0]
	ds_write_b64 v1, v[4:5]
	s_waitcnt lgkmcnt(0)
	s_cbranch_scc1 .LBB54_65
.LBB54_59:                              ;   Parent Loop BB54_17 Depth=1
                                        ; =>  This Loop Header: Depth=2
                                        ;       Child Loop BB54_64 Depth 3
	s_lshl_b32 s6, s31, 3
	s_mul_i32 s7, s31, 0x48
	s_add_i32 s7, s7, s6
	v_mov_b32_e32 v3, s7
	ds_read_b64 v[6:7], v3
	v_add_u32_e32 v3, s6, v19
	ds_read_b64 v[4:5], v3
	s_waitcnt lgkmcnt(1)
	v_cmp_neq_f32_e32 vcc, 0, v6
	v_cmp_neq_f32_e64 s[6:7], 0, v7
	s_or_b64 vcc, vcc, s[6:7]
	v_cndmask_b32_e32 v8, 0, v7, vcc
	s_nor_b64 s[34:35], vcc, s[4:5]
	v_cndmask_b32_e32 v6, 1.0, v6, vcc
	s_and_saveexec_b64 s[6:7], s[34:35]
	s_cbranch_execz .LBB54_63
; %bb.60:                               ;   in Loop: Header=BB54_59 Depth=2
	v_mbcnt_lo_u32_b32 v6, exec_lo, 0
	v_mbcnt_hi_u32_b32 v6, exec_hi, v6
	v_cmp_eq_u32_e32 vcc, 0, v6
	s_and_saveexec_b64 s[34:35], vcc
	s_cbranch_execz .LBB54_62
; %bb.61:                               ;   in Loop: Header=BB54_59 Depth=2
	global_atomic_smin v2, v9, s[14:15]
.LBB54_62:                              ;   in Loop: Header=BB54_59 Depth=2
	s_or_b64 exec, exec, s[34:35]
	v_mov_b32_e32 v6, 1.0
	v_mov_b32_e32 v8, 0
.LBB54_63:                              ;   in Loop: Header=BB54_59 Depth=2
	s_or_b64 exec, exec, s[6:7]
	v_lshl_add_u32 v7, s31, 3, v24
	ds_read_b64 v[10:11], v7
	s_cmp_eq_u32 s31, 0
	v_mov_b32_e32 v7, v19
	s_mov_b32 s6, s36
	s_mov_b32 s7, s31
	s_cbranch_scc1 .LBB54_58
.LBB54_64:                              ;   Parent Loop BB54_17 Depth=1
                                        ;     Parent Loop BB54_59 Depth=2
                                        ; =>    This Inner Loop Header: Depth=3
	v_mov_b32_e32 v14, s6
	ds_read_b64 v[12:13], v7
	ds_read_b64 v[32:33], v14
	s_add_i32 s7, s7, -1
	s_add_i32 s6, s6, 8
	v_add_u32_e32 v7, 8, v7
	s_cmp_eq_u32 s7, 0
	s_waitcnt lgkmcnt(0)
	v_pk_fma_f32 v[10:11], v[32:33], v[12:13], v[10:11] op_sel_hi:[1,0,1]
	s_nop 0
	v_pk_fma_f32 v[10:11], v[32:33], v[12:13], v[10:11] op_sel:[1,1,0] op_sel_hi:[0,1,1] neg_hi:[0,1,0]
	s_cbranch_scc0 .LBB54_64
	s_branch .LBB54_58
.LBB54_65:                              ;   in Loop: Header=BB54_17 Depth=1
	s_and_saveexec_b64 s[6:7], s[26:27]
	s_cbranch_execz .LBB54_16
; %bb.66:                               ;   in Loop: Header=BB54_17 Depth=1
	ds_read_b64 v[4:5], v20
	v_mad_u64_u32 v[6:7], s[34:35], v28, s41, v[0:1]
	v_ashrrev_i32_e32 v7, 31, v6
	v_lshl_add_u64 v[6:7], v[6:7], 3, s[22:23]
	s_waitcnt lgkmcnt(0)
	global_store_dwordx2 v[6:7], v[4:5], off
	s_branch .LBB54_16
.LBB54_67:                              ;   in Loop: Header=BB54_17 Depth=1
                                        ; implicit-def: $sgpr30
	s_cbranch_execz .LBB54_17
.LBB54_68:
	s_cmp_eq_u32 s42, 0
	s_cselect_b64 vcc, -1, 0
	v_max_i32_e32 v0, v15, v16
	v_cndmask_b32_e32 v2, v15, v16, vcc
	s_mul_i32 s33, s33, s41
	v_cmp_gt_i32_e64 s[0:1], s41, v0
	v_cndmask_b32_e32 v0, v16, v15, vcc
	v_add_u32_e32 v5, s33, v2
	v_mov_b32_e32 v31, 0
	s_and_saveexec_b64 s[2:3], s[0:1]
	s_cbranch_execz .LBB54_70
; %bb.69:
	v_mad_u64_u32 v[2:3], s[4:5], v5, s41, v[0:1]
	v_ashrrev_i32_e32 v3, 31, v2
	v_lshl_add_u64 v[2:3], v[2:3], 3, s[22:23]
	global_load_dwordx2 v[30:31], v[2:3], off
.LBB54_70:
	s_or_b64 exec, exec, s[2:3]
	s_movk_i32 s4, 0x48
	v_mov_b32_e32 v2, 0x480
	v_mad_u32_u24 v7, v16, s4, v2
	s_movk_i32 s18, 0x480
	v_lshl_add_u32 v6, v15, 3, v7
	s_cmp_lt_i32 s41, 1
	s_waitcnt vmcnt(0)
	ds_write_b64 v6, v[30:31]
	s_waitcnt lgkmcnt(0)
	s_cbranch_scc1 .LBB54_87
; %bb.71:
	v_or_b32_e32 v3, v15, v16
	s_add_i32 s5, s20, s21
	s_mov_b32 s19, 0
	v_cmp_ne_u32_e64 s[2:3], 0, v3
	v_add_u32_e32 v8, v7, v17
	v_add_u32_e32 v9, v18, v17
	v_mad_u32_u24 v10, v15, s4, v2
	s_mov_b32 s24, 0xf800000
	v_mov_b32_e32 v11, 0x260
	v_mov_b32_e32 v3, 0
	;; [unrolled: 1-line block ×3, first 2 shown]
	s_branch .LBB54_73
.LBB54_72:                              ;   in Loop: Header=BB54_73 Depth=1
	s_or_b64 exec, exec, s[4:5]
	s_add_i32 s19, s19, 1
	s_addk_i32 s18, 0x50
	v_add_u32_e32 v7, 8, v7
	s_cmp_eq_u32 s41, s19
	v_add_u32_e32 v10, 8, v10
	s_waitcnt lgkmcnt(0)
	s_cbranch_scc1 .LBB54_87
.LBB54_73:                              ; =>This Inner Loop Header: Depth=1
	v_cmp_eq_u32_e32 vcc, s19, v16
	s_and_saveexec_b64 s[6:7], vcc
	s_cbranch_execz .LBB54_81
; %bb.74:                               ;   in Loop: Header=BB54_73 Depth=1
	ds_read_b64 v[12:13], v8
	ds_read_b64 v[18:19], v9
	s_waitcnt lgkmcnt(0)
	v_sub_f32_e32 v2, v12, v18
	v_sub_f32_e32 v13, v13, v19
	v_cmp_gt_f32_e32 vcc, 0, v2
                                        ; implicit-def: $vgpr12
	s_nop 1
	v_cndmask_b32_e64 v2, v2, -v2, vcc
	v_cmp_gt_f32_e32 vcc, 0, v13
	s_nop 1
	v_cndmask_b32_e64 v4, v13, -v13, vcc
	v_cmp_ngt_f32_e32 vcc, v2, v4
	s_and_saveexec_b64 s[4:5], vcc
	s_xor_b64 s[8:9], exec, s[4:5]
	s_cbranch_execz .LBB54_78
; %bb.75:                               ;   in Loop: Header=BB54_73 Depth=1
	v_mov_b32_e32 v12, 0
	v_cmp_neq_f32_e32 vcc, 0, v13
	s_and_saveexec_b64 s[16:17], vcc
	s_cbranch_execz .LBB54_77
; %bb.76:                               ;   in Loop: Header=BB54_73 Depth=1
	v_div_scale_f32 v12, s[4:5], v4, v4, v2
	v_rcp_f32_e32 v13, v12
	v_div_scale_f32 v17, vcc, v2, v4, v2
	v_fma_f32 v18, -v12, v13, 1.0
	v_fmac_f32_e32 v13, v18, v13
	v_mul_f32_e32 v18, v17, v13
	v_fma_f32 v19, -v12, v18, v17
	v_fmac_f32_e32 v18, v19, v13
	v_fma_f32 v12, -v12, v18, v17
	v_div_fmas_f32 v12, v12, v13, v18
	v_div_fixup_f32 v2, v12, v4, v2
	v_fma_f32 v2, v2, v2, 1.0
	v_mul_f32_e32 v12, 0x4f800000, v2
	v_cmp_gt_f32_e32 vcc, s24, v2
	s_nop 1
	v_cndmask_b32_e32 v2, v2, v12, vcc
	v_sqrt_f32_e32 v12, v2
	s_nop 0
	v_add_u32_e32 v13, -1, v12
	v_fma_f32 v17, -v13, v12, v2
	v_cmp_ge_f32_e64 s[4:5], 0, v17
	v_add_u32_e32 v17, 1, v12
	s_nop 0
	v_cndmask_b32_e64 v13, v12, v13, s[4:5]
	v_fma_f32 v12, -v17, v12, v2
	v_cmp_lt_f32_e64 s[4:5], 0, v12
	s_nop 1
	v_cndmask_b32_e64 v12, v13, v17, s[4:5]
	v_mul_f32_e32 v13, 0x37800000, v12
	v_cndmask_b32_e32 v12, v12, v13, vcc
	v_cmp_class_f32_e32 vcc, v2, v11
	s_nop 1
	v_cndmask_b32_e32 v2, v12, v2, vcc
	v_mul_f32_e32 v12, v4, v2
.LBB54_77:                              ;   in Loop: Header=BB54_73 Depth=1
	s_or_b64 exec, exec, s[16:17]
                                        ; implicit-def: $vgpr2
                                        ; implicit-def: $vgpr4
.LBB54_78:                              ;   in Loop: Header=BB54_73 Depth=1
	s_andn2_saveexec_b64 s[8:9], s[8:9]
	s_cbranch_execz .LBB54_80
; %bb.79:                               ;   in Loop: Header=BB54_73 Depth=1
	v_div_scale_f32 v12, s[4:5], v2, v2, v4
	v_rcp_f32_e32 v13, v12
	v_div_scale_f32 v17, vcc, v4, v2, v4
	v_fma_f32 v18, -v12, v13, 1.0
	v_fmac_f32_e32 v13, v18, v13
	v_mul_f32_e32 v18, v17, v13
	v_fma_f32 v19, -v12, v18, v17
	v_fmac_f32_e32 v18, v19, v13
	v_fma_f32 v12, -v12, v18, v17
	v_div_fmas_f32 v12, v12, v13, v18
	v_div_fixup_f32 v4, v12, v2, v4
	v_fma_f32 v4, v4, v4, 1.0
	v_mul_f32_e32 v12, 0x4f800000, v4
	v_cmp_gt_f32_e32 vcc, s24, v4
	s_nop 1
	v_cndmask_b32_e32 v4, v4, v12, vcc
	v_sqrt_f32_e32 v12, v4
	s_nop 0
	v_add_u32_e32 v13, -1, v12
	v_fma_f32 v17, -v13, v12, v4
	v_cmp_ge_f32_e64 s[4:5], 0, v17
	v_add_u32_e32 v17, 1, v12
	s_nop 0
	v_cndmask_b32_e64 v13, v12, v13, s[4:5]
	v_fma_f32 v12, -v17, v12, v4
	v_cmp_lt_f32_e64 s[4:5], 0, v12
	s_nop 1
	v_cndmask_b32_e64 v12, v13, v17, s[4:5]
	v_mul_f32_e32 v13, 0x37800000, v12
	v_cndmask_b32_e32 v12, v12, v13, vcc
	v_cmp_class_f32_e32 vcc, v4, v11
	s_nop 1
	v_cndmask_b32_e32 v4, v12, v4, vcc
	v_mul_f32_e32 v12, v2, v4
.LBB54_80:                              ;   in Loop: Header=BB54_73 Depth=1
	s_or_b64 exec, exec, s[8:9]
	v_mul_f32_e32 v2, 0x4f800000, v12
	v_cmp_gt_f32_e32 vcc, s24, v12
	s_nop 1
	v_cndmask_b32_e32 v2, v12, v2, vcc
	v_sqrt_f32_e32 v4, v2
	s_nop 0
	v_add_u32_e32 v12, -1, v4
	v_fma_f32 v17, -v12, v4, v2
	v_add_u32_e32 v13, 1, v4
	v_cmp_ge_f32_e64 s[4:5], 0, v17
	s_nop 1
	v_cndmask_b32_e64 v12, v4, v12, s[4:5]
	v_fma_f32 v4, -v13, v4, v2
	v_cmp_lt_f32_e64 s[4:5], 0, v4
	s_nop 1
	v_cndmask_b32_e64 v4, v12, v13, s[4:5]
	v_mul_f32_e32 v12, 0x37800000, v4
	v_cndmask_b32_e32 v4, v4, v12, vcc
	v_cmp_class_f32_e32 vcc, v2, v11
	s_nop 1
	v_cndmask_b32_e32 v2, v4, v2, vcc
	ds_write_b64 v8, v[2:3]
.LBB54_81:                              ;   in Loop: Header=BB54_73 Depth=1
	s_or_b64 exec, exec, s[6:7]
	v_mov_b32_e32 v2, s18
	s_waitcnt lgkmcnt(0)
	ds_read_b64 v[12:13], v2
	s_waitcnt lgkmcnt(0)
	v_cmp_neq_f32_e32 vcc, 0, v12
	v_cmp_neq_f32_e64 s[4:5], 0, v13
	s_or_b64 vcc, vcc, s[4:5]
	v_cndmask_b32_e32 v4, 0, v13, vcc
	s_nor_b64 s[6:7], vcc, s[2:3]
	v_cndmask_b32_e32 v2, 1.0, v12, vcc
	s_and_saveexec_b64 s[4:5], s[6:7]
	s_cbranch_execz .LBB54_85
; %bb.82:                               ;   in Loop: Header=BB54_73 Depth=1
	v_mbcnt_lo_u32_b32 v2, exec_lo, 0
	v_mbcnt_hi_u32_b32 v2, exec_hi, v2
	v_cmp_eq_u32_e32 vcc, 0, v2
	s_and_saveexec_b64 s[6:7], vcc
	s_cbranch_execz .LBB54_84
; %bb.83:                               ;   in Loop: Header=BB54_73 Depth=1
	global_atomic_smin v3, v14, s[14:15]
.LBB54_84:                              ;   in Loop: Header=BB54_73 Depth=1
	s_or_b64 exec, exec, s[6:7]
	v_mov_b32_e32 v2, 1.0
	v_mov_b32_e32 v4, 0
.LBB54_85:                              ;   in Loop: Header=BB54_73 Depth=1
	s_or_b64 exec, exec, s[4:5]
	v_cmp_lt_u32_e32 vcc, s19, v16
	s_and_saveexec_b64 s[4:5], vcc
	s_cbranch_execz .LBB54_72
; %bb.86:                               ;   in Loop: Header=BB54_73 Depth=1
	v_mul_f32_e32 v12, v4, v4
	v_fmac_f32_e32 v12, v2, v2
	v_div_scale_f32 v13, s[6:7], v12, v12, 1.0
	v_rcp_f32_e32 v17, v13
	ds_read2_b64 v[18:21], v7 offset1:72
	v_fma_f32 v22, -v13, v17, 1.0
	v_fmac_f32_e32 v17, v22, v17
	v_div_scale_f32 v22, vcc, 1.0, v12, 1.0
	v_mul_f32_e32 v23, v22, v17
	v_fma_f32 v24, -v13, v23, v22
	v_fmac_f32_e32 v23, v24, v17
	s_waitcnt lgkmcnt(0)
	v_pk_add_f32 v[18:19], v[18:19], v[20:21] op_sel:[1,1] op_sel_hi:[0,0] neg_lo:[0,1] neg_hi:[0,1]
	v_fma_f32 v13, -v13, v23, v22
	v_xor_b32_e32 v20, 0x80000000, v19
	v_mov_b32_e32 v21, v18
	v_div_fmas_f32 v13, v13, v17, v23
	v_pk_mul_f32 v[20:21], v[4:5], v[20:21] op_sel_hi:[0,1]
	v_div_fixup_f32 v12, v13, v12, 1.0
	v_pk_fma_f32 v[18:19], v[18:19], v[2:3], v[20:21] op_sel_hi:[1,0,1]
	s_nop 0
	v_pk_mul_f32 v[12:13], v[12:13], v[18:19] op_sel_hi:[0,1]
	v_pk_mov_b32 v[18:19], v[12:13], v[12:13] op_sel:[1,0]
	ds_write_b64 v7, v[18:19]
	s_waitcnt lgkmcnt(0)
	ds_read_b64 v[18:19], v10
	ds_read_b64 v[20:21], v1
	s_waitcnt lgkmcnt(0)
	v_pk_fma_f32 v[20:21], v[12:13], v[18:19], v[20:21] op_sel:[1,0,0] op_sel_hi:[0,0,1]
	v_pk_fma_f32 v[12:13], v[12:13], v[18:19], v[20:21] op_sel:[0,1,0] neg_hi:[0,1,0]
	ds_write_b64 v1, v[12:13]
	s_branch .LBB54_72
.LBB54_87:
	s_and_saveexec_b64 s[2:3], s[0:1]
	s_cbranch_execz .LBB54_89
; %bb.88:
	ds_read_b64 v[2:3], v6
	v_mad_u64_u32 v[0:1], s[0:1], v5, s41, v[0:1]
	v_ashrrev_i32_e32 v1, 31, v0
	v_lshl_add_u64 v[0:1], v[0:1], 3, s[22:23]
	s_waitcnt lgkmcnt(0)
	global_store_dwordx2 v[0:1], v[2:3], off
.LBB54_89:
	s_or_b64 exec, exec, s[2:3]
	v_or_b32_e32 v0, v15, v16
	v_cmp_eq_u32_e32 vcc, 0, v0
	s_and_saveexec_b64 s[0:1], vcc
	s_cbranch_execz .LBB54_91
; %bb.90:
	s_add_u32 s2, s10, s12
	s_addc_u32 s3, s11, s13
	v_mov_b32_e32 v0, 0
	v_mov_b32_e32 v1, 1
	buffer_wbl2 sc1
	s_waitcnt vmcnt(0)
	global_store_dword v0, v1, s[2:3] sc1
.LBB54_91:
	s_or_b64 exec, exec, s[0:1]
.LBB54_92:
	s_endpgm
.LBB54_93:
	s_cbranch_execz .LBB54_92
; %bb.94:
	v_or_b32_e32 v0, v15, v16
	v_cmp_eq_u32_e32 vcc, 0, v0
	s_and_saveexec_b64 s[0:1], vcc
	s_cbranch_execz .LBB54_92
; %bb.95:
	v_mbcnt_lo_u32_b32 v0, exec_lo, 0
	v_mbcnt_hi_u32_b32 v0, exec_hi, v0
	v_cmp_eq_u32_e32 vcc, 0, v0
	s_and_saveexec_b64 s[0:1], vcc
	s_cbranch_execz .LBB54_97
; %bb.96:
	s_add_i32 s2, s20, s21
	v_mov_b32_e32 v0, 0
	v_mov_b32_e32 v1, s2
	global_atomic_smin v0, v1, s[14:15]
.LBB54_97:
	s_or_b64 exec, exec, s[0:1]
	s_add_u32 s0, s10, s12
	s_addc_u32 s1, s11, s13
	v_mov_b32_e32 v0, 0
	v_mov_b32_e32 v1, 1
	buffer_wbl2 sc1
	s_waitcnt vmcnt(0)
	global_store_dword v0, v1, s[0:1] sc1
	s_endpgm
	.section	.rodata,"a",@progbits
	.p2align	6, 0x0
	.amdhsa_kernel _ZN9rocsparseL17bsric0_2_8_kernelILi64ELi128ELi8E21rocsparse_complex_numIfEEEv20rocsparse_direction_iiPKiS5_PT2_S5_PiS5_S8_21rocsparse_index_base_
		.amdhsa_group_segment_fixed_size 3840
		.amdhsa_private_segment_fixed_size 0
		.amdhsa_kernarg_size 76
		.amdhsa_user_sgpr_count 2
		.amdhsa_user_sgpr_dispatch_ptr 0
		.amdhsa_user_sgpr_queue_ptr 0
		.amdhsa_user_sgpr_kernarg_segment_ptr 1
		.amdhsa_user_sgpr_dispatch_id 0
		.amdhsa_user_sgpr_kernarg_preload_length 0
		.amdhsa_user_sgpr_kernarg_preload_offset 0
		.amdhsa_user_sgpr_private_segment_size 0
		.amdhsa_uses_dynamic_stack 0
		.amdhsa_enable_private_segment 0
		.amdhsa_system_sgpr_workgroup_id_x 1
		.amdhsa_system_sgpr_workgroup_id_y 0
		.amdhsa_system_sgpr_workgroup_id_z 0
		.amdhsa_system_sgpr_workgroup_info 0
		.amdhsa_system_vgpr_workitem_id 1
		.amdhsa_next_free_vgpr 66
		.amdhsa_next_free_sgpr 50
		.amdhsa_accum_offset 68
		.amdhsa_reserve_vcc 1
		.amdhsa_float_round_mode_32 0
		.amdhsa_float_round_mode_16_64 0
		.amdhsa_float_denorm_mode_32 3
		.amdhsa_float_denorm_mode_16_64 3
		.amdhsa_dx10_clamp 1
		.amdhsa_ieee_mode 1
		.amdhsa_fp16_overflow 0
		.amdhsa_tg_split 0
		.amdhsa_exception_fp_ieee_invalid_op 0
		.amdhsa_exception_fp_denorm_src 0
		.amdhsa_exception_fp_ieee_div_zero 0
		.amdhsa_exception_fp_ieee_overflow 0
		.amdhsa_exception_fp_ieee_underflow 0
		.amdhsa_exception_fp_ieee_inexact 0
		.amdhsa_exception_int_div_zero 0
	.end_amdhsa_kernel
	.section	.text._ZN9rocsparseL17bsric0_2_8_kernelILi64ELi128ELi8E21rocsparse_complex_numIfEEEv20rocsparse_direction_iiPKiS5_PT2_S5_PiS5_S8_21rocsparse_index_base_,"axG",@progbits,_ZN9rocsparseL17bsric0_2_8_kernelILi64ELi128ELi8E21rocsparse_complex_numIfEEEv20rocsparse_direction_iiPKiS5_PT2_S5_PiS5_S8_21rocsparse_index_base_,comdat
.Lfunc_end54:
	.size	_ZN9rocsparseL17bsric0_2_8_kernelILi64ELi128ELi8E21rocsparse_complex_numIfEEEv20rocsparse_direction_iiPKiS5_PT2_S5_PiS5_S8_21rocsparse_index_base_, .Lfunc_end54-_ZN9rocsparseL17bsric0_2_8_kernelILi64ELi128ELi8E21rocsparse_complex_numIfEEEv20rocsparse_direction_iiPKiS5_PT2_S5_PiS5_S8_21rocsparse_index_base_
                                        ; -- End function
	.set _ZN9rocsparseL17bsric0_2_8_kernelILi64ELi128ELi8E21rocsparse_complex_numIfEEEv20rocsparse_direction_iiPKiS5_PT2_S5_PiS5_S8_21rocsparse_index_base_.num_vgpr, 66
	.set _ZN9rocsparseL17bsric0_2_8_kernelILi64ELi128ELi8E21rocsparse_complex_numIfEEEv20rocsparse_direction_iiPKiS5_PT2_S5_PiS5_S8_21rocsparse_index_base_.num_agpr, 0
	.set _ZN9rocsparseL17bsric0_2_8_kernelILi64ELi128ELi8E21rocsparse_complex_numIfEEEv20rocsparse_direction_iiPKiS5_PT2_S5_PiS5_S8_21rocsparse_index_base_.numbered_sgpr, 50
	.set _ZN9rocsparseL17bsric0_2_8_kernelILi64ELi128ELi8E21rocsparse_complex_numIfEEEv20rocsparse_direction_iiPKiS5_PT2_S5_PiS5_S8_21rocsparse_index_base_.num_named_barrier, 0
	.set _ZN9rocsparseL17bsric0_2_8_kernelILi64ELi128ELi8E21rocsparse_complex_numIfEEEv20rocsparse_direction_iiPKiS5_PT2_S5_PiS5_S8_21rocsparse_index_base_.private_seg_size, 0
	.set _ZN9rocsparseL17bsric0_2_8_kernelILi64ELi128ELi8E21rocsparse_complex_numIfEEEv20rocsparse_direction_iiPKiS5_PT2_S5_PiS5_S8_21rocsparse_index_base_.uses_vcc, 1
	.set _ZN9rocsparseL17bsric0_2_8_kernelILi64ELi128ELi8E21rocsparse_complex_numIfEEEv20rocsparse_direction_iiPKiS5_PT2_S5_PiS5_S8_21rocsparse_index_base_.uses_flat_scratch, 0
	.set _ZN9rocsparseL17bsric0_2_8_kernelILi64ELi128ELi8E21rocsparse_complex_numIfEEEv20rocsparse_direction_iiPKiS5_PT2_S5_PiS5_S8_21rocsparse_index_base_.has_dyn_sized_stack, 0
	.set _ZN9rocsparseL17bsric0_2_8_kernelILi64ELi128ELi8E21rocsparse_complex_numIfEEEv20rocsparse_direction_iiPKiS5_PT2_S5_PiS5_S8_21rocsparse_index_base_.has_recursion, 0
	.set _ZN9rocsparseL17bsric0_2_8_kernelILi64ELi128ELi8E21rocsparse_complex_numIfEEEv20rocsparse_direction_iiPKiS5_PT2_S5_PiS5_S8_21rocsparse_index_base_.has_indirect_call, 0
	.section	.AMDGPU.csdata,"",@progbits
; Kernel info:
; codeLenInByte = 4640
; TotalNumSgprs: 56
; NumVgprs: 66
; NumAgprs: 0
; TotalNumVgprs: 66
; ScratchSize: 0
; MemoryBound: 0
; FloatMode: 240
; IeeeMode: 1
; LDSByteSize: 3840 bytes/workgroup (compile time only)
; SGPRBlocks: 6
; VGPRBlocks: 8
; NumSGPRsForWavesPerEU: 56
; NumVGPRsForWavesPerEU: 66
; AccumOffset: 68
; Occupancy: 7
; WaveLimiterHint : 1
; COMPUTE_PGM_RSRC2:SCRATCH_EN: 0
; COMPUTE_PGM_RSRC2:USER_SGPR: 2
; COMPUTE_PGM_RSRC2:TRAP_HANDLER: 0
; COMPUTE_PGM_RSRC2:TGID_X_EN: 1
; COMPUTE_PGM_RSRC2:TGID_Y_EN: 0
; COMPUTE_PGM_RSRC2:TGID_Z_EN: 0
; COMPUTE_PGM_RSRC2:TIDIG_COMP_CNT: 1
; COMPUTE_PGM_RSRC3_GFX90A:ACCUM_OFFSET: 16
; COMPUTE_PGM_RSRC3_GFX90A:TG_SPLIT: 0
	.section	.text._ZN9rocsparseL18bsric0_9_16_kernelILi64ELi128ELi16E21rocsparse_complex_numIfEEEv20rocsparse_direction_iiPKiS5_PT2_S5_PiS5_S8_21rocsparse_index_base_,"axG",@progbits,_ZN9rocsparseL18bsric0_9_16_kernelILi64ELi128ELi16E21rocsparse_complex_numIfEEEv20rocsparse_direction_iiPKiS5_PT2_S5_PiS5_S8_21rocsparse_index_base_,comdat
	.globl	_ZN9rocsparseL18bsric0_9_16_kernelILi64ELi128ELi16E21rocsparse_complex_numIfEEEv20rocsparse_direction_iiPKiS5_PT2_S5_PiS5_S8_21rocsparse_index_base_ ; -- Begin function _ZN9rocsparseL18bsric0_9_16_kernelILi64ELi128ELi16E21rocsparse_complex_numIfEEEv20rocsparse_direction_iiPKiS5_PT2_S5_PiS5_S8_21rocsparse_index_base_
	.p2align	8
	.type	_ZN9rocsparseL18bsric0_9_16_kernelILi64ELi128ELi16E21rocsparse_complex_numIfEEEv20rocsparse_direction_iiPKiS5_PT2_S5_PiS5_S8_21rocsparse_index_base_,@function
_ZN9rocsparseL18bsric0_9_16_kernelILi64ELi128ELi16E21rocsparse_complex_numIfEEEv20rocsparse_direction_iiPKiS5_PT2_S5_PiS5_S8_21rocsparse_index_base_: ; @_ZN9rocsparseL18bsric0_9_16_kernelILi64ELi128ELi16E21rocsparse_complex_numIfEEEv20rocsparse_direction_iiPKiS5_PT2_S5_PiS5_S8_21rocsparse_index_base_
; %bb.0:
	s_load_dwordx8 s[12:19], s[0:1], 0x28
	s_mov_b32 s3, 0
	s_lshl_b64 s[2:3], s[2:3], 2
	v_and_b32_e32 v1, 0x3ff, v0
	v_bfe_u32 v0, v0, 10, 10
	s_waitcnt lgkmcnt(0)
	s_add_u32 s2, s16, s2
	s_addc_u32 s3, s17, s3
	s_load_dword s24, s[2:3], 0x0
	s_waitcnt lgkmcnt(0)
	s_ashr_i32 s25, s24, 31
	s_lshl_b64 s[16:17], s[24:25], 2
	s_add_u32 s2, s12, s16
	s_addc_u32 s3, s13, s17
	s_load_dword s33, s[2:3], 0x0
	s_load_dword s25, s[0:1], 0x48
	s_waitcnt lgkmcnt(0)
	s_cmp_lg_u32 s33, -1
	s_cbranch_scc0 .LBB55_148
; %bb.1:
	s_load_dwordx4 s[20:23], s[0:1], 0x10
	s_load_dwordx2 s[26:27], s[0:1], 0x20
	v_lshlrev_b32_e32 v2, 2, v0
	s_waitcnt lgkmcnt(0)
	s_add_u32 s2, s20, s16
	s_addc_u32 s3, s21, s17
	s_load_dword s2, s[2:3], 0x0
	s_waitcnt lgkmcnt(0)
	s_sub_i32 s50, s2, s25
	v_add3_u32 v2, v2, v1, s50
	v_cmp_ge_i32_e32 vcc, s33, v2
	s_and_saveexec_b64 s[2:3], vcc
	s_cbranch_execz .LBB55_4
; %bb.2:
	v_lshlrev_b32_e32 v3, 4, v0
	v_lshlrev_b32_e32 v4, 2, v1
	s_movk_i32 s4, 0x2600
	v_add3_u32 v4, v3, v4, s4
	s_mov_b64 s[4:5], 0
.LBB55_3:                               ; =>This Inner Loop Header: Depth=1
	v_ashrrev_i32_e32 v3, 31, v2
	v_lshl_add_u64 v[6:7], v[2:3], 2, s[22:23]
	global_load_dword v3, v[6:7], off
	v_add_u32_e32 v2, 64, v2
	v_cmp_lt_i32_e32 vcc, s33, v2
	s_or_b64 s[4:5], vcc, s[4:5]
	s_waitcnt vmcnt(0)
	v_subrev_u32_e32 v3, s25, v3
	ds_write_b32 v4, v3
	v_add_u32_e32 v4, 0x100, v4
	s_andn2_b64 exec, exec, s[4:5]
	s_cbranch_execnz .LBB55_3
.LBB55_4:
	s_or_b64 exec, exec, s[2:3]
	v_cmp_gt_u32_e32 vcc, 16, v1
	v_lshlrev_b32_e32 v16, 3, v1
	s_and_saveexec_b64 s[2:3], vcc
	s_cbranch_execz .LBB55_7
; %bb.5:
	v_mul_u32_u24_e32 v3, 0x88, v0
	v_lshlrev_b32_e32 v4, 3, v1
	s_movk_i32 s4, 0x1980
	v_add3_u32 v3, v3, v4, s4
	v_mov_b32_e32 v4, 0
	v_add_u32_e32 v2, -4, v1
	s_mov_b64 s[4:5], 0
	v_mov_b32_e32 v5, v4
.LBB55_6:                               ; =>This Inner Loop Header: Depth=1
	v_add_u32_e32 v2, 4, v2
	v_cmp_lt_u32_e32 vcc, 11, v2
	ds_write_b64 v3, v[4:5]
	s_or_b64 s[4:5], vcc, s[4:5]
	v_add_u32_e32 v3, 32, v3
	s_andn2_b64 exec, exec, s[4:5]
	s_cbranch_execnz .LBB55_6
.LBB55_7:
	s_or_b64 exec, exec, s[2:3]
	s_load_dword s48, s[0:1], 0x8
	s_load_dword s49, s[0:1], 0x0
	s_cmp_ge_i32 s50, s33
	s_waitcnt lgkmcnt(0)
	v_cmp_gt_i32_e64 s[0:1], s48, v1
	v_xad_u32 v17, v1, -1, s48
	s_cbranch_scc1 .LBB55_96
; %bb.8:
	s_movk_i32 s51, 0x88
	v_mov_b32_e32 v3, 0x880
	v_mad_u32_u24 v19, v0, s51, v3
	v_or_b32_e32 v3, v1, v0
	v_cmp_ne_u32_e64 s[4:5], 0, v3
	v_lshrrev_b32_e32 v3, 2, v17
	v_mov_b32_e32 v2, 0x1100
	v_add_u32_e32 v3, 1, v3
	s_cmp_lg_u32 s49, 0
	v_mad_u32_u24 v18, v0, s51, v2
	v_and_b32_e32 v21, 0x7ffffffe, v3
	v_lshlrev_b32_e32 v23, 3, v1
	s_mul_i32 s10, s48, s50
	v_mad_u32_u24 v29, v1, s51, v2
	v_mov_b32_e32 v2, 0x1980
	s_cselect_b64 s[28:29], -1, 0
	s_cmp_gt_i32 s48, 0
	v_cmp_ne_u32_e64 s[8:9], v3, v21
	v_mad_u32_u24 v24, v0, s51, v23
	v_add_u32_e32 v3, s10, v0
	v_mad_u32_u24 v31, v0, s51, v2
	v_mov_b32_e32 v2, 0
	v_cmp_gt_i32_e64 s[2:3], s48, v0
	s_mul_i32 s52, s48, s48
	v_mul_lo_u32 v20, s48, v0
	s_cselect_b64 s[30:31], -1, 0
	v_cmp_lt_u32_e64 s[6:7], 3, v17
	v_lshl_add_u32 v22, v21, 2, v1
	v_add_u32_e32 v25, 0x880, v24
	v_mul_lo_u32 v27, s48, v3
	v_mul_lo_u32 v26, v1, s48
	s_lshl_b32 s53, s48, 2
	v_mul_u32_u24_e32 v28, 0x88, v1
	v_add_u32_e32 v30, 0x1980, v24
	v_add_u32_e32 v32, 0x1100, v24
	v_mov_b32_e32 v4, 0
	v_mov_b32_e32 v5, v2
	s_mov_b32 s34, s50
	s_branch .LBB55_10
.LBB55_9:                               ;   in Loop: Header=BB55_10 Depth=1
	s_or_b64 exec, exec, s[10:11]
	s_add_i32 s34, s34, 1
	s_cmp_ge_i32 s34, s33
	buffer_wbl2 sc1
	s_waitcnt vmcnt(0)
	buffer_inv sc1
	v_add_u32_e32 v27, s52, v27
	s_cselect_b64 s[10:11], -1, 0
	s_and_b64 vcc, exec, s[10:11]
	s_cbranch_vccnz .LBB55_96
.LBB55_10:                              ; =>This Loop Header: Depth=1
                                        ;     Child Loop BB55_14 Depth 2
                                        ;     Child Loop BB55_26 Depth 2
	;; [unrolled: 1-line block ×5, first 2 shown]
                                        ;       Child Loop BB55_56 Depth 3
                                        ;     Child Loop BB55_70 Depth 2
                                        ;       Child Loop BB55_75 Depth 3
                                        ;       Child Loop BB55_79 Depth 3
                                        ;       Child Loop BB55_85 Depth 3
                                        ;     Child Loop BB55_91 Depth 2
	s_ashr_i32 s35, s34, 31
	s_lshl_b64 s[10:11], s[34:35], 2
	s_add_u32 s10, s22, s10
	s_addc_u32 s11, s23, s11
	s_load_dword s54, s[10:11], 0x0
	s_waitcnt lgkmcnt(0)
	s_sub_i32 s36, s54, s25
	s_ashr_i32 s37, s36, 31
	s_lshl_b64 s[10:11], s[36:37], 2
	s_add_u32 s38, s12, s10
	s_addc_u32 s39, s13, s11
	s_load_dword s37, s[38:39], 0x0
	s_waitcnt lgkmcnt(0)
	s_cmp_eq_u32 s37, -1
	s_cbranch_scc1 .LBB55_95
; %bb.11:                               ;   in Loop: Header=BB55_10 Depth=1
	s_add_u32 s38, s20, s10
	s_addc_u32 s39, s21, s11
	s_load_dword s55, s[38:39], 0x0
	s_mul_i32 s35, s34, s48
	s_and_saveexec_b64 s[38:39], s[0:1]
	s_cbranch_execz .LBB55_24
; %bb.12:                               ;   in Loop: Header=BB55_10 Depth=1
	s_mov_b64 s[40:41], 0
	v_mov_b32_e32 v3, v25
	v_mov_b32_e32 v8, v1
	s_branch .LBB55_14
.LBB55_13:                              ;   in Loop: Header=BB55_14 Depth=2
	s_or_b64 exec, exec, s[44:45]
	v_add_u32_e32 v8, 4, v8
	v_cmp_le_i32_e32 vcc, s48, v8
	s_waitcnt vmcnt(0)
	ds_write_b64 v3, v[10:11] offset:2176
	ds_write_b64 v3, v[4:5]
	s_or_b64 s[40:41], vcc, s[40:41]
	v_add_u32_e32 v3, 32, v3
	s_andn2_b64 exec, exec, s[40:41]
	s_cbranch_execz .LBB55_24
.LBB55_14:                              ;   Parent Loop BB55_10 Depth=1
                                        ; =>  This Inner Loop Header: Depth=2
	s_and_b64 vcc, exec, s[28:29]
	s_cbranch_vccz .LBB55_21
; %bb.15:                               ;   in Loop: Header=BB55_14 Depth=2
	s_mov_b64 s[44:45], 0
	s_mov_b64 s[42:43], 0
                                        ; implicit-def: $vgpr6
	s_and_saveexec_b64 s[46:47], s[2:3]
	s_xor_b64 s[46:47], exec, s[46:47]
; %bb.16:                               ;   in Loop: Header=BB55_14 Depth=2
	v_add_u32_e32 v6, s35, v8
	s_mov_b64 s[42:43], exec
	v_mad_u64_u32 v[6:7], s[56:57], v6, s48, v[0:1]
; %bb.17:                               ;   in Loop: Header=BB55_14 Depth=2
	s_or_b64 exec, exec, s[46:47]
	s_and_b64 vcc, exec, s[44:45]
	s_cbranch_vccz .LBB55_22
.LBB55_18:                              ;   in Loop: Header=BB55_14 Depth=2
                                        ; implicit-def: $vgpr6
	s_and_saveexec_b64 s[44:45], s[2:3]
; %bb.19:                               ;   in Loop: Header=BB55_14 Depth=2
	v_add_u32_e32 v6, v27, v8
	s_or_b64 s[42:43], s[42:43], exec
; %bb.20:                               ;   in Loop: Header=BB55_14 Depth=2
	s_or_b64 exec, exec, s[44:45]
	v_mov_b32_e32 v10, 0
	v_mov_b32_e32 v11, 0
	s_and_saveexec_b64 s[44:45], s[42:43]
	s_cbranch_execz .LBB55_13
	s_branch .LBB55_23
.LBB55_21:                              ;   in Loop: Header=BB55_14 Depth=2
	s_mov_b64 s[42:43], 0
                                        ; implicit-def: $vgpr6
	s_cbranch_execnz .LBB55_18
.LBB55_22:                              ;   in Loop: Header=BB55_14 Depth=2
	v_mov_b32_e32 v10, 0
	v_mov_b32_e32 v11, 0
	s_and_saveexec_b64 s[44:45], s[42:43]
	s_cbranch_execz .LBB55_13
.LBB55_23:                              ;   in Loop: Header=BB55_14 Depth=2
	v_ashrrev_i32_e32 v7, 31, v6
	v_lshl_add_u64 v[6:7], v[6:7], 3, s[26:27]
	global_load_dwordx2 v[10:11], v[6:7], off
	s_branch .LBB55_13
.LBB55_24:                              ;   in Loop: Header=BB55_10 Depth=1
	s_or_b64 exec, exec, s[38:39]
	ds_read_b32 v3, v2 offset:9728
	s_waitcnt lgkmcnt(0)
	s_sub_i32 s38, s55, s25
	s_cmp_le_i32 s38, s37
	s_cselect_b64 s[40:41], -1, 0
	s_mov_b32 s44, 0
	v_cmp_ge_i32_e32 vcc, s36, v3
	s_and_b64 s[40:41], s[40:41], vcc
	s_andn2_b64 vcc, exec, s[40:41]
	s_cbranch_vccnz .LBB55_36
; %bb.25:                               ;   in Loop: Header=BB55_10 Depth=1
	s_mov_b32 s42, 0
	s_mov_b32 s43, 0
.LBB55_26:                              ;   Parent Loop BB55_10 Depth=1
                                        ; =>  This Inner Loop Header: Depth=2
	s_ashr_i32 s39, s38, 31
	s_lshl_b64 s[40:41], s[38:39], 2
	s_add_u32 s40, s22, s40
	s_addc_u32 s41, s23, s41
	s_load_dword s39, s[40:41], 0x0
	s_lshl_b32 s40, s43, 2
	v_mov_b32_e32 v3, s40
	ds_read_b32 v3, v3 offset:9728
	s_mov_b64 s[40:41], -1
	s_waitcnt lgkmcnt(0)
	s_sub_i32 s47, s39, s25
                                        ; implicit-def: $sgpr44
                                        ; implicit-def: $sgpr46
                                        ; implicit-def: $sgpr45
	v_cmp_ge_i32_e32 vcc, s47, v3
	v_readfirstlane_b32 s39, v3
	s_cbranch_vccz .LBB55_32
; %bb.27:                               ;   in Loop: Header=BB55_26 Depth=2
	s_cmp_le_i32 s47, s39
                                        ; implicit-def: $sgpr44
                                        ; implicit-def: $sgpr46
                                        ; implicit-def: $sgpr45
	s_cbranch_scc0 .LBB55_29
; %bb.28:                               ;   in Loop: Header=BB55_26 Depth=2
	s_add_i32 s40, s43, s50
	s_mul_i32 s40, s40, s52
	s_lshl_b32 s41, s42, 2
	v_mov_b32_e32 v6, s40
	s_mul_i32 s40, s38, s52
	v_mov_b32_e32 v3, s41
	v_mov_b32_e32 v7, s40
	ds_write2st64_b32 v3, v7, v6 offset0:34 offset1:36
	s_add_i32 s45, s43, 1
	s_add_i32 s46, s38, 1
	;; [unrolled: 1-line block ×3, first 2 shown]
	s_mov_b64 s[40:41], 0
.LBB55_29:                              ;   in Loop: Header=BB55_26 Depth=2
	s_andn2_b64 vcc, exec, s[40:41]
	s_cbranch_vccnz .LBB55_31
; %bb.30:                               ;   in Loop: Header=BB55_26 Depth=2
	s_add_i32 s45, s43, 1
	s_mov_b32 s44, s42
	s_mov_b32 s46, s38
.LBB55_31:                              ;   in Loop: Header=BB55_26 Depth=2
	s_mov_b64 s[40:41], 0
.LBB55_32:                              ;   in Loop: Header=BB55_26 Depth=2
	s_andn2_b64 vcc, exec, s[40:41]
	s_cbranch_vccnz .LBB55_34
; %bb.33:                               ;   in Loop: Header=BB55_26 Depth=2
	s_add_i32 s46, s38, 1
	s_mov_b32 s45, s43
	s_mov_b32 s44, s42
.LBB55_34:                              ;   in Loop: Header=BB55_26 Depth=2
	s_cmp_le_i32 s46, s37
	s_cselect_b64 s[40:41], -1, 0
	s_cmp_le_i32 s39, s36
	s_cselect_b64 s[38:39], -1, 0
	s_and_b64 s[38:39], s[40:41], s[38:39]
	s_and_b64 vcc, exec, s[38:39]
	s_cbranch_vccz .LBB55_36
; %bb.35:                               ;   in Loop: Header=BB55_26 Depth=2
	s_mov_b32 s42, s44
	s_mov_b32 s38, s46
	s_mov_b32 s43, s45
	s_branch .LBB55_26
.LBB55_36:                              ;   in Loop: Header=BB55_10 Depth=1
	s_add_u32 s10, s14, s10
	s_addc_u32 s11, s15, s11
	s_waitcnt lgkmcnt(0)
.LBB55_37:                              ;   Parent Loop BB55_10 Depth=1
                                        ; =>  This Inner Loop Header: Depth=2
	global_load_dword v3, v2, s[10:11] sc1
	s_waitcnt vmcnt(0)
	v_cmp_eq_u32_e32 vcc, 0, v3
	s_cbranch_vccnz .LBB55_37
; %bb.38:                               ;   in Loop: Header=BB55_10 Depth=1
	buffer_inv sc1
	s_and_saveexec_b64 s[10:11], s[0:1]
	s_cbranch_execz .LBB55_51
; %bb.39:                               ;   in Loop: Header=BB55_10 Depth=1
	s_mul_i32 s45, s37, s48
	v_add_u32_e32 v3, s45, v0
	v_mul_lo_u32 v3, v3, s48
	s_mov_b64 s[36:37], 0
	v_mov_b32_e32 v8, v24
	v_mov_b32_e32 v9, v1
	s_branch .LBB55_41
.LBB55_40:                              ;   in Loop: Header=BB55_41 Depth=2
	s_or_b64 exec, exec, s[40:41]
	v_add_u32_e32 v9, 4, v9
	v_cmp_le_i32_e32 vcc, s48, v9
	s_waitcnt vmcnt(0)
	ds_write_b64 v8, v[10:11]
	s_or_b64 s[36:37], vcc, s[36:37]
	v_add_u32_e32 v8, 32, v8
	s_andn2_b64 exec, exec, s[36:37]
	s_cbranch_execz .LBB55_51
.LBB55_41:                              ;   Parent Loop BB55_10 Depth=1
                                        ; =>  This Inner Loop Header: Depth=2
	s_and_b64 vcc, exec, s[28:29]
	s_cbranch_vccz .LBB55_48
; %bb.42:                               ;   in Loop: Header=BB55_41 Depth=2
	s_mov_b64 s[40:41], 0
	s_mov_b64 s[38:39], 0
                                        ; implicit-def: $vgpr6
	s_and_saveexec_b64 s[42:43], s[2:3]
	s_xor_b64 s[42:43], exec, s[42:43]
; %bb.43:                               ;   in Loop: Header=BB55_41 Depth=2
	v_add_u32_e32 v6, s45, v9
	s_mov_b64 s[38:39], exec
	v_mad_u64_u32 v[6:7], s[46:47], v6, s48, v[0:1]
; %bb.44:                               ;   in Loop: Header=BB55_41 Depth=2
	s_or_b64 exec, exec, s[42:43]
	s_and_b64 vcc, exec, s[40:41]
	s_cbranch_vccz .LBB55_49
.LBB55_45:                              ;   in Loop: Header=BB55_41 Depth=2
                                        ; implicit-def: $vgpr6
	s_and_saveexec_b64 s[40:41], s[2:3]
; %bb.46:                               ;   in Loop: Header=BB55_41 Depth=2
	v_add_u32_e32 v6, v3, v9
	s_or_b64 s[38:39], s[38:39], exec
; %bb.47:                               ;   in Loop: Header=BB55_41 Depth=2
	s_or_b64 exec, exec, s[40:41]
	v_mov_b32_e32 v10, 0
	v_mov_b32_e32 v11, 0
	s_and_saveexec_b64 s[40:41], s[38:39]
	s_cbranch_execz .LBB55_40
	s_branch .LBB55_50
.LBB55_48:                              ;   in Loop: Header=BB55_41 Depth=2
	s_mov_b64 s[38:39], 0
                                        ; implicit-def: $vgpr6
	s_cbranch_execnz .LBB55_45
.LBB55_49:                              ;   in Loop: Header=BB55_41 Depth=2
	v_mov_b32_e32 v10, 0
	v_mov_b32_e32 v11, 0
	s_and_saveexec_b64 s[40:41], s[38:39]
	s_cbranch_execz .LBB55_40
.LBB55_50:                              ;   in Loop: Header=BB55_41 Depth=2
	v_ashrrev_i32_e32 v7, 31, v6
	v_lshl_add_u64 v[6:7], v[6:7], 3, s[26:27]
	global_load_dwordx2 v[10:11], v[6:7], off
	s_branch .LBB55_40
.LBB55_51:                              ;   in Loop: Header=BB55_10 Depth=1
	s_or_b64 exec, exec, s[10:11]
	s_cmp_lt_i32 s44, 2
	s_cbranch_scc1 .LBB55_67
; %bb.52:                               ;   in Loop: Header=BB55_10 Depth=1
	s_add_i32 s40, s44, -2
	s_mov_b32 s41, 0
	s_branch .LBB55_54
.LBB55_53:                              ;   in Loop: Header=BB55_54 Depth=2
	s_or_b64 exec, exec, s[10:11]
	s_add_i32 s10, s41, 1
	s_cmp_eq_u32 s41, s40
	s_mov_b32 s41, s10
	s_cbranch_scc1 .LBB55_67
.LBB55_54:                              ;   Parent Loop BB55_10 Depth=1
                                        ; =>  This Loop Header: Depth=2
                                        ;       Child Loop BB55_56 Depth 3
	s_and_saveexec_b64 s[10:11], s[0:1]
	s_cbranch_execz .LBB55_53
; %bb.55:                               ;   in Loop: Header=BB55_54 Depth=2
	s_lshl_b32 s36, s41, 2
	v_mov_b32_e32 v3, s36
	ds_read2st64_b32 v[6:7], v3 offset0:34 offset1:36
	s_mov_b64 s[36:37], 0
	v_mov_b32_e32 v37, v1
	s_waitcnt lgkmcnt(0)
	v_add_u32_e32 v33, v7, v20
	v_add_u32_e32 v34, v0, v7
	;; [unrolled: 1-line block ×4, first 2 shown]
.LBB55_56:                              ;   Parent Loop BB55_10 Depth=1
                                        ;     Parent Loop BB55_54 Depth=2
                                        ; =>    This Inner Loop Header: Depth=3
	v_mov_b32_e32 v3, v2
	s_mov_b32 s42, 0
	v_mov_b32_e32 v6, v35
	v_mov_b32_e32 v8, v34
	v_mov_b64_e32 v[10:11], v[2:3]
	s_and_b64 vcc, exec, s[28:29]
	s_cbranch_vccnz .LBB55_59
	s_branch .LBB55_58
.LBB55_57:                              ;   in Loop: Header=BB55_56 Depth=3
	v_mov_b64_e32 v[10:11], v[12:13]
	s_and_b64 vcc, exec, s[28:29]
	s_cbranch_vccnz .LBB55_59
.LBB55_58:                              ;   in Loop: Header=BB55_56 Depth=3
                                        ; implicit-def: $vgpr12_vgpr13
	s_cbranch_execz .LBB55_65
	s_branch .LBB55_62
.LBB55_59:                              ;   in Loop: Header=BB55_56 Depth=3
	v_ashrrev_i32_e32 v7, 31, v6
	v_lshl_add_u64 v[12:13], v[6:7], 3, s[26:27]
	global_load_dwordx2 v[12:13], v[12:13], off
	v_mov_b32_e32 v14, 0
	v_mov_b32_e32 v15, 0
	s_and_saveexec_b64 s[38:39], s[2:3]
	s_cbranch_execz .LBB55_61
; %bb.60:                               ;   in Loop: Header=BB55_56 Depth=3
	v_ashrrev_i32_e32 v9, 31, v8
	v_lshl_add_u64 v[14:15], v[8:9], 3, s[26:27]
	global_load_dwordx2 v[14:15], v[14:15], off
.LBB55_61:                              ;   in Loop: Header=BB55_56 Depth=3
	s_or_b64 exec, exec, s[38:39]
	s_waitcnt vmcnt(0)
	v_pk_add_f32 v[40:41], v[14:15], 0 neg_lo:[1,1] neg_hi:[1,1]
	v_pk_fma_f32 v[38:39], v[12:13], v[14:15], v[10:11] op_sel_hi:[1,0,1]
	v_mov_b32_e32 v40, v15
	v_pk_fma_f32 v[12:13], v[12:13], v[40:41], v[38:39] op_sel:[1,0,0] op_sel_hi:[0,1,1]
	s_branch .LBB55_65
.LBB55_62:                              ;   in Loop: Header=BB55_56 Depth=3
	v_add_u32_e32 v12, s42, v36
	v_ashrrev_i32_e32 v13, 31, v12
	v_lshl_add_u64 v[12:13], v[12:13], 3, s[26:27]
	global_load_dwordx2 v[12:13], v[12:13], off
	v_mov_b32_e32 v14, 0
	v_mov_b32_e32 v15, 0
	s_and_saveexec_b64 s[38:39], s[2:3]
	s_cbranch_execz .LBB55_64
; %bb.63:                               ;   in Loop: Header=BB55_56 Depth=3
	v_add_u32_e32 v14, s42, v33
	v_ashrrev_i32_e32 v15, 31, v14
	v_lshl_add_u64 v[14:15], v[14:15], 3, s[26:27]
	global_load_dwordx2 v[14:15], v[14:15], off
.LBB55_64:                              ;   in Loop: Header=BB55_56 Depth=3
	s_or_b64 exec, exec, s[38:39]
	s_waitcnt vmcnt(0)
	v_pk_add_f32 v[38:39], v[14:15], 0 neg_lo:[1,1] neg_hi:[1,1]
	v_pk_fma_f32 v[10:11], v[12:13], v[14:15], v[10:11] op_sel_hi:[1,0,1]
	v_mov_b32_e32 v38, v15
	v_pk_fma_f32 v[12:13], v[12:13], v[38:39], v[10:11] op_sel:[1,0,0] op_sel_hi:[0,1,1]
.LBB55_65:                              ;   in Loop: Header=BB55_56 Depth=3
	s_add_i32 s42, s42, 1
	v_add_u32_e32 v8, s48, v8
	s_cmp_eq_u32 s48, s42
	v_add_u32_e32 v6, s48, v6
	s_cbranch_scc0 .LBB55_57
; %bb.66:                               ;   in Loop: Header=BB55_56 Depth=3
	v_lshl_add_u32 v3, v37, 3, v19
	ds_read_b64 v[6:7], v3
	v_add_u32_e32 v37, 4, v37
	v_cmp_le_i32_e32 vcc, s48, v37
	v_add_u32_e32 v35, 4, v35
	s_or_b64 s[36:37], vcc, s[36:37]
	s_waitcnt lgkmcnt(0)
	v_pk_add_f32 v[6:7], v[12:13], v[6:7]
	v_add_u32_e32 v36, s53, v36
	ds_write_b64 v3, v[6:7]
	s_andn2_b64 exec, exec, s[36:37]
	s_cbranch_execnz .LBB55_56
	s_branch .LBB55_53
.LBB55_67:                              ;   in Loop: Header=BB55_10 Depth=1
	s_andn2_b64 vcc, exec, s[30:31]
	s_waitcnt lgkmcnt(0)
	s_cbranch_vccnz .LBB55_86
; %bb.68:                               ;   in Loop: Header=BB55_10 Depth=1
	s_mov_b32 s42, 0
	v_mov_b32_e32 v15, s54
	v_mov_b32_e32 v3, v29
	s_mov_b32 s43, 0
	s_mov_b32 s44, 0
	s_branch .LBB55_70
.LBB55_69:                              ;   in Loop: Header=BB55_70 Depth=2
	s_or_b64 exec, exec, s[10:11]
	s_add_i32 s44, s44, 1
	s_addk_i32 s43, 0x88
	s_add_i32 s42, s42, 8
	s_cmp_eq_u32 s44, s48
	v_add_u32_e32 v3, 8, v3
	s_waitcnt lgkmcnt(0)
	s_cbranch_scc1 .LBB55_86
.LBB55_70:                              ;   Parent Loop BB55_10 Depth=1
                                        ; =>  This Loop Header: Depth=2
                                        ;       Child Loop BB55_75 Depth 3
                                        ;       Child Loop BB55_79 Depth 3
	;; [unrolled: 1-line block ×3, first 2 shown]
	s_lshl_b32 s10, s44, 3
	s_mul_i32 s11, s44, 0x88
	s_add_i32 s11, s11, s10
	v_mov_b32_e32 v6, s11
	ds_read_b64 v[10:11], v6
	v_add_u32_e32 v9, s10, v18
	ds_read_b64 v[6:7], v9
	s_waitcnt lgkmcnt(1)
	v_cmp_neq_f32_e32 vcc, 0, v10
	v_cmp_neq_f32_e64 s[10:11], 0, v11
	s_or_b64 vcc, vcc, s[10:11]
	v_cndmask_b32_e32 v8, 1.0, v10, vcc
	s_nor_b64 s[36:37], vcc, s[4:5]
	v_cndmask_b32_e32 v10, 0, v11, vcc
	s_and_saveexec_b64 s[10:11], s[36:37]
	s_cbranch_execz .LBB55_74
; %bb.71:                               ;   in Loop: Header=BB55_70 Depth=2
	v_mbcnt_lo_u32_b32 v8, exec_lo, 0
	v_mbcnt_hi_u32_b32 v8, exec_hi, v8
	v_cmp_eq_u32_e32 vcc, 0, v8
	s_and_saveexec_b64 s[36:37], vcc
	s_cbranch_execz .LBB55_73
; %bb.72:                               ;   in Loop: Header=BB55_70 Depth=2
	global_atomic_smin v2, v15, s[18:19]
.LBB55_73:                              ;   in Loop: Header=BB55_70 Depth=2
	s_or_b64 exec, exec, s[36:37]
	v_mov_b32_e32 v10, 0
	v_mov_b32_e32 v8, 1.0
.LBB55_74:                              ;   in Loop: Header=BB55_70 Depth=2
	s_or_b64 exec, exec, s[10:11]
	v_lshl_add_u32 v11, s44, 3, v19
	ds_read_b64 v[12:13], v11
	s_cmp_eq_u32 s44, 0
	v_mov_b32_e32 v11, v18
	s_mov_b32 s10, s43
	s_mov_b32 s11, s44
	s_cbranch_scc1 .LBB55_76
.LBB55_75:                              ;   Parent Loop BB55_10 Depth=1
                                        ;     Parent Loop BB55_70 Depth=2
                                        ; =>    This Inner Loop Header: Depth=3
	v_mov_b32_e32 v14, s10
	ds_read_b64 v[34:35], v11
	ds_read_b64 v[36:37], v14
	s_add_i32 s11, s11, -1
	s_add_i32 s10, s10, 8
	v_add_u32_e32 v11, 8, v11
	s_cmp_eq_u32 s11, 0
	s_waitcnt lgkmcnt(0)
	v_pk_fma_f32 v[12:13], v[36:37], v[34:35], v[12:13] op_sel_hi:[1,0,1]
	s_nop 0
	v_pk_fma_f32 v[12:13], v[36:37], v[34:35], v[12:13] op_sel:[1,1,0] op_sel_hi:[0,1,1] neg_hi:[0,1,0]
	s_cbranch_scc0 .LBB55_75
.LBB55_76:                              ;   in Loop: Header=BB55_70 Depth=2
	v_mul_f32_e32 v11, v10, v10
	v_fmac_f32_e32 v11, v8, v8
	v_div_scale_f32 v14, s[10:11], v11, v11, 1.0
	v_rcp_f32_e32 v33, v14
	v_div_scale_f32 v34, vcc, 1.0, v11, 1.0
	s_waitcnt lgkmcnt(0)
	v_pk_add_f32 v[6:7], v[6:7], v[12:13] neg_lo:[0,1] neg_hi:[0,1]
	v_fma_f32 v35, -v14, v33, 1.0
	v_fmac_f32_e32 v33, v35, v33
	v_mul_f32_e32 v35, v34, v33
	v_fma_f32 v36, -v14, v35, v34
	v_fmac_f32_e32 v35, v36, v33
	v_fma_f32 v14, -v14, v35, v34
	v_div_fmas_f32 v14, v14, v33, v35
	v_xor_b32_e32 v13, 0x80000000, v6
	v_mov_b32_e32 v12, v7
	v_div_fixup_f32 v14, v14, v11, 1.0
	v_pk_mul_f32 v[10:11], v[10:11], v[12:13] op_sel_hi:[0,1]
	v_pk_fma_f32 v[6:7], v[6:7], v[8:9], v[10:11] op_sel_hi:[1,0,1]
	s_nop 0
	v_pk_mul_f32 v[6:7], v[14:15], v[6:7] op_sel_hi:[0,1]
	ds_write_b64 v9, v[6:7]
	s_waitcnt lgkmcnt(0)
	s_and_saveexec_b64 s[10:11], s[0:1]
	s_cbranch_execz .LBB55_69
; %bb.77:                               ;   in Loop: Header=BB55_70 Depth=2
	s_mov_b64 s[38:39], -1
	v_mov_b32_e32 v8, v1
	v_mov_b32_e32 v9, v23
	;; [unrolled: 1-line block ×3, first 2 shown]
	s_and_saveexec_b64 s[36:37], s[6:7]
	s_cbranch_execz .LBB55_83
; %bb.78:                               ;   in Loop: Header=BB55_70 Depth=2
	v_mov_b32_e32 v8, v6
	v_mov_b32_e32 v9, v6
	;; [unrolled: 1-line block ×4, first 2 shown]
	s_mov_b64 s[38:39], 0
	v_mov_b32_e32 v12, v21
	v_mov_b32_e32 v13, v30
	;; [unrolled: 1-line block ×3, first 2 shown]
.LBB55_79:                              ;   Parent Loop BB55_10 Depth=1
                                        ;     Parent Loop BB55_70 Depth=2
                                        ; =>    This Inner Loop Header: Depth=3
	ds_read2_b64 v[34:37], v14 offset1:68
	ds_read2_b64 v[38:41], v13 offset1:4
	v_add_u32_e32 v12, -2, v12
	v_cmp_eq_u32_e32 vcc, 0, v12
	v_add_u32_e32 v14, 0x440, v14
	s_waitcnt lgkmcnt(1)
	v_mov_b32_e32 v42, v34
	v_mov_b32_e32 v43, v36
	;; [unrolled: 1-line block ×3, first 2 shown]
	s_waitcnt lgkmcnt(0)
	v_mov_b32_e32 v34, v38
	v_mov_b32_e32 v35, v40
	;; [unrolled: 1-line block ×3, first 2 shown]
	v_pk_fma_f32 v[34:35], v[8:9], v[42:43], v[34:35]
	v_pk_fma_f32 v[38:39], v[10:11], v[42:43], v[40:41]
	;; [unrolled: 1-line block ×3, first 2 shown]
	v_pk_fma_f32 v[36:37], v[8:9], v[36:37], v[38:39] neg_lo:[0,1,0] neg_hi:[0,1,0]
	v_mov_b32_e32 v38, v34
	v_mov_b32_e32 v39, v36
	;; [unrolled: 1-line block ×3, first 2 shown]
	ds_write2_b64 v13, v[38:39], v[36:37] offset1:4
	s_or_b64 s[38:39], vcc, s[38:39]
	v_add_u32_e32 v13, 64, v13
	s_andn2_b64 exec, exec, s[38:39]
	s_cbranch_execnz .LBB55_79
; %bb.80:                               ;   in Loop: Header=BB55_70 Depth=2
	s_or_b64 exec, exec, s[38:39]
	s_mov_b64 s[38:39], 0
                                        ; implicit-def: $vgpr9
                                        ; implicit-def: $vgpr10
	s_and_saveexec_b64 s[40:41], s[8:9]
; %bb.81:                               ;   in Loop: Header=BB55_70 Depth=2
	s_mov_b64 s[38:39], exec
	v_lshlrev_b32_e32 v9, 3, v22
	v_mul_lo_u32 v10, v22, s51
; %bb.82:                               ;   in Loop: Header=BB55_70 Depth=2
	s_or_b64 exec, exec, s[40:41]
	s_orn2_b64 s[38:39], s[38:39], exec
	v_mov_b32_e32 v8, v22
.LBB55_83:                              ;   in Loop: Header=BB55_70 Depth=2
	s_or_b64 exec, exec, s[36:37]
	s_and_b64 exec, exec, s[38:39]
	s_cbranch_execz .LBB55_69
; %bb.84:                               ;   in Loop: Header=BB55_70 Depth=2
	v_add_u32_e32 v9, v31, v9
	v_add_u32_e32 v10, s42, v10
	s_mov_b64 s[36:37], 0
.LBB55_85:                              ;   Parent Loop BB55_10 Depth=1
                                        ;     Parent Loop BB55_70 Depth=2
                                        ; =>    This Inner Loop Header: Depth=3
	ds_read_b64 v[12:13], v10 offset:4352
	ds_read_b64 v[34:35], v9
	v_add_u32_e32 v8, 4, v8
	v_cmp_le_i32_e32 vcc, s48, v8
	s_or_b64 s[36:37], vcc, s[36:37]
	v_add_u32_e32 v10, 0x220, v10
	s_waitcnt lgkmcnt(0)
	v_pk_fma_f32 v[34:35], v[6:7], v[12:13], v[34:35] op_sel_hi:[1,0,1]
	s_nop 0
	v_pk_fma_f32 v[12:13], v[6:7], v[12:13], v[34:35] op_sel:[0,1,1] op_sel_hi:[1,1,0] neg_lo:[0,1,0]
	s_nop 0
	v_pk_mov_b32 v[12:13], v[12:13], v[12:13] op_sel:[1,0]
	ds_write_b64 v9, v[12:13]
	v_add_u32_e32 v9, 32, v9
	s_andn2_b64 exec, exec, s[36:37]
	s_cbranch_execnz .LBB55_85
	s_branch .LBB55_69
.LBB55_86:                              ;   in Loop: Header=BB55_10 Depth=1
	s_and_saveexec_b64 s[10:11], s[0:1]
	s_cbranch_execz .LBB55_9
; %bb.87:                               ;   in Loop: Header=BB55_10 Depth=1
	s_mov_b64 s[36:37], 0
	v_mov_b32_e32 v3, v32
	v_mov_b32_e32 v8, v1
	s_branch .LBB55_91
.LBB55_88:                              ;   in Loop: Header=BB55_91 Depth=2
	v_add_u32_e32 v6, v27, v8
.LBB55_89:                              ;   in Loop: Header=BB55_91 Depth=2
	ds_read_b64 v[10:11], v3
	v_ashrrev_i32_e32 v7, 31, v6
	v_lshl_add_u64 v[6:7], v[6:7], 3, s[26:27]
	s_waitcnt lgkmcnt(0)
	global_store_dwordx2 v[6:7], v[10:11], off
.LBB55_90:                              ;   in Loop: Header=BB55_91 Depth=2
	s_or_b64 exec, exec, s[38:39]
	v_add_u32_e32 v8, 4, v8
	v_cmp_le_i32_e32 vcc, s48, v8
	s_or_b64 s[36:37], vcc, s[36:37]
	v_add_u32_e32 v3, 32, v3
	s_andn2_b64 exec, exec, s[36:37]
	s_cbranch_execz .LBB55_9
.LBB55_91:                              ;   Parent Loop BB55_10 Depth=1
                                        ; =>  This Inner Loop Header: Depth=2
	s_and_saveexec_b64 s[38:39], s[2:3]
	s_cbranch_execz .LBB55_90
; %bb.92:                               ;   in Loop: Header=BB55_91 Depth=2
	s_and_b64 vcc, exec, s[28:29]
	s_cbranch_vccz .LBB55_94
; %bb.93:                               ;   in Loop: Header=BB55_91 Depth=2
	v_add_u32_e32 v6, s35, v8
	v_mad_u64_u32 v[6:7], s[40:41], v6, s48, v[0:1]
	s_cbranch_execnz .LBB55_89
	s_branch .LBB55_88
.LBB55_94:                              ;   in Loop: Header=BB55_91 Depth=2
                                        ; implicit-def: $vgpr6
	s_branch .LBB55_88
.LBB55_95:                              ;   in Loop: Header=BB55_10 Depth=1
                                        ; implicit-def: $sgpr34
                                        ; implicit-def: $vgpr27
	s_cbranch_execz .LBB55_10
.LBB55_96:
	v_cmp_gt_i32_e64 s[0:1], s48, v1
	s_and_saveexec_b64 s[4:5], s[0:1]
	s_cbranch_execz .LBB55_109
; %bb.97:
	s_mul_i32 s22, s33, s48
	v_add_u32_e32 v2, s22, v0
	s_cmp_lg_u32 s49, 0
	v_mul_lo_u32 v4, v2, s48
	v_mul_u32_u24_e32 v2, 0x88, v0
	v_lshlrev_b32_e32 v3, 3, v1
	s_movk_i32 s8, 0x1100
	s_cselect_b64 s[6:7], -1, 0
	v_cmp_gt_i32_e64 s[2:3], s48, v0
	v_add3_u32 v5, v2, v3, s8
	s_mov_b64 s[8:9], 0
	v_mov_b32_e32 v6, v1
	s_branch .LBB55_99
.LBB55_98:                              ;   in Loop: Header=BB55_99 Depth=1
	s_or_b64 exec, exec, s[12:13]
	v_add_u32_e32 v6, 4, v6
	v_cmp_le_i32_e32 vcc, s48, v6
	s_waitcnt vmcnt(0)
	ds_write_b64 v5, v[8:9]
	s_or_b64 s[8:9], vcc, s[8:9]
	v_add_u32_e32 v5, 32, v5
	s_andn2_b64 exec, exec, s[8:9]
	s_cbranch_execz .LBB55_109
.LBB55_99:                              ; =>This Inner Loop Header: Depth=1
	s_and_b64 vcc, exec, s[6:7]
	s_cbranch_vccz .LBB55_106
; %bb.100:                              ;   in Loop: Header=BB55_99 Depth=1
	s_mov_b64 s[12:13], 0
	s_mov_b64 s[10:11], 0
                                        ; implicit-def: $vgpr2
	s_and_saveexec_b64 s[20:21], s[2:3]
	s_xor_b64 s[20:21], exec, s[20:21]
; %bb.101:                              ;   in Loop: Header=BB55_99 Depth=1
	v_add_u32_e32 v2, s22, v6
	s_mov_b64 s[10:11], exec
	v_mad_u64_u32 v[2:3], s[28:29], v2, s48, v[0:1]
; %bb.102:                              ;   in Loop: Header=BB55_99 Depth=1
	s_or_b64 exec, exec, s[20:21]
	s_and_b64 vcc, exec, s[12:13]
	s_cbranch_vccz .LBB55_107
.LBB55_103:                             ;   in Loop: Header=BB55_99 Depth=1
                                        ; implicit-def: $vgpr2
	s_and_saveexec_b64 s[12:13], s[2:3]
; %bb.104:                              ;   in Loop: Header=BB55_99 Depth=1
	v_add_u32_e32 v2, v4, v6
	s_or_b64 s[10:11], s[10:11], exec
; %bb.105:                              ;   in Loop: Header=BB55_99 Depth=1
	s_or_b64 exec, exec, s[12:13]
	v_mov_b32_e32 v8, 0
	v_mov_b32_e32 v9, 0
	s_and_saveexec_b64 s[12:13], s[10:11]
	s_cbranch_execz .LBB55_98
	s_branch .LBB55_108
.LBB55_106:                             ;   in Loop: Header=BB55_99 Depth=1
	s_mov_b64 s[10:11], 0
                                        ; implicit-def: $vgpr2
	s_cbranch_execnz .LBB55_103
.LBB55_107:                             ;   in Loop: Header=BB55_99 Depth=1
	v_mov_b32_e32 v8, 0
	v_mov_b32_e32 v9, 0
	s_and_saveexec_b64 s[12:13], s[10:11]
	s_cbranch_execz .LBB55_98
.LBB55_108:                             ;   in Loop: Header=BB55_99 Depth=1
	v_ashrrev_i32_e32 v3, 31, v2
	v_lshl_add_u64 v[2:3], v[2:3], 3, s[26:27]
	global_load_dwordx2 v[8:9], v[2:3], off
	s_branch .LBB55_98
.LBB55_109:
	s_or_b64 exec, exec, s[4:5]
	s_cmp_lt_i32 s48, 1
	s_waitcnt lgkmcnt(0)
	s_cbranch_scc1 .LBB55_135
; %bb.110:
	v_or_b32_e32 v4, v1, v0
	s_movk_i32 s8, 0x88
	v_mov_b32_e32 v2, 0x1100
	v_cmp_ne_u32_e64 s[2:3], 0, v4
	v_mov_b32_e32 v4, 0x1980
	v_mad_u32_u24 v10, v0, s8, v2
	v_mad_u32_u24 v11, v0, s8, v4
	v_lshlrev_b32_e32 v4, 3, v0
	v_add_u32_e32 v12, v10, v4
	v_add_u32_e32 v13, v11, v4
	v_lshrrev_b32_e32 v4, 2, v17
	v_add_u32_e32 v4, 1, v4
	v_and_b32_e32 v14, 0x7ffffffe, v4
	v_mul_u32_u24_e32 v3, 0x88, v0
	s_add_i32 s9, s24, s25
	s_movk_i32 s10, 0x1980
	v_lshl_add_u32 v15, v14, 2, v1
	s_mov_b32 s22, 0
	v_cmp_lt_u32_e64 s[4:5], 3, v17
	v_cmp_ne_u32_e64 s[6:7], v4, v14
	v_mul_u32_u24_e32 v17, 0x88, v1
	v_mad_u32_u24 v18, v1, s8, v2
	v_add3_u32 v19, v3, v16, s10
	s_mov_b32 s23, 0xf800000
	v_mov_b32_e32 v20, 0x260
	v_mov_b32_e32 v3, 0
	;; [unrolled: 1-line block ×3, first 2 shown]
	v_lshlrev_b32_e32 v21, 3, v15
	v_mul_lo_u32 v22, v15, s8
	s_mov_b32 s28, 0
	s_branch .LBB55_112
.LBB55_111:                             ;   in Loop: Header=BB55_112 Depth=1
	s_or_b64 exec, exec, s[8:9]
	s_add_i32 s28, s28, 1
	s_add_i32 s22, s22, 8
	s_cmp_eq_u32 s28, s48
	v_add_u32_e32 v18, 8, v18
	s_waitcnt lgkmcnt(0)
	s_cbranch_scc1 .LBB55_135
.LBB55_112:                             ; =>This Loop Header: Depth=1
                                        ;     Child Loop BB55_128 Depth 2
                                        ;     Child Loop BB55_134 Depth 2
	v_cmp_eq_u32_e32 vcc, s28, v0
	s_and_saveexec_b64 s[10:11], vcc
	s_cbranch_execz .LBB55_120
; %bb.113:                              ;   in Loop: Header=BB55_112 Depth=1
	ds_read_b64 v[4:5], v12
	ds_read_b64 v[6:7], v13
	s_waitcnt lgkmcnt(0)
	v_sub_f32_e32 v2, v4, v6
	v_sub_f32_e32 v6, v5, v7
	v_cmp_gt_f32_e32 vcc, 0, v2
                                        ; implicit-def: $vgpr5
	s_nop 1
	v_cndmask_b32_e64 v2, v2, -v2, vcc
	v_cmp_gt_f32_e32 vcc, 0, v6
	s_nop 1
	v_cndmask_b32_e64 v4, v6, -v6, vcc
	v_cmp_ngt_f32_e32 vcc, v2, v4
	s_and_saveexec_b64 s[8:9], vcc
	s_xor_b64 s[12:13], exec, s[8:9]
	s_cbranch_execz .LBB55_117
; %bb.114:                              ;   in Loop: Header=BB55_112 Depth=1
	v_mov_b32_e32 v5, 0
	v_cmp_neq_f32_e32 vcc, 0, v6
	s_and_saveexec_b64 s[20:21], vcc
	s_cbranch_execz .LBB55_116
; %bb.115:                              ;   in Loop: Header=BB55_112 Depth=1
	v_div_scale_f32 v5, s[8:9], v4, v4, v2
	v_rcp_f32_e32 v6, v5
	v_div_scale_f32 v7, vcc, v2, v4, v2
	v_fma_f32 v8, -v5, v6, 1.0
	v_fmac_f32_e32 v6, v8, v6
	v_mul_f32_e32 v8, v7, v6
	v_fma_f32 v9, -v5, v8, v7
	v_fmac_f32_e32 v8, v9, v6
	v_fma_f32 v5, -v5, v8, v7
	v_div_fmas_f32 v5, v5, v6, v8
	v_div_fixup_f32 v2, v5, v4, v2
	v_fma_f32 v2, v2, v2, 1.0
	v_mul_f32_e32 v5, 0x4f800000, v2
	v_cmp_gt_f32_e32 vcc, s23, v2
	s_nop 1
	v_cndmask_b32_e32 v2, v2, v5, vcc
	v_sqrt_f32_e32 v5, v2
	s_nop 0
	v_add_u32_e32 v6, -1, v5
	v_fma_f32 v7, -v6, v5, v2
	v_cmp_ge_f32_e64 s[8:9], 0, v7
	v_add_u32_e32 v7, 1, v5
	s_nop 0
	v_cndmask_b32_e64 v6, v5, v6, s[8:9]
	v_fma_f32 v5, -v7, v5, v2
	v_cmp_lt_f32_e64 s[8:9], 0, v5
	s_nop 1
	v_cndmask_b32_e64 v5, v6, v7, s[8:9]
	v_mul_f32_e32 v6, 0x37800000, v5
	v_cndmask_b32_e32 v5, v5, v6, vcc
	v_cmp_class_f32_e32 vcc, v2, v20
	s_nop 1
	v_cndmask_b32_e32 v2, v5, v2, vcc
	v_mul_f32_e32 v5, v4, v2
.LBB55_116:                             ;   in Loop: Header=BB55_112 Depth=1
	s_or_b64 exec, exec, s[20:21]
                                        ; implicit-def: $vgpr2
                                        ; implicit-def: $vgpr4
.LBB55_117:                             ;   in Loop: Header=BB55_112 Depth=1
	s_andn2_saveexec_b64 s[12:13], s[12:13]
	s_cbranch_execz .LBB55_119
; %bb.118:                              ;   in Loop: Header=BB55_112 Depth=1
	v_div_scale_f32 v5, s[8:9], v2, v2, v4
	v_rcp_f32_e32 v6, v5
	v_div_scale_f32 v7, vcc, v4, v2, v4
	v_fma_f32 v8, -v5, v6, 1.0
	v_fmac_f32_e32 v6, v8, v6
	v_mul_f32_e32 v8, v7, v6
	v_fma_f32 v9, -v5, v8, v7
	v_fmac_f32_e32 v8, v9, v6
	v_fma_f32 v5, -v5, v8, v7
	v_div_fmas_f32 v5, v5, v6, v8
	v_div_fixup_f32 v4, v5, v2, v4
	v_fma_f32 v4, v4, v4, 1.0
	v_mul_f32_e32 v5, 0x4f800000, v4
	v_cmp_gt_f32_e32 vcc, s23, v4
	s_nop 1
	v_cndmask_b32_e32 v4, v4, v5, vcc
	v_sqrt_f32_e32 v5, v4
	s_nop 0
	v_add_u32_e32 v6, -1, v5
	v_fma_f32 v7, -v6, v5, v4
	v_cmp_ge_f32_e64 s[8:9], 0, v7
	v_add_u32_e32 v7, 1, v5
	s_nop 0
	v_cndmask_b32_e64 v6, v5, v6, s[8:9]
	v_fma_f32 v5, -v7, v5, v4
	v_cmp_lt_f32_e64 s[8:9], 0, v5
	s_nop 1
	v_cndmask_b32_e64 v5, v6, v7, s[8:9]
	v_mul_f32_e32 v6, 0x37800000, v5
	v_cndmask_b32_e32 v5, v5, v6, vcc
	v_cmp_class_f32_e32 vcc, v4, v20
	s_nop 1
	v_cndmask_b32_e32 v4, v5, v4, vcc
	v_mul_f32_e32 v5, v2, v4
.LBB55_119:                             ;   in Loop: Header=BB55_112 Depth=1
	s_or_b64 exec, exec, s[12:13]
	v_mul_f32_e32 v2, 0x4f800000, v5
	v_cmp_gt_f32_e32 vcc, s23, v5
	s_nop 1
	v_cndmask_b32_e32 v2, v5, v2, vcc
	v_sqrt_f32_e32 v4, v2
	s_nop 0
	v_add_u32_e32 v5, -1, v4
	v_fma_f32 v7, -v5, v4, v2
	v_add_u32_e32 v6, 1, v4
	v_cmp_ge_f32_e64 s[8:9], 0, v7
	s_nop 1
	v_cndmask_b32_e64 v5, v4, v5, s[8:9]
	v_fma_f32 v4, -v6, v4, v2
	v_cmp_lt_f32_e64 s[8:9], 0, v4
	s_nop 1
	v_cndmask_b32_e64 v4, v5, v6, s[8:9]
	v_mul_f32_e32 v5, 0x37800000, v4
	v_cndmask_b32_e32 v4, v4, v5, vcc
	v_cmp_class_f32_e32 vcc, v2, v20
	s_nop 1
	v_cndmask_b32_e32 v2, v4, v2, vcc
	ds_write_b64 v12, v[2:3]
.LBB55_120:                             ;   in Loop: Header=BB55_112 Depth=1
	s_or_b64 exec, exec, s[10:11]
	s_lshl_b32 s8, s28, 3
	s_mul_i32 s9, s28, 0x88
	s_add_i32 s9, s9, s8
	v_mov_b32_e32 v2, s9
	s_waitcnt lgkmcnt(0)
	ds_read_b64 v[26:27], v2 offset:4352
	v_add_u32_e32 v6, s8, v10
	ds_read_b64 v[8:9], v6
	s_waitcnt lgkmcnt(1)
	v_cmp_neq_f32_e32 vcc, 0, v26
	v_cmp_neq_f32_e64 s[8:9], 0, v27
	s_or_b64 vcc, vcc, s[8:9]
	v_cndmask_b32_e32 v4, 0, v27, vcc
	s_nor_b64 s[10:11], vcc, s[2:3]
	v_cndmask_b32_e32 v2, 1.0, v26, vcc
	s_and_saveexec_b64 s[8:9], s[10:11]
	s_cbranch_execz .LBB55_124
; %bb.121:                              ;   in Loop: Header=BB55_112 Depth=1
	v_mbcnt_lo_u32_b32 v2, exec_lo, 0
	v_mbcnt_hi_u32_b32 v2, exec_hi, v2
	v_cmp_eq_u32_e32 vcc, 0, v2
	s_and_saveexec_b64 s[10:11], vcc
	s_cbranch_execz .LBB55_123
; %bb.122:                              ;   in Loop: Header=BB55_112 Depth=1
	global_atomic_smin v3, v25, s[18:19]
.LBB55_123:                             ;   in Loop: Header=BB55_112 Depth=1
	s_or_b64 exec, exec, s[10:11]
	v_mov_b32_e32 v2, 1.0
	v_mov_b32_e32 v4, 0
.LBB55_124:                             ;   in Loop: Header=BB55_112 Depth=1
	s_or_b64 exec, exec, s[8:9]
	v_cmp_lt_u32_e32 vcc, s28, v0
	s_and_saveexec_b64 s[8:9], vcc
	s_cbranch_execz .LBB55_111
; %bb.125:                              ;   in Loop: Header=BB55_112 Depth=1
	v_mul_f32_e32 v5, v4, v4
	v_fmac_f32_e32 v5, v2, v2
	v_div_scale_f32 v7, s[10:11], v5, v5, 1.0
	v_rcp_f32_e32 v23, v7
	v_lshl_add_u32 v24, s28, 3, v11
	s_waitcnt lgkmcnt(0)
	v_mov_b32_e32 v29, v8
	v_fma_f32 v26, -v7, v23, 1.0
	v_fmac_f32_e32 v23, v26, v23
	v_div_scale_f32 v26, vcc, 1.0, v5, 1.0
	v_mul_f32_e32 v28, v26, v23
	v_fma_f32 v27, -v7, v28, v26
	v_fmac_f32_e32 v28, v27, v23
	v_fma_f32 v7, -v7, v28, v26
	ds_read_b64 v[26:27], v24
	v_div_fmas_f32 v7, v7, v23, v28
	v_mov_b32_e32 v28, v9
	v_div_fixup_f32 v24, v7, v5, 1.0
	s_waitcnt lgkmcnt(0)
	v_pk_add_f32 v[8:9], v[28:29], v[26:27] op_sel:[0,1] op_sel_hi:[1,0] neg_lo:[0,1] neg_hi:[0,1]
	s_nop 0
	v_xor_b32_e32 v26, 0x80000000, v9
	v_mov_b32_e32 v27, v8
	v_pk_mul_f32 v[4:5], v[4:5], v[26:27] op_sel_hi:[0,1]
	v_pk_fma_f32 v[4:5], v[8:9], v[2:3], v[4:5] op_sel_hi:[1,0,1]
	s_nop 0
	v_pk_mul_f32 v[4:5], v[24:25], v[4:5] op_sel_hi:[0,1]
	v_pk_mov_b32 v[8:9], v[4:5], v[4:5] op_sel:[1,0]
	ds_write_b64 v6, v[8:9]
	s_waitcnt lgkmcnt(0)
	s_and_b64 exec, exec, s[0:1]
	s_cbranch_execz .LBB55_111
; %bb.126:                              ;   in Loop: Header=BB55_112 Depth=1
	s_mov_b64 s[12:13], -1
	v_mov_b32_e32 v2, v1
	v_mov_b32_e32 v8, v16
	;; [unrolled: 1-line block ×3, first 2 shown]
	s_and_saveexec_b64 s[10:11], s[4:5]
	s_cbranch_execz .LBB55_132
; %bb.127:                              ;   in Loop: Header=BB55_112 Depth=1
	v_mov_b32_e32 v6, v5
	v_mov_b32_e32 v7, v5
	;; [unrolled: 1-line block ×4, first 2 shown]
	s_mov_b64 s[12:13], 0
	v_mov_b32_e32 v2, v14
	v_mov_b32_e32 v23, v19
	;; [unrolled: 1-line block ×3, first 2 shown]
.LBB55_128:                             ;   Parent Loop BB55_112 Depth=1
                                        ; =>  This Inner Loop Header: Depth=2
	ds_read2_b64 v[26:29], v24 offset1:68
	ds_read2_b64 v[30:33], v23 offset1:4
	v_add_u32_e32 v2, -2, v2
	v_cmp_eq_u32_e32 vcc, 0, v2
	v_add_u32_e32 v24, 0x440, v24
	s_waitcnt lgkmcnt(1)
	v_mov_b32_e32 v34, v26
	v_mov_b32_e32 v35, v28
	;; [unrolled: 1-line block ×3, first 2 shown]
	s_waitcnt lgkmcnt(0)
	v_mov_b32_e32 v26, v30
	v_mov_b32_e32 v27, v32
	;; [unrolled: 1-line block ×3, first 2 shown]
	v_pk_fma_f32 v[26:27], v[6:7], v[34:35], v[26:27]
	v_pk_fma_f32 v[30:31], v[8:9], v[34:35], v[32:33]
	;; [unrolled: 1-line block ×3, first 2 shown]
	v_pk_fma_f32 v[28:29], v[6:7], v[28:29], v[30:31] neg_lo:[0,1,0] neg_hi:[0,1,0]
	v_mov_b32_e32 v30, v26
	v_mov_b32_e32 v31, v28
	;; [unrolled: 1-line block ×3, first 2 shown]
	ds_write2_b64 v23, v[30:31], v[28:29] offset1:4
	s_or_b64 s[12:13], vcc, s[12:13]
	v_add_u32_e32 v23, 64, v23
	s_andn2_b64 exec, exec, s[12:13]
	s_cbranch_execnz .LBB55_128
; %bb.129:                              ;   in Loop: Header=BB55_112 Depth=1
	s_or_b64 exec, exec, s[12:13]
	s_mov_b64 s[12:13], 0
	s_and_saveexec_b64 s[20:21], s[6:7]
; %bb.130:                              ;   in Loop: Header=BB55_112 Depth=1
	s_mov_b64 s[12:13], exec
; %bb.131:                              ;   in Loop: Header=BB55_112 Depth=1
	s_or_b64 exec, exec, s[20:21]
	s_orn2_b64 s[12:13], s[12:13], exec
	v_mov_b32_e32 v2, v15
	v_mov_b32_e32 v8, v21
	;; [unrolled: 1-line block ×3, first 2 shown]
.LBB55_132:                             ;   in Loop: Header=BB55_112 Depth=1
	s_or_b64 exec, exec, s[10:11]
	s_and_b64 exec, exec, s[12:13]
	s_cbranch_execz .LBB55_111
; %bb.133:                              ;   in Loop: Header=BB55_112 Depth=1
	v_pk_mov_b32 v[6:7], v[4:5], v[4:5] op_sel:[1,0]
	v_add_u32_e32 v8, v11, v8
	v_add_u32_e32 v9, s22, v9
	s_mov_b64 s[10:11], 0
.LBB55_134:                             ;   Parent Loop BB55_112 Depth=1
                                        ; =>  This Inner Loop Header: Depth=2
	ds_read_b64 v[26:27], v9 offset:4352
	ds_read_b64 v[28:29], v8
	v_add_u32_e32 v2, 4, v2
	v_cmp_le_i32_e32 vcc, s48, v2
	s_or_b64 s[10:11], vcc, s[10:11]
	v_add_u32_e32 v9, 0x220, v9
	s_waitcnt lgkmcnt(0)
	v_pk_fma_f32 v[28:29], v[6:7], v[26:27], v[28:29] op_sel_hi:[1,0,1]
	s_nop 0
	v_pk_fma_f32 v[26:27], v[4:5], v[26:27], v[28:29] op_sel:[0,1,0] neg_hi:[0,1,0]
	ds_write_b64 v8, v[26:27]
	v_add_u32_e32 v8, 32, v8
	s_andn2_b64 exec, exec, s[10:11]
	s_cbranch_execnz .LBB55_134
	s_branch .LBB55_111
.LBB55_135:
	s_and_saveexec_b64 s[2:3], s[0:1]
	s_cbranch_execz .LBB55_144
; %bb.136:
	s_mul_i32 s33, s33, s48
	v_add_u32_e32 v2, s33, v0
	s_cmp_lg_u32 s49, 0
	v_mul_lo_u32 v4, v2, s48
	v_mul_u32_u24_e32 v2, 0x88, v0
	s_movk_i32 s6, 0x1100
	v_cmp_gt_i32_e64 s[0:1], s48, v0
	s_cselect_b64 s[4:5], -1, 0
	v_add3_u32 v5, v2, v16, s6
	s_mov_b64 s[6:7], 0
	v_mov_b32_e32 v6, v1
	s_branch .LBB55_140
.LBB55_137:                             ;   in Loop: Header=BB55_140 Depth=1
	v_add_u32_e32 v2, v4, v6
.LBB55_138:                             ;   in Loop: Header=BB55_140 Depth=1
	ds_read_b64 v[8:9], v5
	v_ashrrev_i32_e32 v3, 31, v2
	v_lshl_add_u64 v[2:3], v[2:3], 3, s[26:27]
	s_waitcnt lgkmcnt(0)
	global_store_dwordx2 v[2:3], v[8:9], off
.LBB55_139:                             ;   in Loop: Header=BB55_140 Depth=1
	s_or_b64 exec, exec, s[8:9]
	v_add_u32_e32 v6, 4, v6
	v_cmp_le_i32_e32 vcc, s48, v6
	s_or_b64 s[6:7], vcc, s[6:7]
	v_add_u32_e32 v5, 32, v5
	s_andn2_b64 exec, exec, s[6:7]
	s_cbranch_execz .LBB55_144
.LBB55_140:                             ; =>This Inner Loop Header: Depth=1
	s_and_saveexec_b64 s[8:9], s[0:1]
	s_cbranch_execz .LBB55_139
; %bb.141:                              ;   in Loop: Header=BB55_140 Depth=1
	s_and_b64 vcc, exec, s[4:5]
	s_cbranch_vccz .LBB55_143
; %bb.142:                              ;   in Loop: Header=BB55_140 Depth=1
	v_add_u32_e32 v2, s33, v6
	v_mad_u64_u32 v[2:3], s[10:11], v2, s48, v[0:1]
	s_cbranch_execnz .LBB55_138
	s_branch .LBB55_137
.LBB55_143:                             ;   in Loop: Header=BB55_140 Depth=1
                                        ; implicit-def: $vgpr2
	s_branch .LBB55_137
.LBB55_144:
	s_or_b64 exec, exec, s[2:3]
	v_or_b32_e32 v2, v1, v0
	v_cmp_eq_u32_e32 vcc, 0, v2
	s_and_saveexec_b64 s[0:1], vcc
	s_cbranch_execz .LBB55_146
; %bb.145:
	s_add_u32 s2, s14, s16
	s_addc_u32 s3, s15, s17
	v_mov_b32_e32 v2, 0
	v_mov_b32_e32 v3, 1
	buffer_wbl2 sc1
	s_waitcnt vmcnt(0)
	global_store_dword v2, v3, s[2:3] sc1
.LBB55_146:
	s_or_b64 exec, exec, s[0:1]
.LBB55_147:
	s_endpgm
.LBB55_148:
	s_cbranch_execz .LBB55_147
; %bb.149:
	v_or_b32_e32 v0, v1, v0
	v_cmp_eq_u32_e32 vcc, 0, v0
	s_and_saveexec_b64 s[0:1], vcc
	s_cbranch_execz .LBB55_147
; %bb.150:
	v_mbcnt_lo_u32_b32 v0, exec_lo, 0
	v_mbcnt_hi_u32_b32 v0, exec_hi, v0
	v_cmp_eq_u32_e32 vcc, 0, v0
	s_and_saveexec_b64 s[0:1], vcc
	s_cbranch_execz .LBB55_152
; %bb.151:
	s_add_i32 s2, s24, s25
	v_mov_b32_e32 v0, 0
	v_mov_b32_e32 v1, s2
	global_atomic_smin v0, v1, s[18:19]
.LBB55_152:
	s_or_b64 exec, exec, s[0:1]
	s_add_u32 s0, s14, s16
	s_addc_u32 s1, s15, s17
	v_mov_b32_e32 v0, 0
	v_mov_b32_e32 v1, 1
	buffer_wbl2 sc1
	s_waitcnt vmcnt(0)
	global_store_dword v0, v1, s[0:1] sc1
	s_endpgm
	.section	.rodata,"a",@progbits
	.p2align	6, 0x0
	.amdhsa_kernel _ZN9rocsparseL18bsric0_9_16_kernelILi64ELi128ELi16E21rocsparse_complex_numIfEEEv20rocsparse_direction_iiPKiS5_PT2_S5_PiS5_S8_21rocsparse_index_base_
		.amdhsa_group_segment_fixed_size 10240
		.amdhsa_private_segment_fixed_size 0
		.amdhsa_kernarg_size 76
		.amdhsa_user_sgpr_count 2
		.amdhsa_user_sgpr_dispatch_ptr 0
		.amdhsa_user_sgpr_queue_ptr 0
		.amdhsa_user_sgpr_kernarg_segment_ptr 1
		.amdhsa_user_sgpr_dispatch_id 0
		.amdhsa_user_sgpr_kernarg_preload_length 0
		.amdhsa_user_sgpr_kernarg_preload_offset 0
		.amdhsa_user_sgpr_private_segment_size 0
		.amdhsa_uses_dynamic_stack 0
		.amdhsa_enable_private_segment 0
		.amdhsa_system_sgpr_workgroup_id_x 1
		.amdhsa_system_sgpr_workgroup_id_y 0
		.amdhsa_system_sgpr_workgroup_id_z 0
		.amdhsa_system_sgpr_workgroup_info 0
		.amdhsa_system_vgpr_workitem_id 1
		.amdhsa_next_free_vgpr 97
		.amdhsa_next_free_sgpr 96
		.amdhsa_accum_offset 44
		.amdhsa_reserve_vcc 1
		.amdhsa_float_round_mode_32 0
		.amdhsa_float_round_mode_16_64 0
		.amdhsa_float_denorm_mode_32 3
		.amdhsa_float_denorm_mode_16_64 3
		.amdhsa_dx10_clamp 1
		.amdhsa_ieee_mode 1
		.amdhsa_fp16_overflow 0
		.amdhsa_tg_split 0
		.amdhsa_exception_fp_ieee_invalid_op 0
		.amdhsa_exception_fp_denorm_src 0
		.amdhsa_exception_fp_ieee_div_zero 0
		.amdhsa_exception_fp_ieee_overflow 0
		.amdhsa_exception_fp_ieee_underflow 0
		.amdhsa_exception_fp_ieee_inexact 0
		.amdhsa_exception_int_div_zero 0
	.end_amdhsa_kernel
	.section	.text._ZN9rocsparseL18bsric0_9_16_kernelILi64ELi128ELi16E21rocsparse_complex_numIfEEEv20rocsparse_direction_iiPKiS5_PT2_S5_PiS5_S8_21rocsparse_index_base_,"axG",@progbits,_ZN9rocsparseL18bsric0_9_16_kernelILi64ELi128ELi16E21rocsparse_complex_numIfEEEv20rocsparse_direction_iiPKiS5_PT2_S5_PiS5_S8_21rocsparse_index_base_,comdat
.Lfunc_end55:
	.size	_ZN9rocsparseL18bsric0_9_16_kernelILi64ELi128ELi16E21rocsparse_complex_numIfEEEv20rocsparse_direction_iiPKiS5_PT2_S5_PiS5_S8_21rocsparse_index_base_, .Lfunc_end55-_ZN9rocsparseL18bsric0_9_16_kernelILi64ELi128ELi16E21rocsparse_complex_numIfEEEv20rocsparse_direction_iiPKiS5_PT2_S5_PiS5_S8_21rocsparse_index_base_
                                        ; -- End function
	.set _ZN9rocsparseL18bsric0_9_16_kernelILi64ELi128ELi16E21rocsparse_complex_numIfEEEv20rocsparse_direction_iiPKiS5_PT2_S5_PiS5_S8_21rocsparse_index_base_.num_vgpr, 44
	.set _ZN9rocsparseL18bsric0_9_16_kernelILi64ELi128ELi16E21rocsparse_complex_numIfEEEv20rocsparse_direction_iiPKiS5_PT2_S5_PiS5_S8_21rocsparse_index_base_.num_agpr, 0
	.set _ZN9rocsparseL18bsric0_9_16_kernelILi64ELi128ELi16E21rocsparse_complex_numIfEEEv20rocsparse_direction_iiPKiS5_PT2_S5_PiS5_S8_21rocsparse_index_base_.numbered_sgpr, 58
	.set _ZN9rocsparseL18bsric0_9_16_kernelILi64ELi128ELi16E21rocsparse_complex_numIfEEEv20rocsparse_direction_iiPKiS5_PT2_S5_PiS5_S8_21rocsparse_index_base_.num_named_barrier, 0
	.set _ZN9rocsparseL18bsric0_9_16_kernelILi64ELi128ELi16E21rocsparse_complex_numIfEEEv20rocsparse_direction_iiPKiS5_PT2_S5_PiS5_S8_21rocsparse_index_base_.private_seg_size, 0
	.set _ZN9rocsparseL18bsric0_9_16_kernelILi64ELi128ELi16E21rocsparse_complex_numIfEEEv20rocsparse_direction_iiPKiS5_PT2_S5_PiS5_S8_21rocsparse_index_base_.uses_vcc, 1
	.set _ZN9rocsparseL18bsric0_9_16_kernelILi64ELi128ELi16E21rocsparse_complex_numIfEEEv20rocsparse_direction_iiPKiS5_PT2_S5_PiS5_S8_21rocsparse_index_base_.uses_flat_scratch, 0
	.set _ZN9rocsparseL18bsric0_9_16_kernelILi64ELi128ELi16E21rocsparse_complex_numIfEEEv20rocsparse_direction_iiPKiS5_PT2_S5_PiS5_S8_21rocsparse_index_base_.has_dyn_sized_stack, 0
	.set _ZN9rocsparseL18bsric0_9_16_kernelILi64ELi128ELi16E21rocsparse_complex_numIfEEEv20rocsparse_direction_iiPKiS5_PT2_S5_PiS5_S8_21rocsparse_index_base_.has_recursion, 0
	.set _ZN9rocsparseL18bsric0_9_16_kernelILi64ELi128ELi16E21rocsparse_complex_numIfEEEv20rocsparse_direction_iiPKiS5_PT2_S5_PiS5_S8_21rocsparse_index_base_.has_indirect_call, 0
	.section	.AMDGPU.csdata,"",@progbits
; Kernel info:
; codeLenInByte = 5040
; TotalNumSgprs: 64
; NumVgprs: 44
; NumAgprs: 0
; TotalNumVgprs: 44
; ScratchSize: 0
; MemoryBound: 0
; FloatMode: 240
; IeeeMode: 1
; LDSByteSize: 10240 bytes/workgroup (compile time only)
; SGPRBlocks: 12
; VGPRBlocks: 12
; NumSGPRsForWavesPerEU: 102
; NumVGPRsForWavesPerEU: 97
; AccumOffset: 44
; Occupancy: 4
; WaveLimiterHint : 1
; COMPUTE_PGM_RSRC2:SCRATCH_EN: 0
; COMPUTE_PGM_RSRC2:USER_SGPR: 2
; COMPUTE_PGM_RSRC2:TRAP_HANDLER: 0
; COMPUTE_PGM_RSRC2:TGID_X_EN: 1
; COMPUTE_PGM_RSRC2:TGID_Y_EN: 0
; COMPUTE_PGM_RSRC2:TGID_Z_EN: 0
; COMPUTE_PGM_RSRC2:TIDIG_COMP_CNT: 1
; COMPUTE_PGM_RSRC3_GFX90A:ACCUM_OFFSET: 10
; COMPUTE_PGM_RSRC3_GFX90A:TG_SPLIT: 0
	.section	.text._ZN9rocsparseL19bsric0_17_32_kernelILi64ELi128ELi32E21rocsparse_complex_numIfEEEv20rocsparse_direction_iiPKiS5_PT2_S5_PiS5_S8_21rocsparse_index_base_,"axG",@progbits,_ZN9rocsparseL19bsric0_17_32_kernelILi64ELi128ELi32E21rocsparse_complex_numIfEEEv20rocsparse_direction_iiPKiS5_PT2_S5_PiS5_S8_21rocsparse_index_base_,comdat
	.globl	_ZN9rocsparseL19bsric0_17_32_kernelILi64ELi128ELi32E21rocsparse_complex_numIfEEEv20rocsparse_direction_iiPKiS5_PT2_S5_PiS5_S8_21rocsparse_index_base_ ; -- Begin function _ZN9rocsparseL19bsric0_17_32_kernelILi64ELi128ELi32E21rocsparse_complex_numIfEEEv20rocsparse_direction_iiPKiS5_PT2_S5_PiS5_S8_21rocsparse_index_base_
	.p2align	8
	.type	_ZN9rocsparseL19bsric0_17_32_kernelILi64ELi128ELi32E21rocsparse_complex_numIfEEEv20rocsparse_direction_iiPKiS5_PT2_S5_PiS5_S8_21rocsparse_index_base_,@function
_ZN9rocsparseL19bsric0_17_32_kernelILi64ELi128ELi32E21rocsparse_complex_numIfEEEv20rocsparse_direction_iiPKiS5_PT2_S5_PiS5_S8_21rocsparse_index_base_: ; @_ZN9rocsparseL19bsric0_17_32_kernelILi64ELi128ELi32E21rocsparse_complex_numIfEEEv20rocsparse_direction_iiPKiS5_PT2_S5_PiS5_S8_21rocsparse_index_base_
; %bb.0:
	s_load_dwordx8 s[12:19], s[0:1], 0x28
	s_mov_b32 s3, 0
	s_lshl_b64 s[2:3], s[2:3], 2
	v_and_b32_e32 v1, 0x3ff, v0
	v_bfe_u32 v0, v0, 10, 10
	s_waitcnt lgkmcnt(0)
	s_add_u32 s2, s16, s2
	s_addc_u32 s3, s17, s3
	s_load_dword s24, s[2:3], 0x0
	s_waitcnt lgkmcnt(0)
	s_ashr_i32 s25, s24, 31
	s_lshl_b64 s[16:17], s[24:25], 2
	s_add_u32 s2, s12, s16
	s_addc_u32 s3, s13, s17
	s_load_dword s33, s[2:3], 0x0
	s_load_dword s25, s[0:1], 0x48
	s_waitcnt lgkmcnt(0)
	s_cmp_lg_u32 s33, -1
	s_cbranch_scc0 .LBB56_138
; %bb.1:
	s_load_dwordx4 s[20:23], s[0:1], 0x10
	s_load_dwordx2 s[26:27], s[0:1], 0x20
	v_lshlrev_b32_e32 v2, 1, v0
	v_lshlrev_b32_e32 v17, 3, v0
	s_waitcnt lgkmcnt(0)
	s_add_u32 s2, s20, s16
	s_addc_u32 s3, s21, s17
	s_load_dword s2, s[2:3], 0x0
	s_waitcnt lgkmcnt(0)
	s_sub_i32 s52, s2, s25
	v_add3_u32 v2, v2, v1, s52
	v_cmp_ge_i32_e32 vcc, s33, v2
	s_and_saveexec_b64 s[2:3], vcc
	s_cbranch_execz .LBB56_4
; %bb.2:
	v_lshlrev_b32_e32 v3, 2, v1
	s_movk_i32 s4, 0x6700
	v_add3_u32 v4, v17, v3, s4
	s_mov_b64 s[4:5], 0
.LBB56_3:                               ; =>This Inner Loop Header: Depth=1
	v_ashrrev_i32_e32 v3, 31, v2
	v_lshl_add_u64 v[6:7], v[2:3], 2, s[22:23]
	global_load_dword v3, v[6:7], off
	v_add_u32_e32 v2, 64, v2
	v_cmp_lt_i32_e32 vcc, s33, v2
	s_or_b64 s[4:5], vcc, s[4:5]
	s_waitcnt vmcnt(0)
	v_subrev_u32_e32 v3, s25, v3
	ds_write_b32 v4, v3
	v_add_u32_e32 v4, 0x100, v4
	s_andn2_b64 exec, exec, s[4:5]
	s_cbranch_execnz .LBB56_3
.LBB56_4:
	s_or_b64 exec, exec, s[2:3]
	v_cmp_gt_u32_e32 vcc, 32, v1
	v_lshlrev_b32_e32 v16, 3, v1
	s_and_saveexec_b64 s[2:3], vcc
	s_cbranch_execz .LBB56_7
; %bb.5:
	v_mul_u32_u24_e32 v3, 0x108, v0
	v_lshlrev_b32_e32 v4, 3, v1
	s_movk_i32 s4, 0x4200
	v_add3_u32 v3, v3, v4, s4
	v_mov_b32_e32 v4, 0
	v_add_u32_e32 v2, -2, v1
	s_mov_b64 s[4:5], 0
	v_mov_b32_e32 v5, v4
.LBB56_6:                               ; =>This Inner Loop Header: Depth=1
	v_add_u32_e32 v2, 2, v2
	v_cmp_lt_u32_e32 vcc, 29, v2
	ds_write_b64 v3, v[4:5]
	s_or_b64 s[4:5], vcc, s[4:5]
	v_add_u32_e32 v3, 16, v3
	s_andn2_b64 exec, exec, s[4:5]
	s_cbranch_execnz .LBB56_6
.LBB56_7:
	s_or_b64 exec, exec, s[2:3]
	s_load_dword s50, s[0:1], 0x8
	s_load_dword s51, s[0:1], 0x0
	s_cmp_ge_i32 s52, s33
	s_waitcnt lgkmcnt(0)
	v_cmp_gt_i32_e64 s[0:1], s50, v1
	v_xad_u32 v18, v1, -1, s50
	s_cbranch_scc1 .LBB56_86
; %bb.8:
	v_or_b32_e32 v3, v1, v0
	v_cmp_ne_u32_e64 s[4:5], 0, v3
	v_lshrrev_b32_e32 v3, 1, v18
	s_cmp_eq_u32 s51, 0
	s_movk_i32 s10, 0x108
	v_mov_b32_e32 v2, 0x2100
	v_add_u32_e32 v3, 1, v3
	s_cselect_b64 s[28:29], -1, 0
	s_cmp_lg_u32 s51, 0
	v_mad_u32_u24 v20, v0, s10, v2
	v_and_b32_e32 v22, -2, v3
	v_lshlrev_b32_e32 v24, 3, v1
	s_mul_i32 s11, s50, s52
	v_mad_u32_u24 v29, v1, s10, v2
	v_mov_b32_e32 v2, 0x4200
	s_cselect_b64 s[30:31], -1, 0
	s_cmp_gt_i32 s50, 0
	v_lshl_add_u32 v23, v22, 1, v1
	v_cmp_ne_u32_e64 s[8:9], v3, v22
	v_mad_u32_u24 v25, v0, s10, v24
	v_add_u32_e32 v3, s11, v0
	v_mad_u32_u24 v31, v0, s10, v2
	v_mov_b32_e32 v2, 0
	s_mul_i32 s53, s50, s50
	v_cmp_gt_i32_e64 s[2:3], s50, v0
	v_mul_u32_u24_e32 v19, 0x108, v0
	v_mul_lo_u32 v21, s50, v0
	s_cselect_b64 s[34:35], -1, 0
	v_cmp_lt_u32_e64 s[6:7], 1, v18
	v_mul_lo_u32 v27, s50, v3
	v_mul_lo_u32 v26, v1, s50
	s_lshl_b32 s54, s50, 1
	v_mul_u32_u24_e32 v28, 0x108, v1
	v_add_u32_e32 v30, 0x4200, v25
	v_add_u32_e32 v32, 0x2100, v25
	v_lshlrev_b32_e32 v33, 3, v23
	v_mul_lo_u32 v34, v23, s10
	v_mov_b32_e32 v4, 0
	v_mov_b32_e32 v5, v2
	s_mov_b32 s36, s52
	s_branch .LBB56_10
.LBB56_9:                               ;   in Loop: Header=BB56_10 Depth=1
	s_or_b64 exec, exec, s[10:11]
	s_add_i32 s36, s36, 1
	s_cmp_ge_i32 s36, s33
	buffer_wbl2 sc1
	s_waitcnt vmcnt(0)
	buffer_inv sc1
	v_add_u32_e32 v27, s53, v27
	s_cselect_b64 s[10:11], -1, 0
	s_and_b64 vcc, exec, s[10:11]
	s_cbranch_vccnz .LBB56_86
.LBB56_10:                              ; =>This Loop Header: Depth=1
                                        ;     Child Loop BB56_14 Depth 2
                                        ;     Child Loop BB56_26 Depth 2
	;; [unrolled: 1-line block ×4, first 2 shown]
                                        ;       Child Loop BB56_43 Depth 3
                                        ;         Child Loop BB56_48 Depth 4
                                        ;     Child Loop BB56_57 Depth 2
                                        ;       Child Loop BB56_64 Depth 3
                                        ;       Child Loop BB56_69 Depth 3
	;; [unrolled: 1-line block ×3, first 2 shown]
                                        ;     Child Loop BB56_80 Depth 2
	s_ashr_i32 s37, s36, 31
	s_lshl_b64 s[10:11], s[36:37], 2
	s_add_u32 s10, s22, s10
	s_addc_u32 s11, s23, s11
	s_load_dword s55, s[10:11], 0x0
	s_waitcnt lgkmcnt(0)
	s_sub_i32 s38, s55, s25
	s_ashr_i32 s39, s38, 31
	s_lshl_b64 s[10:11], s[38:39], 2
	s_add_u32 s40, s12, s10
	s_addc_u32 s41, s13, s11
	s_load_dword s56, s[40:41], 0x0
	s_waitcnt lgkmcnt(0)
	s_cmp_eq_u32 s56, -1
	s_cbranch_scc1 .LBB56_85
; %bb.11:                               ;   in Loop: Header=BB56_10 Depth=1
	s_add_u32 s40, s20, s10
	s_addc_u32 s41, s21, s11
	s_load_dword s39, s[40:41], 0x0
	s_mul_i32 s37, s36, s50
	s_and_saveexec_b64 s[40:41], s[0:1]
	s_cbranch_execz .LBB56_24
; %bb.12:                               ;   in Loop: Header=BB56_10 Depth=1
	s_mov_b64 s[42:43], 0
	v_mov_b32_e32 v3, v25
	v_mov_b32_e32 v8, v1
	s_branch .LBB56_14
.LBB56_13:                              ;   in Loop: Header=BB56_14 Depth=2
	s_or_b64 exec, exec, s[46:47]
	v_add_u32_e32 v8, 2, v8
	v_cmp_le_i32_e32 vcc, s50, v8
	s_waitcnt vmcnt(0)
	ds_write_b64 v3, v[10:11] offset:8448
	ds_write_b64 v3, v[4:5]
	s_or_b64 s[42:43], vcc, s[42:43]
	v_add_u32_e32 v3, 16, v3
	s_andn2_b64 exec, exec, s[42:43]
	s_cbranch_execz .LBB56_24
.LBB56_14:                              ;   Parent Loop BB56_10 Depth=1
                                        ; =>  This Inner Loop Header: Depth=2
	s_mov_b64 s[46:47], -1
	s_and_b64 vcc, exec, s[30:31]
	s_mov_b64 s[44:45], 0
                                        ; implicit-def: $vgpr6
	s_cbranch_vccz .LBB56_19
; %bb.15:                               ;   in Loop: Header=BB56_14 Depth=2
	s_mov_b64 s[46:47], 0
                                        ; implicit-def: $vgpr6
	s_and_saveexec_b64 s[48:49], s[2:3]
	s_xor_b64 s[48:49], exec, s[48:49]
; %bb.16:                               ;   in Loop: Header=BB56_14 Depth=2
	v_add_u32_e32 v6, s37, v8
	s_mov_b64 s[44:45], exec
	v_mad_u64_u32 v[6:7], s[58:59], v6, s50, v[0:1]
; %bb.17:                               ;   in Loop: Header=BB56_14 Depth=2
	s_or_b64 exec, exec, s[48:49]
	s_and_b64 vcc, exec, s[46:47]
	s_cbranch_vccnz .LBB56_20
.LBB56_18:                              ;   in Loop: Header=BB56_14 Depth=2
	v_mov_b32_e32 v10, 0
	v_mov_b32_e32 v11, 0
	s_and_saveexec_b64 s[46:47], s[44:45]
	s_cbranch_execz .LBB56_13
	s_branch .LBB56_23
.LBB56_19:                              ;   in Loop: Header=BB56_14 Depth=2
	s_and_b64 vcc, exec, s[46:47]
	s_cbranch_vccz .LBB56_18
.LBB56_20:                              ;   in Loop: Header=BB56_14 Depth=2
                                        ; implicit-def: $vgpr6
	s_and_saveexec_b64 s[46:47], s[2:3]
; %bb.21:                               ;   in Loop: Header=BB56_14 Depth=2
	v_add_u32_e32 v6, v27, v8
	s_or_b64 s[44:45], s[44:45], exec
; %bb.22:                               ;   in Loop: Header=BB56_14 Depth=2
	s_or_b64 exec, exec, s[46:47]
	v_mov_b32_e32 v10, 0
	v_mov_b32_e32 v11, 0
	s_and_saveexec_b64 s[46:47], s[44:45]
	s_cbranch_execz .LBB56_13
.LBB56_23:                              ;   in Loop: Header=BB56_14 Depth=2
	v_ashrrev_i32_e32 v7, 31, v6
	v_lshl_add_u64 v[6:7], v[6:7], 3, s[26:27]
	global_load_dwordx2 v[10:11], v[6:7], off
	s_branch .LBB56_13
.LBB56_24:                              ;   in Loop: Header=BB56_10 Depth=1
	s_or_b64 exec, exec, s[40:41]
	ds_read_b32 v3, v2 offset:26368
	s_waitcnt lgkmcnt(0)
	s_sub_i32 s40, s39, s25
	s_cmp_le_i32 s40, s56
	s_cselect_b64 s[42:43], -1, 0
	s_mov_b32 s41, 0
	v_cmp_ge_i32_e32 vcc, s38, v3
	s_and_b64 s[42:43], s[42:43], vcc
	s_andn2_b64 vcc, exec, s[42:43]
	s_cbranch_vccnz .LBB56_36
; %bb.25:                               ;   in Loop: Header=BB56_10 Depth=1
	s_mov_b32 s39, 0
	s_mov_b32 s44, 0
.LBB56_26:                              ;   Parent Loop BB56_10 Depth=1
                                        ; =>  This Inner Loop Header: Depth=2
	s_ashr_i32 s41, s40, 31
	s_lshl_b64 s[42:43], s[40:41], 2
	s_add_u32 s42, s22, s42
	s_addc_u32 s43, s23, s43
	s_load_dword s41, s[42:43], 0x0
	s_lshl_b32 s42, s44, 2
	v_mov_b32_e32 v3, s42
	ds_read_b32 v3, v3 offset:26368
	s_mov_b64 s[42:43], -1
	s_waitcnt lgkmcnt(0)
	s_sub_i32 s48, s41, s25
                                        ; implicit-def: $sgpr41
                                        ; implicit-def: $sgpr47
                                        ; implicit-def: $sgpr46
	v_cmp_ge_i32_e32 vcc, s48, v3
	v_readfirstlane_b32 s45, v3
	s_cbranch_vccz .LBB56_32
; %bb.27:                               ;   in Loop: Header=BB56_26 Depth=2
	s_cmp_le_i32 s48, s45
                                        ; implicit-def: $sgpr41
                                        ; implicit-def: $sgpr47
                                        ; implicit-def: $sgpr46
	s_cbranch_scc0 .LBB56_29
; %bb.28:                               ;   in Loop: Header=BB56_26 Depth=2
	s_add_i32 s41, s44, s52
	s_mul_i32 s41, s41, s53
	s_lshl_b32 s42, s39, 2
	v_mov_b32_e32 v6, s41
	s_mul_i32 s41, s40, s53
	v_mov_b32_e32 v3, s42
	v_mov_b32_e32 v7, s41
	ds_write2st64_b32 v3, v7, v6 offset0:99 offset1:101
	s_add_i32 s46, s44, 1
	s_add_i32 s47, s40, 1
	;; [unrolled: 1-line block ×3, first 2 shown]
	s_mov_b64 s[42:43], 0
.LBB56_29:                              ;   in Loop: Header=BB56_26 Depth=2
	s_andn2_b64 vcc, exec, s[42:43]
	s_cbranch_vccnz .LBB56_31
; %bb.30:                               ;   in Loop: Header=BB56_26 Depth=2
	s_add_i32 s46, s44, 1
	s_mov_b32 s41, s39
	s_mov_b32 s47, s40
.LBB56_31:                              ;   in Loop: Header=BB56_26 Depth=2
	s_mov_b64 s[42:43], 0
.LBB56_32:                              ;   in Loop: Header=BB56_26 Depth=2
	s_andn2_b64 vcc, exec, s[42:43]
	s_cbranch_vccnz .LBB56_34
; %bb.33:                               ;   in Loop: Header=BB56_26 Depth=2
	s_add_i32 s47, s40, 1
	s_mov_b32 s46, s44
	s_mov_b32 s41, s39
.LBB56_34:                              ;   in Loop: Header=BB56_26 Depth=2
	s_cmp_le_i32 s47, s56
	s_cselect_b64 s[42:43], -1, 0
	s_cmp_le_i32 s45, s38
	s_cselect_b64 s[44:45], -1, 0
	s_and_b64 s[42:43], s[42:43], s[44:45]
	s_and_b64 vcc, exec, s[42:43]
	s_cbranch_vccz .LBB56_36
; %bb.35:                               ;   in Loop: Header=BB56_26 Depth=2
	s_mov_b32 s39, s41
	s_mov_b32 s40, s47
	;; [unrolled: 1-line block ×3, first 2 shown]
	s_branch .LBB56_26
.LBB56_36:                              ;   in Loop: Header=BB56_10 Depth=1
	s_add_u32 s10, s14, s10
	s_addc_u32 s11, s15, s11
	s_waitcnt lgkmcnt(0)
.LBB56_37:                              ;   Parent Loop BB56_10 Depth=1
                                        ; =>  This Inner Loop Header: Depth=2
	global_load_dword v3, v2, s[10:11] sc1
	s_waitcnt vmcnt(0)
	v_cmp_eq_u32_e32 vcc, 0, v3
	s_cbranch_vccnz .LBB56_37
; %bb.38:                               ;   in Loop: Header=BB56_10 Depth=1
	s_cmp_lt_i32 s41, 2
	buffer_inv sc1
	s_cbranch_scc1 .LBB56_54
; %bb.39:                               ;   in Loop: Header=BB56_10 Depth=1
	s_add_i32 s42, s41, -2
	s_mov_b32 s43, 0
	s_branch .LBB56_41
.LBB56_40:                              ;   in Loop: Header=BB56_41 Depth=2
	s_or_b64 exec, exec, s[10:11]
	s_add_i32 s10, s43, 1
	s_cmp_eq_u32 s43, s42
	s_mov_b32 s43, s10
	s_cbranch_scc1 .LBB56_54
.LBB56_41:                              ;   Parent Loop BB56_10 Depth=1
                                        ; =>  This Loop Header: Depth=2
                                        ;       Child Loop BB56_43 Depth 3
                                        ;         Child Loop BB56_48 Depth 4
	s_and_saveexec_b64 s[10:11], s[0:1]
	s_cbranch_execz .LBB56_40
; %bb.42:                               ;   in Loop: Header=BB56_41 Depth=2
	s_lshl_b32 s38, s43, 2
	v_mov_b32_e32 v3, s38
	ds_read2st64_b32 v[6:7], v3 offset0:99 offset1:101
	s_mov_b64 s[38:39], 0
	v_mov_b32_e32 v39, v1
	s_waitcnt lgkmcnt(0)
	v_add_u32_e32 v35, v7, v21
	v_add_u32_e32 v36, v0, v7
	;; [unrolled: 1-line block ×4, first 2 shown]
.LBB56_43:                              ;   Parent Loop BB56_10 Depth=1
                                        ;     Parent Loop BB56_41 Depth=2
                                        ; =>    This Loop Header: Depth=3
                                        ;         Child Loop BB56_48 Depth 4
	v_mov_b32_e32 v3, v2
	s_mov_b32 s44, 0
	v_mov_b32_e32 v6, v37
	v_mov_b32_e32 v8, v36
	v_mov_b64_e32 v[10:11], v[2:3]
	s_mov_b64 s[40:41], -1
	s_and_b64 vcc, exec, s[30:31]
                                        ; implicit-def: $vgpr12_vgpr13
	s_cbranch_vccz .LBB56_48
	s_branch .LBB56_45
.LBB56_44:                              ;   in Loop: Header=BB56_48 Depth=4
	v_mov_b64_e32 v[10:11], v[12:13]
	s_mov_b64 s[40:41], -1
	s_and_b64 vcc, exec, s[30:31]
                                        ; implicit-def: $vgpr12_vgpr13
	s_cbranch_vccz .LBB56_48
.LBB56_45:                              ;   in Loop: Header=BB56_43 Depth=3
	v_ashrrev_i32_e32 v7, 31, v6
	v_lshl_add_u64 v[12:13], v[6:7], 3, s[26:27]
	global_load_dwordx2 v[12:13], v[12:13], off
	v_mov_b32_e32 v14, 0
	v_mov_b32_e32 v15, 0
	s_and_saveexec_b64 s[40:41], s[2:3]
	s_cbranch_execz .LBB56_47
; %bb.46:                               ;   in Loop: Header=BB56_43 Depth=3
	v_ashrrev_i32_e32 v9, 31, v8
	v_lshl_add_u64 v[14:15], v[8:9], 3, s[26:27]
	global_load_dwordx2 v[14:15], v[14:15], off
.LBB56_47:                              ;   in Loop: Header=BB56_43 Depth=3
	s_or_b64 exec, exec, s[40:41]
	s_waitcnt vmcnt(0)
	v_pk_add_f32 v[42:43], v[14:15], 0 neg_lo:[1,1] neg_hi:[1,1]
	v_pk_fma_f32 v[40:41], v[12:13], v[14:15], v[10:11] op_sel_hi:[1,0,1]
	v_mov_b32_e32 v42, v15
	v_pk_fma_f32 v[12:13], v[12:13], v[42:43], v[40:41] op_sel:[1,0,0] op_sel_hi:[0,1,1]
	s_mov_b64 s[40:41], 0
.LBB56_48:                              ;   Parent Loop BB56_10 Depth=1
                                        ;     Parent Loop BB56_41 Depth=2
                                        ;       Parent Loop BB56_43 Depth=3
                                        ; =>      This Inner Loop Header: Depth=4
	s_and_b64 vcc, exec, s[40:41]
	s_cbranch_vccz .LBB56_52
; %bb.49:                               ;   in Loop: Header=BB56_48 Depth=4
	v_add_u32_e32 v12, s44, v38
	v_ashrrev_i32_e32 v13, 31, v12
	v_lshl_add_u64 v[12:13], v[12:13], 3, s[26:27]
	global_load_dwordx2 v[12:13], v[12:13], off
	v_mov_b32_e32 v14, 0
	v_mov_b32_e32 v15, 0
	s_and_saveexec_b64 s[40:41], s[2:3]
	s_cbranch_execz .LBB56_51
; %bb.50:                               ;   in Loop: Header=BB56_48 Depth=4
	v_add_u32_e32 v14, s44, v35
	v_ashrrev_i32_e32 v15, 31, v14
	v_lshl_add_u64 v[14:15], v[14:15], 3, s[26:27]
	global_load_dwordx2 v[14:15], v[14:15], off
.LBB56_51:                              ;   in Loop: Header=BB56_48 Depth=4
	s_or_b64 exec, exec, s[40:41]
	s_waitcnt vmcnt(0)
	v_pk_add_f32 v[40:41], v[14:15], 0 neg_lo:[1,1] neg_hi:[1,1]
	v_pk_fma_f32 v[10:11], v[12:13], v[14:15], v[10:11] op_sel_hi:[1,0,1]
	v_mov_b32_e32 v40, v15
	v_pk_fma_f32 v[12:13], v[12:13], v[40:41], v[10:11] op_sel:[1,0,0] op_sel_hi:[0,1,1]
.LBB56_52:                              ;   in Loop: Header=BB56_48 Depth=4
	s_add_i32 s44, s44, 1
	v_add_u32_e32 v8, s50, v8
	s_cmp_eq_u32 s50, s44
	v_add_u32_e32 v6, s50, v6
	s_cbranch_scc0 .LBB56_44
; %bb.53:                               ;   in Loop: Header=BB56_43 Depth=3
	v_lshl_add_u32 v3, v39, 3, v19
	ds_read_b64 v[6:7], v3
	v_add_u32_e32 v39, 2, v39
	v_cmp_le_i32_e32 vcc, s50, v39
	v_add_u32_e32 v37, 2, v37
	s_or_b64 s[38:39], vcc, s[38:39]
	s_waitcnt lgkmcnt(0)
	v_pk_add_f32 v[6:7], v[12:13], v[6:7]
	v_add_u32_e32 v38, s54, v38
	ds_write_b64 v3, v[6:7]
	s_andn2_b64 exec, exec, s[38:39]
	s_cbranch_execnz .LBB56_43
	s_branch .LBB56_40
.LBB56_54:                              ;   in Loop: Header=BB56_10 Depth=1
	s_andn2_b64 vcc, exec, s[34:35]
	s_waitcnt lgkmcnt(0)
	s_cbranch_vccnz .LBB56_76
; %bb.55:                               ;   in Loop: Header=BB56_10 Depth=1
	s_mul_i32 s44, s53, s56
	s_mov_b32 s45, 0
	v_mov_b32_e32 v15, s55
	v_mov_b32_e32 v3, v29
	s_mov_b32 s46, s44
	s_mov_b32 s47, 0
	s_branch .LBB56_57
.LBB56_56:                              ;   in Loop: Header=BB56_57 Depth=2
	s_or_b64 exec, exec, s[10:11]
	s_add_i32 s47, s47, 1
	s_add_i32 s46, s46, 1
	;; [unrolled: 1-line block ×3, first 2 shown]
	s_cmp_eq_u32 s47, s50
	v_add_u32_e32 v3, 8, v3
	s_waitcnt lgkmcnt(0)
	s_cbranch_scc1 .LBB56_76
.LBB56_57:                              ;   Parent Loop BB56_10 Depth=1
                                        ; =>  This Loop Header: Depth=2
                                        ;       Child Loop BB56_64 Depth 3
                                        ;       Child Loop BB56_69 Depth 3
	;; [unrolled: 1-line block ×3, first 2 shown]
	s_mul_i32 s40, s47, s50
	s_add_i32 s40, s40, s44
	s_add_i32 s10, s40, s47
	s_ashr_i32 s11, s10, 31
	s_lshl_b64 s[10:11], s[10:11], 3
	s_add_u32 s10, s26, s10
	s_addc_u32 s11, s27, s11
	global_load_dwordx2 v[10:11], v2, s[10:11]
	v_lshl_add_u32 v9, s47, 3, v20
	ds_read_b64 v[6:7], v9
	s_waitcnt vmcnt(0)
	v_cmp_neq_f32_e32 vcc, 0, v10
	v_cmp_neq_f32_e64 s[10:11], 0, v11
	s_or_b64 vcc, vcc, s[10:11]
	v_cndmask_b32_e32 v8, 1.0, v10, vcc
	s_nor_b64 s[38:39], vcc, s[4:5]
	v_cndmask_b32_e32 v10, 0, v11, vcc
	s_and_saveexec_b64 s[10:11], s[38:39]
	s_cbranch_execz .LBB56_61
; %bb.58:                               ;   in Loop: Header=BB56_57 Depth=2
	v_mbcnt_lo_u32_b32 v8, exec_lo, 0
	v_mbcnt_hi_u32_b32 v8, exec_hi, v8
	v_cmp_eq_u32_e32 vcc, 0, v8
	s_and_saveexec_b64 s[38:39], vcc
	s_cbranch_execz .LBB56_60
; %bb.59:                               ;   in Loop: Header=BB56_57 Depth=2
	global_atomic_smin v2, v15, s[18:19]
.LBB56_60:                              ;   in Loop: Header=BB56_57 Depth=2
	s_or_b64 exec, exec, s[38:39]
	v_mov_b32_e32 v10, 0
	v_mov_b32_e32 v8, 1.0
.LBB56_61:                              ;   in Loop: Header=BB56_57 Depth=2
	s_or_b64 exec, exec, s[10:11]
	v_lshl_add_u32 v11, s47, 3, v19
	ds_read_b64 v[12:13], v11
	s_cmp_eq_u32 s47, 0
	s_cbranch_scc1 .LBB56_66
; %bb.62:                               ;   in Loop: Header=BB56_57 Depth=2
	s_mov_b32 s38, 0
	s_mov_b32 s39, s47
	;; [unrolled: 1-line block ×3, first 2 shown]
	v_mov_b32_e32 v11, v20
	s_branch .LBB56_64
.LBB56_63:                              ;   in Loop: Header=BB56_64 Depth=3
	s_ashr_i32 s11, s10, 31
	s_lshl_b64 s[10:11], s[10:11], 3
	s_add_u32 s10, s26, s10
	s_addc_u32 s11, s27, s11
	global_load_dwordx2 v[36:37], v2, s[10:11]
	ds_read_b64 v[38:39], v11
	s_add_i32 s38, s38, 1
	s_add_i32 s41, s41, s50
	s_add_i32 s39, s39, -1
	s_cmp_eq_u32 s39, 0
	v_add_u32_e32 v11, 8, v11
	s_waitcnt vmcnt(0) lgkmcnt(0)
	v_pk_fma_f32 v[12:13], v[36:37], v[38:39], v[12:13] op_sel_hi:[1,0,1]
	s_nop 0
	v_pk_fma_f32 v[12:13], v[36:37], v[38:39], v[12:13] op_sel:[1,1,0] op_sel_hi:[0,1,1] neg_hi:[0,1,0]
	s_cbranch_scc1 .LBB56_66
.LBB56_64:                              ;   Parent Loop BB56_10 Depth=1
                                        ;     Parent Loop BB56_57 Depth=2
                                        ; =>    This Inner Loop Header: Depth=3
	s_andn2_b64 vcc, exec, s[28:29]
	s_mov_b32 s10, s41
	s_cbranch_vccnz .LBB56_63
; %bb.65:                               ;   in Loop: Header=BB56_64 Depth=3
	s_add_i32 s10, s38, s40
	s_branch .LBB56_63
.LBB56_66:                              ;   in Loop: Header=BB56_57 Depth=2
	v_mul_f32_e32 v11, v10, v10
	v_fmac_f32_e32 v11, v8, v8
	v_div_scale_f32 v14, s[10:11], v11, v11, 1.0
	v_rcp_f32_e32 v35, v14
	v_div_scale_f32 v36, vcc, 1.0, v11, 1.0
	s_waitcnt lgkmcnt(0)
	v_pk_add_f32 v[6:7], v[6:7], v[12:13] neg_lo:[0,1] neg_hi:[0,1]
	v_fma_f32 v37, -v14, v35, 1.0
	v_fmac_f32_e32 v35, v37, v35
	v_mul_f32_e32 v37, v36, v35
	v_fma_f32 v38, -v14, v37, v36
	v_fmac_f32_e32 v37, v38, v35
	v_fma_f32 v14, -v14, v37, v36
	v_div_fmas_f32 v14, v14, v35, v37
	v_xor_b32_e32 v13, 0x80000000, v6
	v_mov_b32_e32 v12, v7
	v_div_fixup_f32 v14, v14, v11, 1.0
	v_pk_mul_f32 v[10:11], v[10:11], v[12:13] op_sel_hi:[0,1]
	v_pk_fma_f32 v[6:7], v[6:7], v[8:9], v[10:11] op_sel_hi:[1,0,1]
	s_nop 0
	v_pk_mul_f32 v[6:7], v[14:15], v[6:7] op_sel_hi:[0,1]
	ds_write_b64 v9, v[6:7]
	s_waitcnt lgkmcnt(0)
	s_and_saveexec_b64 s[10:11], s[0:1]
	s_cbranch_execz .LBB56_56
; %bb.67:                               ;   in Loop: Header=BB56_57 Depth=2
	s_mov_b64 s[40:41], -1
	v_mov_b32_e32 v8, v1
	v_mov_b32_e32 v9, v24
	;; [unrolled: 1-line block ×3, first 2 shown]
	s_and_saveexec_b64 s[38:39], s[6:7]
	s_cbranch_execz .LBB56_73
; %bb.68:                               ;   in Loop: Header=BB56_57 Depth=2
	v_mov_b32_e32 v8, v6
	v_mov_b32_e32 v9, v6
	;; [unrolled: 1-line block ×4, first 2 shown]
	s_mov_b64 s[40:41], 0
	v_mov_b32_e32 v12, v22
	v_mov_b32_e32 v13, v30
	;; [unrolled: 1-line block ×3, first 2 shown]
.LBB56_69:                              ;   Parent Loop BB56_10 Depth=1
                                        ;     Parent Loop BB56_57 Depth=2
                                        ; =>    This Inner Loop Header: Depth=3
	ds_read2_b64 v[36:39], v14 offset1:66
	ds_read2_b64 v[40:43], v13 offset1:2
	v_add_u32_e32 v12, -2, v12
	v_cmp_eq_u32_e32 vcc, 0, v12
	v_add_u32_e32 v14, 0x420, v14
	s_waitcnt lgkmcnt(1)
	v_mov_b32_e32 v44, v36
	v_mov_b32_e32 v45, v38
	;; [unrolled: 1-line block ×3, first 2 shown]
	s_waitcnt lgkmcnt(0)
	v_mov_b32_e32 v36, v40
	v_mov_b32_e32 v37, v42
	;; [unrolled: 1-line block ×3, first 2 shown]
	v_pk_fma_f32 v[36:37], v[8:9], v[44:45], v[36:37]
	v_pk_fma_f32 v[40:41], v[10:11], v[44:45], v[42:43]
	;; [unrolled: 1-line block ×3, first 2 shown]
	v_pk_fma_f32 v[38:39], v[8:9], v[38:39], v[40:41] neg_lo:[0,1,0] neg_hi:[0,1,0]
	v_mov_b32_e32 v40, v36
	v_mov_b32_e32 v41, v38
	;; [unrolled: 1-line block ×3, first 2 shown]
	ds_write2_b64 v13, v[40:41], v[38:39] offset1:2
	s_or_b64 s[40:41], vcc, s[40:41]
	v_add_u32_e32 v13, 32, v13
	s_andn2_b64 exec, exec, s[40:41]
	s_cbranch_execnz .LBB56_69
; %bb.70:                               ;   in Loop: Header=BB56_57 Depth=2
	s_or_b64 exec, exec, s[40:41]
	s_mov_b64 s[40:41], 0
	s_and_saveexec_b64 s[42:43], s[8:9]
; %bb.71:                               ;   in Loop: Header=BB56_57 Depth=2
	s_mov_b64 s[40:41], exec
; %bb.72:                               ;   in Loop: Header=BB56_57 Depth=2
	s_or_b64 exec, exec, s[42:43]
	s_orn2_b64 s[40:41], s[40:41], exec
	v_mov_b32_e32 v8, v23
	v_mov_b32_e32 v9, v33
	;; [unrolled: 1-line block ×3, first 2 shown]
.LBB56_73:                              ;   in Loop: Header=BB56_57 Depth=2
	s_or_b64 exec, exec, s[38:39]
	s_and_b64 exec, exec, s[40:41]
	s_cbranch_execz .LBB56_56
; %bb.74:                               ;   in Loop: Header=BB56_57 Depth=2
	v_add_u32_e32 v9, v31, v9
	v_add_u32_e32 v10, s45, v10
	s_mov_b64 s[38:39], 0
.LBB56_75:                              ;   Parent Loop BB56_10 Depth=1
                                        ;     Parent Loop BB56_57 Depth=2
                                        ; =>    This Inner Loop Header: Depth=3
	ds_read_b64 v[12:13], v10 offset:8448
	ds_read_b64 v[36:37], v9
	v_add_u32_e32 v8, 2, v8
	v_cmp_le_i32_e32 vcc, s50, v8
	s_or_b64 s[38:39], vcc, s[38:39]
	v_add_u32_e32 v10, 0x210, v10
	s_waitcnt lgkmcnt(0)
	v_pk_fma_f32 v[36:37], v[6:7], v[12:13], v[36:37] op_sel_hi:[1,0,1]
	s_nop 0
	v_pk_fma_f32 v[12:13], v[6:7], v[12:13], v[36:37] op_sel:[0,1,1] op_sel_hi:[1,1,0] neg_lo:[0,1,0]
	s_nop 0
	v_pk_mov_b32 v[12:13], v[12:13], v[12:13] op_sel:[1,0]
	ds_write_b64 v9, v[12:13]
	v_add_u32_e32 v9, 16, v9
	s_andn2_b64 exec, exec, s[38:39]
	s_cbranch_execnz .LBB56_75
	s_branch .LBB56_56
.LBB56_76:                              ;   in Loop: Header=BB56_10 Depth=1
	s_and_saveexec_b64 s[10:11], s[0:1]
	s_cbranch_execz .LBB56_9
; %bb.77:                               ;   in Loop: Header=BB56_10 Depth=1
	s_mov_b64 s[38:39], 0
	v_mov_b32_e32 v3, v32
	v_mov_b32_e32 v8, v1
	s_branch .LBB56_80
.LBB56_78:                              ;   in Loop: Header=BB56_80 Depth=2
	ds_read_b64 v[10:11], v3
	v_ashrrev_i32_e32 v7, 31, v6
	v_lshl_add_u64 v[6:7], v[6:7], 3, s[26:27]
	s_waitcnt lgkmcnt(0)
	global_store_dwordx2 v[6:7], v[10:11], off
.LBB56_79:                              ;   in Loop: Header=BB56_80 Depth=2
	s_or_b64 exec, exec, s[40:41]
	v_add_u32_e32 v8, 2, v8
	v_cmp_le_i32_e32 vcc, s50, v8
	s_or_b64 s[38:39], vcc, s[38:39]
	v_add_u32_e32 v3, 16, v3
	s_andn2_b64 exec, exec, s[38:39]
	s_cbranch_execz .LBB56_9
.LBB56_80:                              ;   Parent Loop BB56_10 Depth=1
                                        ; =>  This Inner Loop Header: Depth=2
	s_and_saveexec_b64 s[40:41], s[2:3]
	s_cbranch_execz .LBB56_79
; %bb.81:                               ;   in Loop: Header=BB56_80 Depth=2
	s_mov_b64 s[42:43], -1
	s_and_b64 vcc, exec, s[30:31]
                                        ; implicit-def: $vgpr6
	s_cbranch_vccz .LBB56_83
; %bb.82:                               ;   in Loop: Header=BB56_80 Depth=2
	v_add_u32_e32 v6, s37, v8
	v_mad_u64_u32 v[6:7], s[42:43], v6, s50, v[0:1]
	s_mov_b64 s[42:43], 0
.LBB56_83:                              ;   in Loop: Header=BB56_80 Depth=2
	s_andn2_b64 vcc, exec, s[42:43]
	s_cbranch_vccnz .LBB56_78
; %bb.84:                               ;   in Loop: Header=BB56_80 Depth=2
	v_add_u32_e32 v6, v27, v8
	s_branch .LBB56_78
.LBB56_85:                              ;   in Loop: Header=BB56_10 Depth=1
                                        ; implicit-def: $sgpr36
                                        ; implicit-def: $vgpr27
	s_cbranch_execz .LBB56_10
.LBB56_86:
	v_cmp_gt_i32_e64 s[0:1], s50, v1
	s_and_saveexec_b64 s[4:5], s[0:1]
	s_cbranch_execz .LBB56_99
; %bb.87:
	s_mul_i32 s22, s33, s50
	v_add_u32_e32 v2, s22, v0
	s_cmp_lg_u32 s51, 0
	v_mul_lo_u32 v4, v2, s50
	v_mul_u32_u24_e32 v2, 0x108, v0
	v_lshlrev_b32_e32 v3, 3, v1
	s_movk_i32 s8, 0x2100
	s_cselect_b64 s[6:7], -1, 0
	v_cmp_gt_i32_e64 s[2:3], s50, v0
	v_add3_u32 v5, v2, v3, s8
	s_mov_b64 s[8:9], 0
	v_mov_b32_e32 v6, v1
	s_branch .LBB56_89
.LBB56_88:                              ;   in Loop: Header=BB56_89 Depth=1
	s_or_b64 exec, exec, s[12:13]
	v_add_u32_e32 v6, 2, v6
	v_cmp_le_i32_e32 vcc, s50, v6
	s_waitcnt vmcnt(0)
	ds_write_b64 v5, v[8:9]
	s_or_b64 s[8:9], vcc, s[8:9]
	v_add_u32_e32 v5, 16, v5
	s_andn2_b64 exec, exec, s[8:9]
	s_cbranch_execz .LBB56_99
.LBB56_89:                              ; =>This Inner Loop Header: Depth=1
	s_and_b64 vcc, exec, s[6:7]
	s_cbranch_vccz .LBB56_96
; %bb.90:                               ;   in Loop: Header=BB56_89 Depth=1
	s_mov_b64 s[12:13], 0
	s_mov_b64 s[10:11], 0
                                        ; implicit-def: $vgpr2
	s_and_saveexec_b64 s[20:21], s[2:3]
	s_xor_b64 s[20:21], exec, s[20:21]
; %bb.91:                               ;   in Loop: Header=BB56_89 Depth=1
	v_add_u32_e32 v2, s22, v6
	s_mov_b64 s[10:11], exec
	v_mad_u64_u32 v[2:3], s[28:29], v2, s50, v[0:1]
; %bb.92:                               ;   in Loop: Header=BB56_89 Depth=1
	s_or_b64 exec, exec, s[20:21]
	s_and_b64 vcc, exec, s[12:13]
	s_cbranch_vccz .LBB56_97
.LBB56_93:                              ;   in Loop: Header=BB56_89 Depth=1
                                        ; implicit-def: $vgpr2
	s_and_saveexec_b64 s[12:13], s[2:3]
; %bb.94:                               ;   in Loop: Header=BB56_89 Depth=1
	v_add_u32_e32 v2, v4, v6
	s_or_b64 s[10:11], s[10:11], exec
; %bb.95:                               ;   in Loop: Header=BB56_89 Depth=1
	s_or_b64 exec, exec, s[12:13]
	v_mov_b32_e32 v8, 0
	v_mov_b32_e32 v9, 0
	s_and_saveexec_b64 s[12:13], s[10:11]
	s_cbranch_execz .LBB56_88
	s_branch .LBB56_98
.LBB56_96:                              ;   in Loop: Header=BB56_89 Depth=1
	s_mov_b64 s[10:11], 0
                                        ; implicit-def: $vgpr2
	s_cbranch_execnz .LBB56_93
.LBB56_97:                              ;   in Loop: Header=BB56_89 Depth=1
	v_mov_b32_e32 v8, 0
	v_mov_b32_e32 v9, 0
	s_and_saveexec_b64 s[12:13], s[10:11]
	s_cbranch_execz .LBB56_88
.LBB56_98:                              ;   in Loop: Header=BB56_89 Depth=1
	v_ashrrev_i32_e32 v3, 31, v2
	v_lshl_add_u64 v[2:3], v[2:3], 3, s[26:27]
	global_load_dwordx2 v[8:9], v[2:3], off
	s_branch .LBB56_88
.LBB56_99:
	s_or_b64 exec, exec, s[4:5]
	s_cmp_lt_i32 s50, 1
	s_waitcnt lgkmcnt(0)
	s_cbranch_scc1 .LBB56_125
; %bb.100:
	v_or_b32_e32 v4, v1, v0
	s_movk_i32 s8, 0x108
	v_cmp_ne_u32_e64 s[2:3], 0, v4
	v_mov_b32_e32 v4, 0x4200
	v_mad_u32_u24 v11, v0, s8, v4
	v_lshrrev_b32_e32 v4, 1, v18
	v_add_u32_e32 v4, 1, v4
	v_mov_b32_e32 v2, 0x2100
	v_and_b32_e32 v14, -2, v4
	v_mad_u32_u24 v10, v0, s8, v2
	v_mul_u32_u24_e32 v3, 0x108, v0
	s_add_i32 s9, s24, s25
	s_movk_i32 s10, 0x4200
	v_lshl_add_u32 v15, v14, 1, v1
	s_mov_b32 s22, 0
	v_add_u32_e32 v12, v10, v17
	v_add_u32_e32 v13, v11, v17
	v_cmp_lt_u32_e64 s[4:5], 1, v18
	v_cmp_ne_u32_e64 s[6:7], v4, v14
	v_mul_u32_u24_e32 v17, 0x108, v1
	v_mad_u32_u24 v18, v1, s8, v2
	v_add3_u32 v19, v3, v16, s10
	s_mov_b32 s23, 0xf800000
	v_mov_b32_e32 v20, 0x260
	v_mov_b32_e32 v3, 0
	;; [unrolled: 1-line block ×3, first 2 shown]
	v_lshlrev_b32_e32 v21, 3, v15
	v_mul_lo_u32 v22, v15, s8
	s_mov_b32 s28, 0
	s_branch .LBB56_102
.LBB56_101:                             ;   in Loop: Header=BB56_102 Depth=1
	s_or_b64 exec, exec, s[8:9]
	s_add_i32 s28, s28, 1
	s_add_i32 s22, s22, 8
	s_cmp_eq_u32 s28, s50
	v_add_u32_e32 v18, 8, v18
	s_waitcnt lgkmcnt(0)
	s_cbranch_scc1 .LBB56_125
.LBB56_102:                             ; =>This Loop Header: Depth=1
                                        ;     Child Loop BB56_118 Depth 2
                                        ;     Child Loop BB56_124 Depth 2
	v_cmp_eq_u32_e32 vcc, s28, v0
	s_and_saveexec_b64 s[10:11], vcc
	s_cbranch_execz .LBB56_110
; %bb.103:                              ;   in Loop: Header=BB56_102 Depth=1
	ds_read_b64 v[4:5], v12
	ds_read_b64 v[6:7], v13
	s_waitcnt lgkmcnt(0)
	v_sub_f32_e32 v2, v4, v6
	v_sub_f32_e32 v6, v5, v7
	v_cmp_gt_f32_e32 vcc, 0, v2
                                        ; implicit-def: $vgpr5
	s_nop 1
	v_cndmask_b32_e64 v2, v2, -v2, vcc
	v_cmp_gt_f32_e32 vcc, 0, v6
	s_nop 1
	v_cndmask_b32_e64 v4, v6, -v6, vcc
	v_cmp_ngt_f32_e32 vcc, v2, v4
	s_and_saveexec_b64 s[8:9], vcc
	s_xor_b64 s[12:13], exec, s[8:9]
	s_cbranch_execz .LBB56_107
; %bb.104:                              ;   in Loop: Header=BB56_102 Depth=1
	v_mov_b32_e32 v5, 0
	v_cmp_neq_f32_e32 vcc, 0, v6
	s_and_saveexec_b64 s[20:21], vcc
	s_cbranch_execz .LBB56_106
; %bb.105:                              ;   in Loop: Header=BB56_102 Depth=1
	v_div_scale_f32 v5, s[8:9], v4, v4, v2
	v_rcp_f32_e32 v6, v5
	v_div_scale_f32 v7, vcc, v2, v4, v2
	v_fma_f32 v8, -v5, v6, 1.0
	v_fmac_f32_e32 v6, v8, v6
	v_mul_f32_e32 v8, v7, v6
	v_fma_f32 v9, -v5, v8, v7
	v_fmac_f32_e32 v8, v9, v6
	v_fma_f32 v5, -v5, v8, v7
	v_div_fmas_f32 v5, v5, v6, v8
	v_div_fixup_f32 v2, v5, v4, v2
	v_fma_f32 v2, v2, v2, 1.0
	v_mul_f32_e32 v5, 0x4f800000, v2
	v_cmp_gt_f32_e32 vcc, s23, v2
	s_nop 1
	v_cndmask_b32_e32 v2, v2, v5, vcc
	v_sqrt_f32_e32 v5, v2
	s_nop 0
	v_add_u32_e32 v6, -1, v5
	v_fma_f32 v7, -v6, v5, v2
	v_cmp_ge_f32_e64 s[8:9], 0, v7
	v_add_u32_e32 v7, 1, v5
	s_nop 0
	v_cndmask_b32_e64 v6, v5, v6, s[8:9]
	v_fma_f32 v5, -v7, v5, v2
	v_cmp_lt_f32_e64 s[8:9], 0, v5
	s_nop 1
	v_cndmask_b32_e64 v5, v6, v7, s[8:9]
	v_mul_f32_e32 v6, 0x37800000, v5
	v_cndmask_b32_e32 v5, v5, v6, vcc
	v_cmp_class_f32_e32 vcc, v2, v20
	s_nop 1
	v_cndmask_b32_e32 v2, v5, v2, vcc
	v_mul_f32_e32 v5, v4, v2
.LBB56_106:                             ;   in Loop: Header=BB56_102 Depth=1
	s_or_b64 exec, exec, s[20:21]
                                        ; implicit-def: $vgpr2
                                        ; implicit-def: $vgpr4
.LBB56_107:                             ;   in Loop: Header=BB56_102 Depth=1
	s_andn2_saveexec_b64 s[12:13], s[12:13]
	s_cbranch_execz .LBB56_109
; %bb.108:                              ;   in Loop: Header=BB56_102 Depth=1
	v_div_scale_f32 v5, s[8:9], v2, v2, v4
	v_rcp_f32_e32 v6, v5
	v_div_scale_f32 v7, vcc, v4, v2, v4
	v_fma_f32 v8, -v5, v6, 1.0
	v_fmac_f32_e32 v6, v8, v6
	v_mul_f32_e32 v8, v7, v6
	v_fma_f32 v9, -v5, v8, v7
	v_fmac_f32_e32 v8, v9, v6
	v_fma_f32 v5, -v5, v8, v7
	v_div_fmas_f32 v5, v5, v6, v8
	v_div_fixup_f32 v4, v5, v2, v4
	v_fma_f32 v4, v4, v4, 1.0
	v_mul_f32_e32 v5, 0x4f800000, v4
	v_cmp_gt_f32_e32 vcc, s23, v4
	s_nop 1
	v_cndmask_b32_e32 v4, v4, v5, vcc
	v_sqrt_f32_e32 v5, v4
	s_nop 0
	v_add_u32_e32 v6, -1, v5
	v_fma_f32 v7, -v6, v5, v4
	v_cmp_ge_f32_e64 s[8:9], 0, v7
	v_add_u32_e32 v7, 1, v5
	s_nop 0
	v_cndmask_b32_e64 v6, v5, v6, s[8:9]
	v_fma_f32 v5, -v7, v5, v4
	v_cmp_lt_f32_e64 s[8:9], 0, v5
	s_nop 1
	v_cndmask_b32_e64 v5, v6, v7, s[8:9]
	v_mul_f32_e32 v6, 0x37800000, v5
	v_cndmask_b32_e32 v5, v5, v6, vcc
	v_cmp_class_f32_e32 vcc, v4, v20
	s_nop 1
	v_cndmask_b32_e32 v4, v5, v4, vcc
	v_mul_f32_e32 v5, v2, v4
.LBB56_109:                             ;   in Loop: Header=BB56_102 Depth=1
	s_or_b64 exec, exec, s[12:13]
	v_mul_f32_e32 v2, 0x4f800000, v5
	v_cmp_gt_f32_e32 vcc, s23, v5
	s_nop 1
	v_cndmask_b32_e32 v2, v5, v2, vcc
	v_sqrt_f32_e32 v4, v2
	s_nop 0
	v_add_u32_e32 v5, -1, v4
	v_fma_f32 v7, -v5, v4, v2
	v_add_u32_e32 v6, 1, v4
	v_cmp_ge_f32_e64 s[8:9], 0, v7
	s_nop 1
	v_cndmask_b32_e64 v5, v4, v5, s[8:9]
	v_fma_f32 v4, -v6, v4, v2
	v_cmp_lt_f32_e64 s[8:9], 0, v4
	s_nop 1
	v_cndmask_b32_e64 v4, v5, v6, s[8:9]
	v_mul_f32_e32 v5, 0x37800000, v4
	v_cndmask_b32_e32 v4, v4, v5, vcc
	v_cmp_class_f32_e32 vcc, v2, v20
	s_nop 1
	v_cndmask_b32_e32 v2, v4, v2, vcc
	ds_write_b64 v12, v[2:3]
.LBB56_110:                             ;   in Loop: Header=BB56_102 Depth=1
	s_or_b64 exec, exec, s[10:11]
	s_lshl_b32 s8, s28, 3
	s_mul_i32 s9, s28, 0x108
	s_add_i32 s9, s9, s8
	v_mov_b32_e32 v2, s9
	s_waitcnt lgkmcnt(0)
	ds_read_b64 v[26:27], v2 offset:8448
	v_add_u32_e32 v6, s8, v10
	ds_read_b64 v[8:9], v6
	s_waitcnt lgkmcnt(1)
	v_cmp_neq_f32_e32 vcc, 0, v26
	v_cmp_neq_f32_e64 s[8:9], 0, v27
	s_or_b64 vcc, vcc, s[8:9]
	v_cndmask_b32_e32 v4, 0, v27, vcc
	s_nor_b64 s[10:11], vcc, s[2:3]
	v_cndmask_b32_e32 v2, 1.0, v26, vcc
	s_and_saveexec_b64 s[8:9], s[10:11]
	s_cbranch_execz .LBB56_114
; %bb.111:                              ;   in Loop: Header=BB56_102 Depth=1
	v_mbcnt_lo_u32_b32 v2, exec_lo, 0
	v_mbcnt_hi_u32_b32 v2, exec_hi, v2
	v_cmp_eq_u32_e32 vcc, 0, v2
	s_and_saveexec_b64 s[10:11], vcc
	s_cbranch_execz .LBB56_113
; %bb.112:                              ;   in Loop: Header=BB56_102 Depth=1
	global_atomic_smin v3, v25, s[18:19]
.LBB56_113:                             ;   in Loop: Header=BB56_102 Depth=1
	s_or_b64 exec, exec, s[10:11]
	v_mov_b32_e32 v2, 1.0
	v_mov_b32_e32 v4, 0
.LBB56_114:                             ;   in Loop: Header=BB56_102 Depth=1
	s_or_b64 exec, exec, s[8:9]
	v_cmp_lt_u32_e32 vcc, s28, v0
	s_and_saveexec_b64 s[8:9], vcc
	s_cbranch_execz .LBB56_101
; %bb.115:                              ;   in Loop: Header=BB56_102 Depth=1
	v_mul_f32_e32 v5, v4, v4
	v_fmac_f32_e32 v5, v2, v2
	v_div_scale_f32 v7, s[10:11], v5, v5, 1.0
	v_rcp_f32_e32 v23, v7
	v_lshl_add_u32 v24, s28, 3, v11
	s_waitcnt lgkmcnt(0)
	v_mov_b32_e32 v29, v8
	v_fma_f32 v26, -v7, v23, 1.0
	v_fmac_f32_e32 v23, v26, v23
	v_div_scale_f32 v26, vcc, 1.0, v5, 1.0
	v_mul_f32_e32 v28, v26, v23
	v_fma_f32 v27, -v7, v28, v26
	v_fmac_f32_e32 v28, v27, v23
	v_fma_f32 v7, -v7, v28, v26
	ds_read_b64 v[26:27], v24
	v_div_fmas_f32 v7, v7, v23, v28
	v_mov_b32_e32 v28, v9
	v_div_fixup_f32 v24, v7, v5, 1.0
	s_waitcnt lgkmcnt(0)
	v_pk_add_f32 v[8:9], v[28:29], v[26:27] op_sel:[0,1] op_sel_hi:[1,0] neg_lo:[0,1] neg_hi:[0,1]
	s_nop 0
	v_xor_b32_e32 v26, 0x80000000, v9
	v_mov_b32_e32 v27, v8
	v_pk_mul_f32 v[4:5], v[4:5], v[26:27] op_sel_hi:[0,1]
	v_pk_fma_f32 v[4:5], v[8:9], v[2:3], v[4:5] op_sel_hi:[1,0,1]
	s_nop 0
	v_pk_mul_f32 v[4:5], v[24:25], v[4:5] op_sel_hi:[0,1]
	v_pk_mov_b32 v[8:9], v[4:5], v[4:5] op_sel:[1,0]
	ds_write_b64 v6, v[8:9]
	s_waitcnt lgkmcnt(0)
	s_and_b64 exec, exec, s[0:1]
	s_cbranch_execz .LBB56_101
; %bb.116:                              ;   in Loop: Header=BB56_102 Depth=1
	s_mov_b64 s[12:13], -1
	v_mov_b32_e32 v2, v1
	v_mov_b32_e32 v8, v16
	;; [unrolled: 1-line block ×3, first 2 shown]
	s_and_saveexec_b64 s[10:11], s[4:5]
	s_cbranch_execz .LBB56_122
; %bb.117:                              ;   in Loop: Header=BB56_102 Depth=1
	v_mov_b32_e32 v6, v5
	v_mov_b32_e32 v7, v5
	;; [unrolled: 1-line block ×4, first 2 shown]
	s_mov_b64 s[12:13], 0
	v_mov_b32_e32 v2, v14
	v_mov_b32_e32 v23, v19
	;; [unrolled: 1-line block ×3, first 2 shown]
.LBB56_118:                             ;   Parent Loop BB56_102 Depth=1
                                        ; =>  This Inner Loop Header: Depth=2
	ds_read2_b64 v[26:29], v24 offset1:66
	ds_read2_b64 v[30:33], v23 offset1:2
	v_add_u32_e32 v2, -2, v2
	v_cmp_eq_u32_e32 vcc, 0, v2
	v_add_u32_e32 v24, 0x420, v24
	s_waitcnt lgkmcnt(1)
	v_mov_b32_e32 v34, v26
	v_mov_b32_e32 v35, v28
	;; [unrolled: 1-line block ×3, first 2 shown]
	s_waitcnt lgkmcnt(0)
	v_mov_b32_e32 v26, v30
	v_mov_b32_e32 v27, v32
	;; [unrolled: 1-line block ×3, first 2 shown]
	v_pk_fma_f32 v[26:27], v[6:7], v[34:35], v[26:27]
	v_pk_fma_f32 v[30:31], v[8:9], v[34:35], v[32:33]
	;; [unrolled: 1-line block ×3, first 2 shown]
	v_pk_fma_f32 v[28:29], v[6:7], v[28:29], v[30:31] neg_lo:[0,1,0] neg_hi:[0,1,0]
	v_mov_b32_e32 v30, v26
	v_mov_b32_e32 v31, v28
	;; [unrolled: 1-line block ×3, first 2 shown]
	ds_write2_b64 v23, v[30:31], v[28:29] offset1:2
	s_or_b64 s[12:13], vcc, s[12:13]
	v_add_u32_e32 v23, 32, v23
	s_andn2_b64 exec, exec, s[12:13]
	s_cbranch_execnz .LBB56_118
; %bb.119:                              ;   in Loop: Header=BB56_102 Depth=1
	s_or_b64 exec, exec, s[12:13]
	s_mov_b64 s[12:13], 0
	s_and_saveexec_b64 s[20:21], s[6:7]
; %bb.120:                              ;   in Loop: Header=BB56_102 Depth=1
	s_mov_b64 s[12:13], exec
; %bb.121:                              ;   in Loop: Header=BB56_102 Depth=1
	s_or_b64 exec, exec, s[20:21]
	s_orn2_b64 s[12:13], s[12:13], exec
	v_mov_b32_e32 v2, v15
	v_mov_b32_e32 v8, v21
	;; [unrolled: 1-line block ×3, first 2 shown]
.LBB56_122:                             ;   in Loop: Header=BB56_102 Depth=1
	s_or_b64 exec, exec, s[10:11]
	s_and_b64 exec, exec, s[12:13]
	s_cbranch_execz .LBB56_101
; %bb.123:                              ;   in Loop: Header=BB56_102 Depth=1
	v_pk_mov_b32 v[6:7], v[4:5], v[4:5] op_sel:[1,0]
	v_add_u32_e32 v8, v11, v8
	v_add_u32_e32 v9, s22, v9
	s_mov_b64 s[10:11], 0
.LBB56_124:                             ;   Parent Loop BB56_102 Depth=1
                                        ; =>  This Inner Loop Header: Depth=2
	ds_read_b64 v[26:27], v9 offset:8448
	ds_read_b64 v[28:29], v8
	v_add_u32_e32 v2, 2, v2
	v_cmp_le_i32_e32 vcc, s50, v2
	s_or_b64 s[10:11], vcc, s[10:11]
	v_add_u32_e32 v9, 0x210, v9
	s_waitcnt lgkmcnt(0)
	v_pk_fma_f32 v[28:29], v[6:7], v[26:27], v[28:29] op_sel_hi:[1,0,1]
	s_nop 0
	v_pk_fma_f32 v[26:27], v[4:5], v[26:27], v[28:29] op_sel:[0,1,0] neg_hi:[0,1,0]
	ds_write_b64 v8, v[26:27]
	v_add_u32_e32 v8, 16, v8
	s_andn2_b64 exec, exec, s[10:11]
	s_cbranch_execnz .LBB56_124
	s_branch .LBB56_101
.LBB56_125:
	s_and_saveexec_b64 s[2:3], s[0:1]
	s_cbranch_execz .LBB56_134
; %bb.126:
	s_mul_i32 s33, s33, s50
	v_add_u32_e32 v2, s33, v0
	s_cmp_lg_u32 s51, 0
	v_mul_lo_u32 v4, v2, s50
	v_mul_u32_u24_e32 v2, 0x108, v0
	s_movk_i32 s6, 0x2100
	v_cmp_gt_i32_e64 s[0:1], s50, v0
	s_cselect_b64 s[4:5], -1, 0
	v_add3_u32 v5, v2, v16, s6
	s_mov_b64 s[6:7], 0
	v_mov_b32_e32 v6, v1
	s_branch .LBB56_130
.LBB56_127:                             ;   in Loop: Header=BB56_130 Depth=1
	v_add_u32_e32 v2, v4, v6
.LBB56_128:                             ;   in Loop: Header=BB56_130 Depth=1
	ds_read_b64 v[8:9], v5
	v_ashrrev_i32_e32 v3, 31, v2
	v_lshl_add_u64 v[2:3], v[2:3], 3, s[26:27]
	s_waitcnt lgkmcnt(0)
	global_store_dwordx2 v[2:3], v[8:9], off
.LBB56_129:                             ;   in Loop: Header=BB56_130 Depth=1
	s_or_b64 exec, exec, s[8:9]
	v_add_u32_e32 v6, 2, v6
	v_cmp_le_i32_e32 vcc, s50, v6
	s_or_b64 s[6:7], vcc, s[6:7]
	v_add_u32_e32 v5, 16, v5
	s_andn2_b64 exec, exec, s[6:7]
	s_cbranch_execz .LBB56_134
.LBB56_130:                             ; =>This Inner Loop Header: Depth=1
	s_and_saveexec_b64 s[8:9], s[0:1]
	s_cbranch_execz .LBB56_129
; %bb.131:                              ;   in Loop: Header=BB56_130 Depth=1
	s_and_b64 vcc, exec, s[4:5]
	s_cbranch_vccz .LBB56_133
; %bb.132:                              ;   in Loop: Header=BB56_130 Depth=1
	v_add_u32_e32 v2, s33, v6
	v_mad_u64_u32 v[2:3], s[10:11], v2, s50, v[0:1]
	s_cbranch_execnz .LBB56_128
	s_branch .LBB56_127
.LBB56_133:                             ;   in Loop: Header=BB56_130 Depth=1
                                        ; implicit-def: $vgpr2
	s_branch .LBB56_127
.LBB56_134:
	s_or_b64 exec, exec, s[2:3]
	v_or_b32_e32 v2, v1, v0
	v_cmp_eq_u32_e32 vcc, 0, v2
	s_and_saveexec_b64 s[0:1], vcc
	s_cbranch_execz .LBB56_136
; %bb.135:
	s_add_u32 s2, s14, s16
	s_addc_u32 s3, s15, s17
	v_mov_b32_e32 v2, 0
	v_mov_b32_e32 v3, 1
	buffer_wbl2 sc1
	s_waitcnt vmcnt(0)
	global_store_dword v2, v3, s[2:3] sc1
.LBB56_136:
	s_or_b64 exec, exec, s[0:1]
.LBB56_137:
	s_endpgm
.LBB56_138:
	s_cbranch_execz .LBB56_137
; %bb.139:
	v_or_b32_e32 v0, v1, v0
	v_cmp_eq_u32_e32 vcc, 0, v0
	s_and_saveexec_b64 s[0:1], vcc
	s_cbranch_execz .LBB56_137
; %bb.140:
	v_mbcnt_lo_u32_b32 v0, exec_lo, 0
	v_mbcnt_hi_u32_b32 v0, exec_hi, v0
	v_cmp_eq_u32_e32 vcc, 0, v0
	s_and_saveexec_b64 s[0:1], vcc
	s_cbranch_execz .LBB56_142
; %bb.141:
	s_add_i32 s2, s24, s25
	v_mov_b32_e32 v0, 0
	v_mov_b32_e32 v1, s2
	global_atomic_smin v0, v1, s[18:19]
.LBB56_142:
	s_or_b64 exec, exec, s[0:1]
	s_add_u32 s0, s14, s16
	s_addc_u32 s1, s15, s17
	v_mov_b32_e32 v0, 0
	v_mov_b32_e32 v1, 1
	buffer_wbl2 sc1
	s_waitcnt vmcnt(0)
	global_store_dword v0, v1, s[0:1] sc1
	s_endpgm
	.section	.rodata,"a",@progbits
	.p2align	6, 0x0
	.amdhsa_kernel _ZN9rocsparseL19bsric0_17_32_kernelILi64ELi128ELi32E21rocsparse_complex_numIfEEEv20rocsparse_direction_iiPKiS5_PT2_S5_PiS5_S8_21rocsparse_index_base_
		.amdhsa_group_segment_fixed_size 26880
		.amdhsa_private_segment_fixed_size 0
		.amdhsa_kernarg_size 76
		.amdhsa_user_sgpr_count 2
		.amdhsa_user_sgpr_dispatch_ptr 0
		.amdhsa_user_sgpr_queue_ptr 0
		.amdhsa_user_sgpr_kernarg_segment_ptr 1
		.amdhsa_user_sgpr_dispatch_id 0
		.amdhsa_user_sgpr_kernarg_preload_length 0
		.amdhsa_user_sgpr_kernarg_preload_offset 0
		.amdhsa_user_sgpr_private_segment_size 0
		.amdhsa_uses_dynamic_stack 0
		.amdhsa_enable_private_segment 0
		.amdhsa_system_sgpr_workgroup_id_x 1
		.amdhsa_system_sgpr_workgroup_id_y 0
		.amdhsa_system_sgpr_workgroup_id_z 0
		.amdhsa_system_sgpr_workgroup_info 0
		.amdhsa_system_vgpr_workitem_id 1
		.amdhsa_next_free_vgpr 169
		.amdhsa_next_free_sgpr 96
		.amdhsa_accum_offset 48
		.amdhsa_reserve_vcc 1
		.amdhsa_float_round_mode_32 0
		.amdhsa_float_round_mode_16_64 0
		.amdhsa_float_denorm_mode_32 3
		.amdhsa_float_denorm_mode_16_64 3
		.amdhsa_dx10_clamp 1
		.amdhsa_ieee_mode 1
		.amdhsa_fp16_overflow 0
		.amdhsa_tg_split 0
		.amdhsa_exception_fp_ieee_invalid_op 0
		.amdhsa_exception_fp_denorm_src 0
		.amdhsa_exception_fp_ieee_div_zero 0
		.amdhsa_exception_fp_ieee_overflow 0
		.amdhsa_exception_fp_ieee_underflow 0
		.amdhsa_exception_fp_ieee_inexact 0
		.amdhsa_exception_int_div_zero 0
	.end_amdhsa_kernel
	.section	.text._ZN9rocsparseL19bsric0_17_32_kernelILi64ELi128ELi32E21rocsparse_complex_numIfEEEv20rocsparse_direction_iiPKiS5_PT2_S5_PiS5_S8_21rocsparse_index_base_,"axG",@progbits,_ZN9rocsparseL19bsric0_17_32_kernelILi64ELi128ELi32E21rocsparse_complex_numIfEEEv20rocsparse_direction_iiPKiS5_PT2_S5_PiS5_S8_21rocsparse_index_base_,comdat
.Lfunc_end56:
	.size	_ZN9rocsparseL19bsric0_17_32_kernelILi64ELi128ELi32E21rocsparse_complex_numIfEEEv20rocsparse_direction_iiPKiS5_PT2_S5_PiS5_S8_21rocsparse_index_base_, .Lfunc_end56-_ZN9rocsparseL19bsric0_17_32_kernelILi64ELi128ELi32E21rocsparse_complex_numIfEEEv20rocsparse_direction_iiPKiS5_PT2_S5_PiS5_S8_21rocsparse_index_base_
                                        ; -- End function
	.set _ZN9rocsparseL19bsric0_17_32_kernelILi64ELi128ELi32E21rocsparse_complex_numIfEEEv20rocsparse_direction_iiPKiS5_PT2_S5_PiS5_S8_21rocsparse_index_base_.num_vgpr, 46
	.set _ZN9rocsparseL19bsric0_17_32_kernelILi64ELi128ELi32E21rocsparse_complex_numIfEEEv20rocsparse_direction_iiPKiS5_PT2_S5_PiS5_S8_21rocsparse_index_base_.num_agpr, 0
	.set _ZN9rocsparseL19bsric0_17_32_kernelILi64ELi128ELi32E21rocsparse_complex_numIfEEEv20rocsparse_direction_iiPKiS5_PT2_S5_PiS5_S8_21rocsparse_index_base_.numbered_sgpr, 60
	.set _ZN9rocsparseL19bsric0_17_32_kernelILi64ELi128ELi32E21rocsparse_complex_numIfEEEv20rocsparse_direction_iiPKiS5_PT2_S5_PiS5_S8_21rocsparse_index_base_.num_named_barrier, 0
	.set _ZN9rocsparseL19bsric0_17_32_kernelILi64ELi128ELi32E21rocsparse_complex_numIfEEEv20rocsparse_direction_iiPKiS5_PT2_S5_PiS5_S8_21rocsparse_index_base_.private_seg_size, 0
	.set _ZN9rocsparseL19bsric0_17_32_kernelILi64ELi128ELi32E21rocsparse_complex_numIfEEEv20rocsparse_direction_iiPKiS5_PT2_S5_PiS5_S8_21rocsparse_index_base_.uses_vcc, 1
	.set _ZN9rocsparseL19bsric0_17_32_kernelILi64ELi128ELi32E21rocsparse_complex_numIfEEEv20rocsparse_direction_iiPKiS5_PT2_S5_PiS5_S8_21rocsparse_index_base_.uses_flat_scratch, 0
	.set _ZN9rocsparseL19bsric0_17_32_kernelILi64ELi128ELi32E21rocsparse_complex_numIfEEEv20rocsparse_direction_iiPKiS5_PT2_S5_PiS5_S8_21rocsparse_index_base_.has_dyn_sized_stack, 0
	.set _ZN9rocsparseL19bsric0_17_32_kernelILi64ELi128ELi32E21rocsparse_complex_numIfEEEv20rocsparse_direction_iiPKiS5_PT2_S5_PiS5_S8_21rocsparse_index_base_.has_recursion, 0
	.set _ZN9rocsparseL19bsric0_17_32_kernelILi64ELi128ELi32E21rocsparse_complex_numIfEEEv20rocsparse_direction_iiPKiS5_PT2_S5_PiS5_S8_21rocsparse_index_base_.has_indirect_call, 0
	.section	.AMDGPU.csdata,"",@progbits
; Kernel info:
; codeLenInByte = 4888
; TotalNumSgprs: 66
; NumVgprs: 46
; NumAgprs: 0
; TotalNumVgprs: 46
; ScratchSize: 0
; MemoryBound: 0
; FloatMode: 240
; IeeeMode: 1
; LDSByteSize: 26880 bytes/workgroup (compile time only)
; SGPRBlocks: 12
; VGPRBlocks: 21
; NumSGPRsForWavesPerEU: 102
; NumVGPRsForWavesPerEU: 169
; AccumOffset: 48
; Occupancy: 2
; WaveLimiterHint : 1
; COMPUTE_PGM_RSRC2:SCRATCH_EN: 0
; COMPUTE_PGM_RSRC2:USER_SGPR: 2
; COMPUTE_PGM_RSRC2:TRAP_HANDLER: 0
; COMPUTE_PGM_RSRC2:TGID_X_EN: 1
; COMPUTE_PGM_RSRC2:TGID_Y_EN: 0
; COMPUTE_PGM_RSRC2:TGID_Z_EN: 0
; COMPUTE_PGM_RSRC2:TIDIG_COMP_CNT: 1
; COMPUTE_PGM_RSRC3_GFX90A:ACCUM_OFFSET: 11
; COMPUTE_PGM_RSRC3_GFX90A:TG_SPLIT: 0
	.section	.text._ZN9rocsparseL23bsric0_binsearch_kernelILj32ELj32ELb0E21rocsparse_complex_numIdEEEv20rocsparse_direction_iiPKiS5_PT2_S5_PiS5_S8_21rocsparse_index_base_,"axG",@progbits,_ZN9rocsparseL23bsric0_binsearch_kernelILj32ELj32ELb0E21rocsparse_complex_numIdEEEv20rocsparse_direction_iiPKiS5_PT2_S5_PiS5_S8_21rocsparse_index_base_,comdat
	.globl	_ZN9rocsparseL23bsric0_binsearch_kernelILj32ELj32ELb0E21rocsparse_complex_numIdEEEv20rocsparse_direction_iiPKiS5_PT2_S5_PiS5_S8_21rocsparse_index_base_ ; -- Begin function _ZN9rocsparseL23bsric0_binsearch_kernelILj32ELj32ELb0E21rocsparse_complex_numIdEEEv20rocsparse_direction_iiPKiS5_PT2_S5_PiS5_S8_21rocsparse_index_base_
	.p2align	8
	.type	_ZN9rocsparseL23bsric0_binsearch_kernelILj32ELj32ELb0E21rocsparse_complex_numIdEEEv20rocsparse_direction_iiPKiS5_PT2_S5_PiS5_S8_21rocsparse_index_base_,@function
_ZN9rocsparseL23bsric0_binsearch_kernelILj32ELj32ELb0E21rocsparse_complex_numIdEEEv20rocsparse_direction_iiPKiS5_PT2_S5_PiS5_S8_21rocsparse_index_base_: ; @_ZN9rocsparseL23bsric0_binsearch_kernelILj32ELj32ELb0E21rocsparse_complex_numIdEEEv20rocsparse_direction_iiPKiS5_PT2_S5_PiS5_S8_21rocsparse_index_base_
; %bb.0:
	s_load_dwordx8 s[16:23], s[0:1], 0x28
	s_ashr_i32 s3, s2, 31
	s_lshl_b64 s[2:3], s[2:3], 2
	v_mov_b32_e32 v1, 0
	s_load_dword s33, s[0:1], 0x48
	s_waitcnt lgkmcnt(0)
	s_add_u32 s2, s20, s2
	s_addc_u32 s3, s21, s3
	global_load_dword v10, v1, s[2:3]
	s_waitcnt vmcnt(0)
	v_ashrrev_i32_e32 v11, 31, v10
	v_lshlrev_b64 v[2:3], 2, v[10:11]
	v_lshl_add_u64 v[2:3], s[16:17], 0, v[2:3]
	global_load_dword v1, v[2:3], off
	s_waitcnt vmcnt(0)
	v_readfirstlane_b32 s2, v1
	s_cmp_lg_u32 s2, -1
	s_cselect_b64 s[2:3], -1, 0
	s_and_saveexec_b64 s[4:5], s[2:3]
	s_xor_b64 s[14:15], exec, s[4:5]
	s_cbranch_execz .LBB57_76
; %bb.1:
	s_load_dword s52, s[0:1], 0x8
	s_waitcnt lgkmcnt(0)
	v_cmp_gt_i32_e32 vcc, s52, v0
	s_and_saveexec_b64 s[20:21], vcc
	s_cbranch_execz .LBB57_73
; %bb.2:
	s_load_dwordx4 s[24:27], s[0:1], 0x10
	s_load_dword s4, s[0:1], 0x0
	s_load_dwordx2 s[28:29], s[0:1], 0x20
	s_mul_i32 s53, s52, s52
	s_mov_b32 s34, 0
	s_waitcnt lgkmcnt(0)
	v_lshl_add_u64 v[2:3], v[10:11], 2, s[24:25]
	global_load_dwordx2 v[2:3], v[2:3], off
	s_cmp_eq_u32 s4, 0
	s_cselect_b64 s[2:3], -1, 0
	s_cmp_lg_u32 s4, 0
	v_cmp_ne_u32_e64 s[0:1], 0, v0
	s_mov_b64 s[30:31], 0
	v_mov_b32_e32 v4, 0
	s_brev_b32 s35, 8
	v_mov_b32_e32 v36, 0x260
	v_mov_b32_e32 v37, 0x3ff00000
	;; [unrolled: 1-line block ×4, first 2 shown]
	v_mul_lo_u32 v40, v1, s53
	s_cselect_b64 s[36:37], -1, 0
	s_waitcnt vmcnt(0)
	v_subrev_u32_e32 v41, s33, v2
	v_xad_u32 v42, s33, -1, v3
	v_add_u32_e32 v2, v42, v41
	v_ashrrev_i32_e32 v12, 1, v2
	v_mul_lo_u32 v43, s53, v41
	v_ashrrev_i32_e32 v13, 31, v12
	v_cmp_lt_i32_e64 s[4:5], v41, v1
	v_cmp_ge_i32_e64 s[6:7], v41, v1
	v_cmp_lt_i32_e64 s[8:9], v41, v42
	v_add_u32_e32 v44, v43, v0
	v_lshl_add_u64 v[14:15], v[12:13], 2, s[26:27]
	v_mov_b32_e32 v13, v0
	s_branch .LBB57_4
.LBB57_3:                               ;   in Loop: Header=BB57_4 Depth=1
	v_add_u32_e32 v13, 32, v13
	v_cmp_le_i32_e32 vcc, s52, v13
	s_or_b64 s[30:31], vcc, s[30:31]
	v_add_u32_e32 v44, 32, v44
	s_andn2_b64 exec, exec, s[30:31]
	s_cbranch_execz .LBB57_73
.LBB57_4:                               ; =>This Loop Header: Depth=1
                                        ;     Child Loop BB57_10 Depth 2
                                        ;       Child Loop BB57_13 Depth 3
                                        ;       Child Loop BB57_17 Depth 3
                                        ;         Child Loop BB57_19 Depth 4
                                        ;         Child Loop BB57_26 Depth 4
                                        ;           Child Loop BB57_28 Depth 5
                                        ;           Child Loop BB57_34 Depth 5
                                        ;     Child Loop BB57_41 Depth 2
                                        ;       Child Loop BB57_51 Depth 3
                                        ;       Child Loop BB57_59 Depth 3
                                        ;         Child Loop BB57_61 Depth 4
                                        ;       Child Loop BB57_69 Depth 3
	v_mul_lo_u32 v45, v13, s52
	s_and_saveexec_b64 s[10:11], s[6:7]
	s_xor_b64 s[10:11], exec, s[10:11]
; %bb.5:                                ;   in Loop: Header=BB57_4 Depth=1
	v_mul_lo_u32 v45, v13, s52
; %bb.6:                                ;   in Loop: Header=BB57_4 Depth=1
	s_or_saveexec_b64 s[38:39], s[10:11]
	v_mov_b64_e32 v[16:17], 0
	v_mov_b64_e32 v[18:19], 0
	s_xor_b64 exec, exec, s[38:39]
	s_cbranch_execz .LBB57_38
; %bb.7:                                ;   in Loop: Header=BB57_4 Depth=1
	v_mov_b64_e32 v[16:17], 0
	s_mov_b64 s[40:41], 0
	v_mov_b32_e32 v2, v41
	v_mov_b64_e32 v[18:19], 0
                                        ; implicit-def: $sgpr42_sgpr43
	s_branch .LBB57_10
.LBB57_8:                               ;   in Loop: Header=BB57_10 Depth=2
	v_add_u32_e32 v2, 1, v2
	v_cmp_ge_i32_e32 vcc, v2, v1
	s_andn2_b64 s[10:11], s[42:43], exec
	s_and_b64 s[12:13], vcc, exec
	s_or_b64 s[42:43], s[10:11], s[12:13]
.LBB57_9:                               ;   in Loop: Header=BB57_10 Depth=2
	s_or_b64 exec, exec, s[44:45]
	s_and_b64 s[10:11], exec, s[42:43]
	s_or_b64 s[40:41], s[10:11], s[40:41]
	s_andn2_b64 exec, exec, s[40:41]
	s_cbranch_execz .LBB57_37
.LBB57_10:                              ;   Parent Loop BB57_4 Depth=1
                                        ; =>  This Loop Header: Depth=2
                                        ;       Child Loop BB57_13 Depth 3
                                        ;       Child Loop BB57_17 Depth 3
                                        ;         Child Loop BB57_19 Depth 4
                                        ;         Child Loop BB57_26 Depth 4
                                        ;           Child Loop BB57_28 Depth 5
                                        ;           Child Loop BB57_34 Depth 5
	v_ashrrev_i32_e32 v3, 31, v2
	v_lshl_add_u64 v[6:7], v[2:3], 2, s[26:27]
	global_load_dword v3, v[6:7], off
	s_or_b64 s[42:43], s[42:43], exec
	s_waitcnt vmcnt(0)
	v_subrev_u32_e32 v6, s33, v3
	v_ashrrev_i32_e32 v7, 31, v6
	v_lshl_add_u64 v[8:9], v[6:7], 2, s[16:17]
	global_load_dword v5, v[8:9], off
	s_waitcnt vmcnt(0)
	v_cmp_ne_u32_e32 vcc, -1, v5
	s_and_saveexec_b64 s[44:45], vcc
	s_cbranch_execz .LBB57_9
; %bb.11:                               ;   in Loop: Header=BB57_10 Depth=2
	v_lshlrev_b64 v[8:9], 2, v[6:7]
	v_lshl_add_u64 v[20:21], s[24:25], 0, v[8:9]
	v_lshl_add_u64 v[8:9], s[18:19], 0, v[8:9]
	global_load_dword v7, v[20:21], off
	s_nop 0
	global_load_dword v20, v[8:9], off sc1
	s_waitcnt vmcnt(0)
	v_cmp_eq_u32_e32 vcc, 0, v20
	s_and_saveexec_b64 s[10:11], vcc
	s_cbranch_execz .LBB57_14
; %bb.12:                               ;   in Loop: Header=BB57_10 Depth=2
	s_mov_b64 s[12:13], 0
.LBB57_13:                              ;   Parent Loop BB57_4 Depth=1
                                        ;     Parent Loop BB57_10 Depth=2
                                        ; =>    This Inner Loop Header: Depth=3
	global_load_dword v20, v[8:9], off sc1
	s_waitcnt vmcnt(0)
	v_cmp_ne_u32_e32 vcc, 0, v20
	s_or_b64 s[12:13], vcc, s[12:13]
	s_andn2_b64 exec, exec, s[12:13]
	s_cbranch_execnz .LBB57_13
.LBB57_14:                              ;   in Loop: Header=BB57_10 Depth=2
	s_or_b64 exec, exec, s[10:11]
	v_subrev_u32_e32 v46, s33, v7
	v_mul_lo_u32 v47, v6, s52
	v_mul_lo_u32 v6, v2, s53
	v_add_u32_e32 v48, v6, v13
	v_add_u32_e32 v49, v6, v45
	v_cmp_le_i32_e64 s[10:11], v46, v5
	v_mul_lo_u32 v50, s53, v46
	s_mov_b32 s54, 0
	buffer_inv sc1
	s_branch .LBB57_17
.LBB57_15:                              ;   in Loop: Header=BB57_17 Depth=3
	s_or_b64 exec, exec, s[46:47]
.LBB57_16:                              ;   in Loop: Header=BB57_17 Depth=3
	s_or_b64 exec, exec, s[12:13]
	v_mul_f64 v[30:31], v[22:23], v[22:23]
	v_fmac_f64_e32 v[30:31], v[20:21], v[20:21]
	v_div_scale_f64 v[32:33], s[12:13], v[30:31], v[30:31], 1.0
	v_rcp_f64_e32 v[34:35], v[32:33]
	s_waitcnt vmcnt(0)
	v_add_f64 v[28:29], v[6:7], -v[28:29]
	v_add_f64 v[8:9], v[8:9], -v[26:27]
	s_add_i32 s54, s54, 1
	v_fma_f64 v[6:7], -v[32:33], v[34:35], 1.0
	v_fmac_f64_e32 v[34:35], v[34:35], v[6:7]
	v_fma_f64 v[6:7], -v[32:33], v[34:35], 1.0
	v_fmac_f64_e32 v[34:35], v[34:35], v[6:7]
	v_div_scale_f64 v[6:7], vcc, 1.0, v[30:31], 1.0
	v_mul_f64 v[26:27], v[6:7], v[34:35]
	v_fma_f64 v[6:7], -v[32:33], v[26:27], v[6:7]
	s_cmp_eq_u32 s54, s52
	s_nop 0
	v_div_fmas_f64 v[6:7], v[6:7], v[34:35], v[26:27]
	v_div_fixup_f64 v[26:27], v[6:7], v[30:31], 1.0
	v_mul_f64 v[6:7], v[22:23], v[8:9]
	v_mul_f64 v[22:23], v[22:23], -v[28:29]
	v_fmac_f64_e32 v[6:7], v[28:29], v[20:21]
	v_fmac_f64_e32 v[22:23], v[8:9], v[20:21]
	v_mul_f64 v[6:7], v[26:27], v[6:7]
	v_mul_f64 v[8:9], v[26:27], v[22:23]
	v_fmac_f64_e32 v[18:19], v[6:7], v[6:7]
	v_fmac_f64_e32 v[16:17], v[8:9], v[6:7]
	;; [unrolled: 1-line block ×3, first 2 shown]
	v_fma_f64 v[16:17], v[6:7], -v[8:9], v[16:17]
	v_add_u32_e32 v50, 1, v50
	global_store_dwordx4 v[24:25], v[6:9], off
	s_cbranch_scc1 .LBB57_8
.LBB57_17:                              ;   Parent Loop BB57_4 Depth=1
                                        ;     Parent Loop BB57_10 Depth=2
                                        ; =>    This Loop Header: Depth=3
                                        ;         Child Loop BB57_19 Depth 4
                                        ;         Child Loop BB57_26 Depth 4
                                        ;           Child Loop BB57_28 Depth 5
                                        ;           Child Loop BB57_34 Depth 5
	s_mul_i32 s55, s54, s52
	s_add_i32 s12, s55, s54
	v_mul_lo_u32 v6, v5, s53
	v_add_u32_e32 v6, s12, v6
	v_ashrrev_i32_e32 v7, 31, v6
	v_lshl_add_u64 v[6:7], v[6:7], 4, s[28:29]
	global_load_dwordx4 v[6:9], v[6:7], off
	s_waitcnt vmcnt(0)
	v_cmp_neq_f64_e32 vcc, 0, v[6:7]
	v_cmp_neq_f64_e64 s[12:13], 0, v[8:9]
	s_or_b64 vcc, vcc, s[12:13]
	v_cndmask_b32_e32 v21, v37, v7, vcc
	s_nor_b64 s[46:47], vcc, s[0:1]
	v_cndmask_b32_e32 v20, 0, v6, vcc
	v_cndmask_b32_e32 v23, 0, v9, vcc
	;; [unrolled: 1-line block ×3, first 2 shown]
	s_and_saveexec_b64 s[12:13], s[46:47]
	s_cbranch_execz .LBB57_23
; %bb.18:                               ;   in Loop: Header=BB57_17 Depth=3
	s_mov_b64 s[46:47], exec
	s_brev_b32 s48, -2
.LBB57_19:                              ;   Parent Loop BB57_4 Depth=1
                                        ;     Parent Loop BB57_10 Depth=2
                                        ;       Parent Loop BB57_17 Depth=3
                                        ; =>      This Inner Loop Header: Depth=4
	s_ff1_i32_b64 s49, s[46:47]
	v_readlane_b32 s56, v3, s49
	s_lshl_b64 s[50:51], 1, s49
	s_min_i32 s48, s48, s56
	s_andn2_b64 s[46:47], s[46:47], s[50:51]
	s_cmp_lg_u64 s[46:47], 0
	s_cbranch_scc1 .LBB57_19
; %bb.20:                               ;   in Loop: Header=BB57_17 Depth=3
	v_mbcnt_lo_u32_b32 v6, exec_lo, 0
	v_mbcnt_hi_u32_b32 v6, exec_hi, v6
	v_cmp_eq_u32_e32 vcc, 0, v6
	s_and_saveexec_b64 s[46:47], vcc
	s_xor_b64 s[46:47], exec, s[46:47]
	s_cbranch_execz .LBB57_22
; %bb.21:                               ;   in Loop: Header=BB57_17 Depth=3
	v_mov_b32_e32 v6, s48
	global_atomic_smin v4, v6, s[22:23]
.LBB57_22:                              ;   in Loop: Header=BB57_17 Depth=3
	s_or_b64 exec, exec, s[46:47]
	v_mov_b64_e32 v[20:21], 1.0
	v_mov_b64_e32 v[22:23], 0
.LBB57_23:                              ;   in Loop: Header=BB57_17 Depth=3
	s_or_b64 exec, exec, s[12:13]
	v_add_u32_e32 v6, s54, v49
	v_add_u32_e32 v7, s55, v48
	v_cndmask_b32_e64 v6, v7, v6, s[2:3]
	v_ashrrev_i32_e32 v7, 31, v6
	v_lshl_add_u64 v[24:25], v[6:7], 4, s[28:29]
	global_load_dwordx4 v[6:9], v[24:25], off
	v_mov_b64_e32 v[26:27], 0
	v_mov_b64_e32 v[28:29], 0
	s_and_saveexec_b64 s[12:13], s[10:11]
	s_cbranch_execz .LBB57_16
; %bb.24:                               ;   in Loop: Header=BB57_17 Depth=3
	global_load_dword v51, v[14:15], off
	v_add_u32_e32 v52, s54, v47
	v_mov_b64_e32 v[26:27], 0
	s_mov_b64 s[46:47], 0
	v_mov_b32_e32 v53, v50
	v_mov_b32_e32 v30, v46
	v_mov_b64_e32 v[28:29], 0
	s_branch .LBB57_26
.LBB57_25:                              ;   in Loop: Header=BB57_26 Depth=4
	s_or_b64 exec, exec, s[48:49]
	v_add_u32_e32 v31, 1, v30
	v_cmp_ge_i32_e32 vcc, v30, v5
	v_add_u32_e32 v53, s53, v53
	s_or_b64 s[46:47], vcc, s[46:47]
	v_mov_b32_e32 v30, v31
	s_andn2_b64 exec, exec, s[46:47]
	s_cbranch_execz .LBB57_15
.LBB57_26:                              ;   Parent Loop BB57_4 Depth=1
                                        ;     Parent Loop BB57_10 Depth=2
                                        ;       Parent Loop BB57_17 Depth=3
                                        ; =>      This Loop Header: Depth=4
                                        ;           Child Loop BB57_28 Depth 5
                                        ;           Child Loop BB57_34 Depth 5
	v_ashrrev_i32_e32 v31, 31, v30
	v_lshl_add_u64 v[32:33], v[30:31], 2, s[26:27]
	global_load_dword v31, v[32:33], off
	s_waitcnt vmcnt(1)
	v_mov_b32_e32 v33, v51
	v_mov_b32_e32 v32, v12
	s_and_saveexec_b64 s[48:49], s[8:9]
	s_cbranch_execz .LBB57_30
; %bb.27:                               ;   in Loop: Header=BB57_26 Depth=4
	s_mov_b64 s[50:51], 0
	v_mov_b32_e32 v33, v51
	v_mov_b32_e32 v32, v12
	;; [unrolled: 1-line block ×4, first 2 shown]
.LBB57_28:                              ;   Parent Loop BB57_4 Depth=1
                                        ;     Parent Loop BB57_10 Depth=2
                                        ;       Parent Loop BB57_17 Depth=3
                                        ;         Parent Loop BB57_26 Depth=4
                                        ; =>        This Inner Loop Header: Depth=5
	v_add_u32_e32 v54, 1, v32
	s_waitcnt vmcnt(0)
	v_cmp_lt_i32_e32 vcc, v33, v31
	s_nop 1
	v_cndmask_b32_e32 v35, v32, v35, vcc
	v_cndmask_b32_e32 v34, v34, v54, vcc
	v_add_u32_e32 v32, v35, v34
	v_ashrrev_i32_e32 v32, 1, v32
	v_ashrrev_i32_e32 v33, 31, v32
	v_lshl_add_u64 v[54:55], v[32:33], 2, s[26:27]
	global_load_dword v33, v[54:55], off
	v_cmp_ge_i32_e32 vcc, v34, v35
	s_or_b64 s[50:51], vcc, s[50:51]
	s_andn2_b64 exec, exec, s[50:51]
	s_cbranch_execnz .LBB57_28
; %bb.29:                               ;   in Loop: Header=BB57_26 Depth=4
	s_or_b64 exec, exec, s[50:51]
.LBB57_30:                              ;   in Loop: Header=BB57_26 Depth=4
	s_or_b64 exec, exec, s[48:49]
	s_waitcnt vmcnt(0)
	v_cmp_eq_u32_e32 vcc, v33, v31
	s_and_saveexec_b64 s[48:49], vcc
	s_cbranch_execz .LBB57_25
; %bb.31:                               ;   in Loop: Header=BB57_26 Depth=4
	v_subrev_u32_e32 v31, s33, v31
	v_mul_lo_u32 v33, v30, s53
	v_mul_lo_u32 v32, v32, s53
	;; [unrolled: 1-line block ×3, first 2 shown]
	v_add_u32_e32 v54, s55, v33
	v_add_u32_e32 v55, v32, v45
	;; [unrolled: 1-line block ×3, first 2 shown]
	s_mov_b32 s56, 0
	v_mov_b32_e32 v57, v53
	s_branch .LBB57_34
.LBB57_32:                              ;   in Loop: Header=BB57_34 Depth=5
	v_ashrrev_i32_e32 v35, 31, v34
	v_ashrrev_i32_e32 v33, 31, v32
	v_lshl_add_u64 v[34:35], v[34:35], 4, s[28:29]
	v_lshl_add_u64 v[58:59], v[32:33], 4, s[28:29]
	global_load_dwordx4 v[32:35], v[34:35], off
	s_nop 0
	global_load_dwordx4 v[58:61], v[58:59], off
	s_waitcnt vmcnt(0)
	v_fmac_f64_e32 v[28:29], v[32:33], v[58:59]
	v_fmac_f64_e32 v[26:27], v[34:35], v[58:59]
	;; [unrolled: 1-line block ×3, first 2 shown]
	v_fma_f64 v[26:27], v[32:33], -v[60:61], v[26:27]
.LBB57_33:                              ;   in Loop: Header=BB57_34 Depth=5
	s_or_b64 exec, exec, s[50:51]
	s_add_i32 s56, s56, 1
	v_add_u32_e32 v56, s52, v56
	s_cmp_lg_u32 s52, s56
	v_add_u32_e32 v57, s52, v57
	s_cbranch_scc0 .LBB57_25
.LBB57_34:                              ;   Parent Loop BB57_4 Depth=1
                                        ;     Parent Loop BB57_10 Depth=2
                                        ;       Parent Loop BB57_17 Depth=3
                                        ;         Parent Loop BB57_26 Depth=4
                                        ; =>        This Inner Loop Header: Depth=5
	v_add_u32_e32 v32, s56, v31
	v_cmp_lt_i32_e32 vcc, v32, v52
	s_and_saveexec_b64 s[50:51], vcc
	s_cbranch_execz .LBB57_33
; %bb.35:                               ;   in Loop: Header=BB57_34 Depth=5
	s_andn2_b64 vcc, exec, s[2:3]
	v_mov_b32_e32 v32, v56
	v_mov_b32_e32 v34, v57
	s_cbranch_vccnz .LBB57_32
; %bb.36:                               ;   in Loop: Header=BB57_34 Depth=5
	v_add_u32_e32 v34, s56, v54
	v_add_u32_e32 v32, s56, v55
	s_branch .LBB57_32
.LBB57_37:                              ;   in Loop: Header=BB57_4 Depth=1
	s_or_b64 exec, exec, s[40:41]
.LBB57_38:                              ;   in Loop: Header=BB57_4 Depth=1
	s_or_b64 exec, exec, s[38:39]
	v_add_u32_e32 v32, v45, v40
	s_mov_b32 s42, 0
	v_mov_b32_e32 v33, v43
	s_branch .LBB57_41
.LBB57_39:                              ;   in Loop: Header=BB57_41 Depth=2
	v_mul_f64 v[28:29], v[2:3], v[2:3]
	v_fmac_f64_e32 v[28:29], v[20:21], v[20:21]
	v_div_scale_f64 v[30:31], s[12:13], v[28:29], v[28:29], 1.0
	v_rcp_f64_e32 v[34:35], v[30:31]
	s_waitcnt vmcnt(0)
	v_add_f64 v[24:25], v[6:7], -v[24:25]
	v_add_f64 v[8:9], v[8:9], -v[26:27]
	v_fma_f64 v[6:7], -v[30:31], v[34:35], 1.0
	v_fmac_f64_e32 v[34:35], v[34:35], v[6:7]
	v_fma_f64 v[6:7], -v[30:31], v[34:35], 1.0
	v_fmac_f64_e32 v[34:35], v[34:35], v[6:7]
	v_div_scale_f64 v[6:7], vcc, 1.0, v[28:29], 1.0
	v_mul_f64 v[26:27], v[6:7], v[34:35]
	v_fma_f64 v[6:7], -v[30:31], v[26:27], v[6:7]
	s_nop 1
	v_div_fmas_f64 v[6:7], v[6:7], v[34:35], v[26:27]
	v_div_fixup_f64 v[26:27], v[6:7], v[28:29], 1.0
	v_mul_f64 v[6:7], v[2:3], v[8:9]
	v_mul_f64 v[2:3], v[2:3], -v[24:25]
	v_fmac_f64_e32 v[6:7], v[24:25], v[20:21]
	v_fmac_f64_e32 v[2:3], v[8:9], v[20:21]
	v_mul_f64 v[6:7], v[26:27], v[6:7]
	v_mul_f64 v[8:9], v[26:27], v[2:3]
	v_fmac_f64_e32 v[18:19], v[6:7], v[6:7]
	v_fmac_f64_e32 v[16:17], v[8:9], v[6:7]
	;; [unrolled: 1-line block ×3, first 2 shown]
	v_fma_f64 v[16:17], v[6:7], -v[8:9], v[16:17]
	global_store_dwordx4 v[22:23], v[6:9], off
.LBB57_40:                              ;   in Loop: Header=BB57_41 Depth=2
	s_or_b64 exec, exec, s[10:11]
	s_add_i32 s42, s42, 1
	s_cmp_eq_u32 s42, s52
	v_add_u32_e32 v33, 1, v33
	buffer_wbl2 sc1
	s_waitcnt vmcnt(0)
	buffer_inv sc1
	s_cbranch_scc1 .LBB57_3
.LBB57_41:                              ;   Parent Loop BB57_4 Depth=1
                                        ; =>  This Loop Header: Depth=2
                                        ;       Child Loop BB57_51 Depth 3
                                        ;       Child Loop BB57_59 Depth 3
                                        ;         Child Loop BB57_61 Depth 4
                                        ;       Child Loop BB57_69 Depth 3
	s_mul_i32 s43, s42, s52
	v_add_u32_e32 v34, s43, v40
	v_add_u32_e32 v2, s42, v34
	v_ashrrev_i32_e32 v3, 31, v2
	v_cmp_eq_u32_e32 vcc, s42, v13
	v_lshl_add_u64 v[6:7], v[2:3], 4, s[28:29]
	s_and_saveexec_b64 s[10:11], vcc
	s_cbranch_execz .LBB57_49
; %bb.42:                               ;   in Loop: Header=BB57_41 Depth=2
	global_load_dwordx4 v[20:23], v[6:7], off
	s_waitcnt vmcnt(0)
	v_add_f64 v[2:3], v[20:21], -v[18:19]
	v_add_f64 v[22:23], v[22:23], -v[16:17]
	v_xor_b32_e32 v5, 0x80000000, v3
	v_cmp_gt_f64_e32 vcc, 0, v[2:3]
	v_xor_b32_e32 v8, 0x80000000, v23
                                        ; implicit-def: $vgpr20_vgpr21
	s_nop 0
	v_cndmask_b32_e32 v3, v3, v5, vcc
	v_cmp_gt_f64_e32 vcc, 0, v[22:23]
	s_nop 1
	v_cndmask_b32_e32 v9, v23, v8, vcc
	v_mov_b32_e32 v8, v22
	v_cmp_ngt_f64_e32 vcc, v[2:3], v[8:9]
	s_and_saveexec_b64 s[12:13], vcc
	s_xor_b64 s[12:13], exec, s[12:13]
	s_cbranch_execz .LBB57_46
; %bb.43:                               ;   in Loop: Header=BB57_41 Depth=2
	v_mov_b64_e32 v[20:21], 0
	v_cmp_neq_f64_e32 vcc, 0, v[22:23]
	s_and_saveexec_b64 s[38:39], vcc
	s_cbranch_execz .LBB57_45
; %bb.44:                               ;   in Loop: Header=BB57_41 Depth=2
	v_div_scale_f64 v[20:21], s[40:41], v[8:9], v[8:9], v[2:3]
	v_rcp_f64_e32 v[22:23], v[20:21]
	v_div_scale_f64 v[24:25], vcc, v[2:3], v[8:9], v[2:3]
	v_fma_f64 v[26:27], -v[20:21], v[22:23], 1.0
	v_fmac_f64_e32 v[22:23], v[22:23], v[26:27]
	v_fma_f64 v[26:27], -v[20:21], v[22:23], 1.0
	v_fmac_f64_e32 v[22:23], v[22:23], v[26:27]
	v_mul_f64 v[26:27], v[24:25], v[22:23]
	v_fma_f64 v[20:21], -v[20:21], v[26:27], v[24:25]
	v_div_fmas_f64 v[20:21], v[20:21], v[22:23], v[26:27]
	v_div_fixup_f64 v[2:3], v[20:21], v[8:9], v[2:3]
	v_fma_f64 v[2:3], v[2:3], v[2:3], 1.0
	v_cmp_gt_f64_e32 vcc, s[34:35], v[2:3]
	s_nop 1
	v_cndmask_b32_e32 v5, 0, v38, vcc
	v_ldexp_f64 v[2:3], v[2:3], v5
	v_rsq_f64_e32 v[20:21], v[2:3]
	v_cndmask_b32_e32 v5, 0, v39, vcc
	v_cmp_class_f64_e32 vcc, v[2:3], v36
	v_mul_f64 v[22:23], v[2:3], v[20:21]
	v_mul_f64 v[20:21], v[20:21], 0.5
	v_fma_f64 v[24:25], -v[20:21], v[22:23], 0.5
	v_fmac_f64_e32 v[22:23], v[22:23], v[24:25]
	v_fma_f64 v[26:27], -v[22:23], v[22:23], v[2:3]
	v_fmac_f64_e32 v[20:21], v[20:21], v[24:25]
	v_fmac_f64_e32 v[22:23], v[26:27], v[20:21]
	v_fma_f64 v[24:25], -v[22:23], v[22:23], v[2:3]
	v_fmac_f64_e32 v[22:23], v[24:25], v[20:21]
	v_ldexp_f64 v[20:21], v[22:23], v5
	v_cndmask_b32_e32 v3, v21, v3, vcc
	v_cndmask_b32_e32 v2, v20, v2, vcc
	v_mul_f64 v[20:21], v[8:9], v[2:3]
.LBB57_45:                              ;   in Loop: Header=BB57_41 Depth=2
	s_or_b64 exec, exec, s[38:39]
                                        ; implicit-def: $vgpr2_vgpr3
                                        ; implicit-def: $vgpr8_vgpr9
.LBB57_46:                              ;   in Loop: Header=BB57_41 Depth=2
	s_andn2_saveexec_b64 s[12:13], s[12:13]
	s_cbranch_execz .LBB57_48
; %bb.47:                               ;   in Loop: Header=BB57_41 Depth=2
	v_div_scale_f64 v[20:21], s[38:39], v[2:3], v[2:3], v[8:9]
	v_rcp_f64_e32 v[22:23], v[20:21]
	v_div_scale_f64 v[24:25], vcc, v[8:9], v[2:3], v[8:9]
	v_fma_f64 v[26:27], -v[20:21], v[22:23], 1.0
	v_fmac_f64_e32 v[22:23], v[22:23], v[26:27]
	v_fma_f64 v[26:27], -v[20:21], v[22:23], 1.0
	v_fmac_f64_e32 v[22:23], v[22:23], v[26:27]
	v_mul_f64 v[26:27], v[24:25], v[22:23]
	v_fma_f64 v[20:21], -v[20:21], v[26:27], v[24:25]
	v_div_fmas_f64 v[20:21], v[20:21], v[22:23], v[26:27]
	v_div_fixup_f64 v[8:9], v[20:21], v[2:3], v[8:9]
	v_fma_f64 v[8:9], v[8:9], v[8:9], 1.0
	v_cmp_gt_f64_e32 vcc, s[34:35], v[8:9]
	s_nop 1
	v_cndmask_b32_e32 v5, 0, v38, vcc
	v_ldexp_f64 v[8:9], v[8:9], v5
	v_rsq_f64_e32 v[20:21], v[8:9]
	v_cndmask_b32_e32 v5, 0, v39, vcc
	v_cmp_class_f64_e32 vcc, v[8:9], v36
	v_mul_f64 v[22:23], v[8:9], v[20:21]
	v_mul_f64 v[20:21], v[20:21], 0.5
	v_fma_f64 v[24:25], -v[20:21], v[22:23], 0.5
	v_fmac_f64_e32 v[22:23], v[22:23], v[24:25]
	v_fma_f64 v[26:27], -v[22:23], v[22:23], v[8:9]
	v_fmac_f64_e32 v[20:21], v[20:21], v[24:25]
	v_fmac_f64_e32 v[22:23], v[26:27], v[20:21]
	v_fma_f64 v[24:25], -v[22:23], v[22:23], v[8:9]
	v_fmac_f64_e32 v[22:23], v[24:25], v[20:21]
	v_ldexp_f64 v[20:21], v[22:23], v5
	v_cndmask_b32_e32 v9, v21, v9, vcc
	v_cndmask_b32_e32 v8, v20, v8, vcc
	v_mul_f64 v[20:21], v[2:3], v[8:9]
.LBB57_48:                              ;   in Loop: Header=BB57_41 Depth=2
	s_or_b64 exec, exec, s[12:13]
	v_cmp_gt_f64_e32 vcc, s[34:35], v[20:21]
	s_nop 1
	v_cndmask_b32_e32 v2, 0, v38, vcc
	v_ldexp_f64 v[2:3], v[20:21], v2
	v_rsq_f64_e32 v[8:9], v[2:3]
	v_cndmask_b32_e32 v5, 0, v39, vcc
	v_cmp_class_f64_e32 vcc, v[2:3], v36
	v_mul_f64 v[20:21], v[2:3], v[8:9]
	v_mul_f64 v[8:9], v[8:9], 0.5
	v_fma_f64 v[22:23], -v[8:9], v[20:21], 0.5
	v_fmac_f64_e32 v[20:21], v[20:21], v[22:23]
	v_fmac_f64_e32 v[8:9], v[8:9], v[22:23]
	v_fma_f64 v[22:23], -v[20:21], v[20:21], v[2:3]
	v_fmac_f64_e32 v[20:21], v[22:23], v[8:9]
	v_fma_f64 v[22:23], -v[20:21], v[20:21], v[2:3]
	v_fmac_f64_e32 v[20:21], v[22:23], v[8:9]
	v_ldexp_f64 v[8:9], v[20:21], v5
	v_cndmask_b32_e32 v3, v9, v3, vcc
	v_cndmask_b32_e32 v2, v8, v2, vcc
	v_mov_b32_e32 v5, v4
	global_store_dwordx4 v[6:7], v[2:5], off
.LBB57_49:                              ;   in Loop: Header=BB57_41 Depth=2
	s_or_b64 exec, exec, s[10:11]
	buffer_wbl2 sc1
	s_waitcnt vmcnt(0)
	buffer_inv sc1
	global_load_dwordx4 v[6:9], v[6:7], off
	s_waitcnt vmcnt(0)
	v_cmp_neq_f64_e32 vcc, 0, v[6:7]
	v_cmp_neq_f64_e64 s[10:11], 0, v[8:9]
	s_or_b64 vcc, vcc, s[10:11]
	v_cndmask_b32_e32 v3, 0, v9, vcc
	s_nor_b64 s[12:13], vcc, s[0:1]
	v_cndmask_b32_e32 v2, 0, v8, vcc
	v_cndmask_b32_e32 v21, v37, v7, vcc
	;; [unrolled: 1-line block ×3, first 2 shown]
	s_and_saveexec_b64 s[10:11], s[12:13]
	s_cbranch_execz .LBB57_55
; %bb.50:                               ;   in Loop: Header=BB57_41 Depth=2
	s_mov_b64 s[12:13], exec
	s_brev_b32 s38, -2
.LBB57_51:                              ;   Parent Loop BB57_4 Depth=1
                                        ;     Parent Loop BB57_41 Depth=2
                                        ; =>    This Inner Loop Header: Depth=3
	s_ff1_i32_b64 s39, s[12:13]
	v_add_u32_e32 v2, s33, v10
	s_lshl_b64 s[40:41], 1, s39
	v_readlane_b32 s44, v2, s39
	s_min_i32 s38, s38, s44
	s_andn2_b64 s[12:13], s[12:13], s[40:41]
	s_cmp_lg_u64 s[12:13], 0
	s_cbranch_scc1 .LBB57_51
; %bb.52:                               ;   in Loop: Header=BB57_41 Depth=2
	v_mbcnt_lo_u32_b32 v2, exec_lo, 0
	v_mbcnt_hi_u32_b32 v2, exec_hi, v2
	v_cmp_eq_u32_e32 vcc, 0, v2
	s_and_saveexec_b64 s[12:13], vcc
	s_xor_b64 s[12:13], exec, s[12:13]
	s_cbranch_execz .LBB57_54
; %bb.53:                               ;   in Loop: Header=BB57_41 Depth=2
	v_mov_b32_e32 v2, s38
	global_atomic_smin v4, v2, s[22:23]
.LBB57_54:                              ;   in Loop: Header=BB57_41 Depth=2
	s_or_b64 exec, exec, s[12:13]
	v_mov_b64_e32 v[2:3], 0
	v_mov_b64_e32 v[20:21], 1.0
.LBB57_55:                              ;   in Loop: Header=BB57_41 Depth=2
	s_or_b64 exec, exec, s[10:11]
	v_cmp_lt_i32_e32 vcc, s42, v13
	s_and_saveexec_b64 s[10:11], vcc
	s_cbranch_execz .LBB57_40
; %bb.56:                               ;   in Loop: Header=BB57_41 Depth=2
	v_add_u32_e32 v5, s42, v32
	v_add_u32_e32 v6, v34, v13
	v_cndmask_b32_e64 v6, v6, v5, s[2:3]
	v_ashrrev_i32_e32 v7, 31, v6
	v_lshl_add_u64 v[22:23], v[6:7], 4, s[28:29]
	global_load_dwordx4 v[6:9], v[22:23], off
	v_mov_b64_e32 v[24:25], 0
	v_mov_b64_e32 v[26:27], 0
	s_and_saveexec_b64 s[12:13], s[4:5]
	s_cbranch_execz .LBB57_66
; %bb.57:                               ;   in Loop: Header=BB57_41 Depth=2
	v_mov_b64_e32 v[24:25], 0
	s_mov_b64 s[38:39], 0
	v_mov_b32_e32 v5, v33
	v_mov_b32_e32 v35, v44
	v_mov_b32_e32 v46, v41
	v_mov_b64_e32 v[26:27], 0
	s_branch .LBB57_59
.LBB57_58:                              ;   in Loop: Header=BB57_59 Depth=3
	v_add_u32_e32 v46, 1, v46
	v_cmp_ge_i32_e32 vcc, v46, v1
	v_add_u32_e32 v35, s53, v35
	s_or_b64 s[38:39], vcc, s[38:39]
	v_add_u32_e32 v5, s53, v5
	s_andn2_b64 exec, exec, s[38:39]
	s_cbranch_execz .LBB57_65
.LBB57_59:                              ;   Parent Loop BB57_4 Depth=1
                                        ;     Parent Loop BB57_41 Depth=2
                                        ; =>    This Loop Header: Depth=3
                                        ;         Child Loop BB57_61 Depth 4
	v_mul_lo_u32 v28, v46, s53
	v_add_u32_e32 v47, s43, v28
	v_add_u32_e32 v48, v28, v45
	s_mov_b32 s44, 0
	s_mov_b32 s45, s52
	;; [unrolled: 1-line block ×3, first 2 shown]
	s_branch .LBB57_61
.LBB57_60:                              ;   in Loop: Header=BB57_61 Depth=4
	v_ashrrev_i32_e32 v31, 31, v30
	v_lshl_add_u64 v[54:55], v[30:31], 4, s[28:29]
	v_ashrrev_i32_e32 v29, 31, v28
	v_lshl_add_u64 v[56:57], v[28:29], 4, s[28:29]
	global_load_dwordx4 v[28:31], v[54:55], off
	global_load_dwordx4 v[50:53], v[56:57], off
	s_add_i32 s46, s46, 1
	s_add_i32 s44, s44, s52
	s_add_i32 s45, s45, -1
	s_cmp_eq_u32 s45, 0
	s_waitcnt vmcnt(0)
	v_fmac_f64_e32 v[24:25], v[50:51], v[28:29]
	v_fmac_f64_e32 v[26:27], v[52:53], v[28:29]
	v_fmac_f64_e32 v[24:25], v[52:53], v[30:31]
	v_fma_f64 v[26:27], v[50:51], -v[30:31], v[26:27]
	s_cbranch_scc1 .LBB57_58
.LBB57_61:                              ;   Parent Loop BB57_4 Depth=1
                                        ;     Parent Loop BB57_41 Depth=2
                                        ;       Parent Loop BB57_59 Depth=3
                                        ; =>      This Inner Loop Header: Depth=4
	s_mov_b64 s[40:41], -1
	s_and_b64 vcc, exec, s[36:37]
                                        ; implicit-def: $vgpr30
                                        ; implicit-def: $vgpr28
	s_cbranch_vccz .LBB57_63
; %bb.62:                               ;   in Loop: Header=BB57_61 Depth=4
	v_add_u32_e32 v28, s44, v5
	v_add_u32_e32 v30, s44, v35
	s_mov_b64 s[40:41], 0
.LBB57_63:                              ;   in Loop: Header=BB57_61 Depth=4
	s_andn2_b64 vcc, exec, s[40:41]
	s_cbranch_vccnz .LBB57_60
; %bb.64:                               ;   in Loop: Header=BB57_61 Depth=4
	v_add_u32_e32 v28, s46, v47
	v_add_u32_e32 v30, s46, v48
	s_branch .LBB57_60
.LBB57_65:                              ;   in Loop: Header=BB57_41 Depth=2
	s_or_b64 exec, exec, s[38:39]
.LBB57_66:                              ;   in Loop: Header=BB57_41 Depth=2
	s_or_b64 exec, exec, s[12:13]
	s_cmp_eq_u32 s42, 0
	s_cbranch_scc1 .LBB57_39
; %bb.67:                               ;   in Loop: Header=BB57_41 Depth=2
	s_mov_b32 s38, 0
	v_mov_b32_e32 v5, v40
	s_branch .LBB57_69
.LBB57_68:                              ;   in Loop: Header=BB57_69 Depth=3
	v_ashrrev_i32_e32 v31, 31, v30
	v_lshl_add_u64 v[50:51], v[30:31], 4, s[28:29]
	v_ashrrev_i32_e32 v29, 31, v28
	v_lshl_add_u64 v[52:53], v[28:29], 4, s[28:29]
	global_load_dwordx4 v[28:31], v[50:51], off
	global_load_dwordx4 v[46:49], v[52:53], off
	s_add_i32 s38, s38, 1
	s_cmp_eq_u32 s42, s38
	v_add_u32_e32 v5, s52, v5
	s_waitcnt vmcnt(0)
	v_fmac_f64_e32 v[24:25], v[46:47], v[28:29]
	v_fmac_f64_e32 v[26:27], v[48:49], v[28:29]
	;; [unrolled: 1-line block ×3, first 2 shown]
	v_fma_f64 v[26:27], v[46:47], -v[30:31], v[26:27]
	s_cbranch_scc1 .LBB57_39
.LBB57_69:                              ;   Parent Loop BB57_4 Depth=1
                                        ;     Parent Loop BB57_41 Depth=2
                                        ; =>    This Inner Loop Header: Depth=3
	s_mov_b64 s[12:13], -1
	s_and_b64 vcc, exec, s[36:37]
                                        ; implicit-def: $vgpr30
                                        ; implicit-def: $vgpr28
	s_cbranch_vccz .LBB57_71
; %bb.70:                               ;   in Loop: Header=BB57_69 Depth=3
	v_add_u32_e32 v28, s42, v5
	v_add_u32_e32 v30, v13, v5
	s_mov_b64 s[12:13], 0
.LBB57_71:                              ;   in Loop: Header=BB57_69 Depth=3
	s_andn2_b64 vcc, exec, s[12:13]
	s_cbranch_vccnz .LBB57_68
; %bb.72:                               ;   in Loop: Header=BB57_69 Depth=3
	v_add_u32_e32 v28, s38, v34
	v_add_u32_e32 v30, s38, v32
	s_branch .LBB57_68
.LBB57_73:
	s_or_b64 exec, exec, s[20:21]
	v_cmp_eq_u32_e32 vcc, 31, v0
	s_and_saveexec_b64 s[0:1], vcc
	s_cbranch_execz .LBB57_75
; %bb.74:
	v_lshl_add_u64 v[0:1], v[10:11], 2, s[18:19]
	v_mov_b32_e32 v2, 1
	buffer_wbl2 sc1
	global_store_dword v[0:1], v2, off sc1
.LBB57_75:
	s_or_b64 exec, exec, s[0:1]
                                        ; implicit-def: $vgpr0
                                        ; implicit-def: $vgpr10_vgpr11
.LBB57_76:
	s_andn2_saveexec_b64 s[0:1], s[14:15]
	s_cbranch_execz .LBB57_83
; %bb.77:
	v_cmp_eq_u32_e32 vcc, 31, v0
	s_and_saveexec_b64 s[0:1], vcc
	s_cbranch_execz .LBB57_83
; %bb.78:
	s_mov_b64 s[0:1], exec
	v_add_u32_e32 v0, s33, v10
	s_brev_b32 s2, -2
.LBB57_79:                              ; =>This Inner Loop Header: Depth=1
	s_ff1_i32_b64 s3, s[0:1]
	v_readlane_b32 s6, v0, s3
	s_lshl_b64 s[4:5], 1, s3
	s_min_i32 s2, s2, s6
	s_andn2_b64 s[0:1], s[0:1], s[4:5]
	s_cmp_lg_u64 s[0:1], 0
	s_cbranch_scc1 .LBB57_79
; %bb.80:
	v_mbcnt_lo_u32_b32 v0, exec_lo, 0
	v_mbcnt_hi_u32_b32 v0, exec_hi, v0
	v_cmp_eq_u32_e32 vcc, 0, v0
	s_and_saveexec_b64 s[0:1], vcc
	s_xor_b64 s[0:1], exec, s[0:1]
	s_cbranch_execz .LBB57_82
; %bb.81:
	v_mov_b32_e32 v0, 0
	v_mov_b32_e32 v1, s2
	global_atomic_smin v0, v1, s[22:23]
.LBB57_82:
	s_or_b64 exec, exec, s[0:1]
	v_lshl_add_u64 v[0:1], v[10:11], 2, s[18:19]
	v_mov_b32_e32 v2, 1
	buffer_wbl2 sc1
	s_waitcnt vmcnt(0)
	global_store_dword v[0:1], v2, off sc1
.LBB57_83:
	s_endpgm
	.section	.rodata,"a",@progbits
	.p2align	6, 0x0
	.amdhsa_kernel _ZN9rocsparseL23bsric0_binsearch_kernelILj32ELj32ELb0E21rocsparse_complex_numIdEEEv20rocsparse_direction_iiPKiS5_PT2_S5_PiS5_S8_21rocsparse_index_base_
		.amdhsa_group_segment_fixed_size 0
		.amdhsa_private_segment_fixed_size 0
		.amdhsa_kernarg_size 76
		.amdhsa_user_sgpr_count 2
		.amdhsa_user_sgpr_dispatch_ptr 0
		.amdhsa_user_sgpr_queue_ptr 0
		.amdhsa_user_sgpr_kernarg_segment_ptr 1
		.amdhsa_user_sgpr_dispatch_id 0
		.amdhsa_user_sgpr_kernarg_preload_length 0
		.amdhsa_user_sgpr_kernarg_preload_offset 0
		.amdhsa_user_sgpr_private_segment_size 0
		.amdhsa_uses_dynamic_stack 0
		.amdhsa_enable_private_segment 0
		.amdhsa_system_sgpr_workgroup_id_x 1
		.amdhsa_system_sgpr_workgroup_id_y 0
		.amdhsa_system_sgpr_workgroup_id_z 0
		.amdhsa_system_sgpr_workgroup_info 0
		.amdhsa_system_vgpr_workitem_id 0
		.amdhsa_next_free_vgpr 62
		.amdhsa_next_free_sgpr 57
		.amdhsa_accum_offset 64
		.amdhsa_reserve_vcc 1
		.amdhsa_float_round_mode_32 0
		.amdhsa_float_round_mode_16_64 0
		.amdhsa_float_denorm_mode_32 3
		.amdhsa_float_denorm_mode_16_64 3
		.amdhsa_dx10_clamp 1
		.amdhsa_ieee_mode 1
		.amdhsa_fp16_overflow 0
		.amdhsa_tg_split 0
		.amdhsa_exception_fp_ieee_invalid_op 0
		.amdhsa_exception_fp_denorm_src 0
		.amdhsa_exception_fp_ieee_div_zero 0
		.amdhsa_exception_fp_ieee_overflow 0
		.amdhsa_exception_fp_ieee_underflow 0
		.amdhsa_exception_fp_ieee_inexact 0
		.amdhsa_exception_int_div_zero 0
	.end_amdhsa_kernel
	.section	.text._ZN9rocsparseL23bsric0_binsearch_kernelILj32ELj32ELb0E21rocsparse_complex_numIdEEEv20rocsparse_direction_iiPKiS5_PT2_S5_PiS5_S8_21rocsparse_index_base_,"axG",@progbits,_ZN9rocsparseL23bsric0_binsearch_kernelILj32ELj32ELb0E21rocsparse_complex_numIdEEEv20rocsparse_direction_iiPKiS5_PT2_S5_PiS5_S8_21rocsparse_index_base_,comdat
.Lfunc_end57:
	.size	_ZN9rocsparseL23bsric0_binsearch_kernelILj32ELj32ELb0E21rocsparse_complex_numIdEEEv20rocsparse_direction_iiPKiS5_PT2_S5_PiS5_S8_21rocsparse_index_base_, .Lfunc_end57-_ZN9rocsparseL23bsric0_binsearch_kernelILj32ELj32ELb0E21rocsparse_complex_numIdEEEv20rocsparse_direction_iiPKiS5_PT2_S5_PiS5_S8_21rocsparse_index_base_
                                        ; -- End function
	.set _ZN9rocsparseL23bsric0_binsearch_kernelILj32ELj32ELb0E21rocsparse_complex_numIdEEEv20rocsparse_direction_iiPKiS5_PT2_S5_PiS5_S8_21rocsparse_index_base_.num_vgpr, 62
	.set _ZN9rocsparseL23bsric0_binsearch_kernelILj32ELj32ELb0E21rocsparse_complex_numIdEEEv20rocsparse_direction_iiPKiS5_PT2_S5_PiS5_S8_21rocsparse_index_base_.num_agpr, 0
	.set _ZN9rocsparseL23bsric0_binsearch_kernelILj32ELj32ELb0E21rocsparse_complex_numIdEEEv20rocsparse_direction_iiPKiS5_PT2_S5_PiS5_S8_21rocsparse_index_base_.numbered_sgpr, 57
	.set _ZN9rocsparseL23bsric0_binsearch_kernelILj32ELj32ELb0E21rocsparse_complex_numIdEEEv20rocsparse_direction_iiPKiS5_PT2_S5_PiS5_S8_21rocsparse_index_base_.num_named_barrier, 0
	.set _ZN9rocsparseL23bsric0_binsearch_kernelILj32ELj32ELb0E21rocsparse_complex_numIdEEEv20rocsparse_direction_iiPKiS5_PT2_S5_PiS5_S8_21rocsparse_index_base_.private_seg_size, 0
	.set _ZN9rocsparseL23bsric0_binsearch_kernelILj32ELj32ELb0E21rocsparse_complex_numIdEEEv20rocsparse_direction_iiPKiS5_PT2_S5_PiS5_S8_21rocsparse_index_base_.uses_vcc, 1
	.set _ZN9rocsparseL23bsric0_binsearch_kernelILj32ELj32ELb0E21rocsparse_complex_numIdEEEv20rocsparse_direction_iiPKiS5_PT2_S5_PiS5_S8_21rocsparse_index_base_.uses_flat_scratch, 0
	.set _ZN9rocsparseL23bsric0_binsearch_kernelILj32ELj32ELb0E21rocsparse_complex_numIdEEEv20rocsparse_direction_iiPKiS5_PT2_S5_PiS5_S8_21rocsparse_index_base_.has_dyn_sized_stack, 0
	.set _ZN9rocsparseL23bsric0_binsearch_kernelILj32ELj32ELb0E21rocsparse_complex_numIdEEEv20rocsparse_direction_iiPKiS5_PT2_S5_PiS5_S8_21rocsparse_index_base_.has_recursion, 0
	.set _ZN9rocsparseL23bsric0_binsearch_kernelILj32ELj32ELb0E21rocsparse_complex_numIdEEEv20rocsparse_direction_iiPKiS5_PT2_S5_PiS5_S8_21rocsparse_index_base_.has_indirect_call, 0
	.section	.AMDGPU.csdata,"",@progbits
; Kernel info:
; codeLenInByte = 3268
; TotalNumSgprs: 63
; NumVgprs: 62
; NumAgprs: 0
; TotalNumVgprs: 62
; ScratchSize: 0
; MemoryBound: 0
; FloatMode: 240
; IeeeMode: 1
; LDSByteSize: 0 bytes/workgroup (compile time only)
; SGPRBlocks: 7
; VGPRBlocks: 7
; NumSGPRsForWavesPerEU: 63
; NumVGPRsForWavesPerEU: 62
; AccumOffset: 64
; Occupancy: 8
; WaveLimiterHint : 1
; COMPUTE_PGM_RSRC2:SCRATCH_EN: 0
; COMPUTE_PGM_RSRC2:USER_SGPR: 2
; COMPUTE_PGM_RSRC2:TRAP_HANDLER: 0
; COMPUTE_PGM_RSRC2:TGID_X_EN: 1
; COMPUTE_PGM_RSRC2:TGID_Y_EN: 0
; COMPUTE_PGM_RSRC2:TGID_Z_EN: 0
; COMPUTE_PGM_RSRC2:TIDIG_COMP_CNT: 0
; COMPUTE_PGM_RSRC3_GFX90A:ACCUM_OFFSET: 15
; COMPUTE_PGM_RSRC3_GFX90A:TG_SPLIT: 0
	.section	.text._ZN9rocsparseL23bsric0_binsearch_kernelILj64ELj64ELb1E21rocsparse_complex_numIdEEEv20rocsparse_direction_iiPKiS5_PT2_S5_PiS5_S8_21rocsparse_index_base_,"axG",@progbits,_ZN9rocsparseL23bsric0_binsearch_kernelILj64ELj64ELb1E21rocsparse_complex_numIdEEEv20rocsparse_direction_iiPKiS5_PT2_S5_PiS5_S8_21rocsparse_index_base_,comdat
	.globl	_ZN9rocsparseL23bsric0_binsearch_kernelILj64ELj64ELb1E21rocsparse_complex_numIdEEEv20rocsparse_direction_iiPKiS5_PT2_S5_PiS5_S8_21rocsparse_index_base_ ; -- Begin function _ZN9rocsparseL23bsric0_binsearch_kernelILj64ELj64ELb1E21rocsparse_complex_numIdEEEv20rocsparse_direction_iiPKiS5_PT2_S5_PiS5_S8_21rocsparse_index_base_
	.p2align	8
	.type	_ZN9rocsparseL23bsric0_binsearch_kernelILj64ELj64ELb1E21rocsparse_complex_numIdEEEv20rocsparse_direction_iiPKiS5_PT2_S5_PiS5_S8_21rocsparse_index_base_,@function
_ZN9rocsparseL23bsric0_binsearch_kernelILj64ELj64ELb1E21rocsparse_complex_numIdEEEv20rocsparse_direction_iiPKiS5_PT2_S5_PiS5_S8_21rocsparse_index_base_: ; @_ZN9rocsparseL23bsric0_binsearch_kernelILj64ELj64ELb1E21rocsparse_complex_numIdEEEv20rocsparse_direction_iiPKiS5_PT2_S5_PiS5_S8_21rocsparse_index_base_
; %bb.0:
	s_load_dwordx8 s[16:23], s[0:1], 0x28
	s_ashr_i32 s3, s2, 31
	s_lshl_b64 s[2:3], s[2:3], 2
	v_mov_b32_e32 v1, 0
	s_load_dword s33, s[0:1], 0x48
	s_waitcnt lgkmcnt(0)
	s_add_u32 s2, s20, s2
	s_addc_u32 s3, s21, s3
	global_load_dword v10, v1, s[2:3]
	s_waitcnt vmcnt(0)
	v_ashrrev_i32_e32 v11, 31, v10
	v_lshlrev_b64 v[2:3], 2, v[10:11]
	v_lshl_add_u64 v[2:3], s[16:17], 0, v[2:3]
	global_load_dword v1, v[2:3], off
	s_waitcnt vmcnt(0)
	v_readfirstlane_b32 s2, v1
	s_cmp_lg_u32 s2, -1
	s_cselect_b64 s[2:3], -1, 0
	s_and_saveexec_b64 s[4:5], s[2:3]
	s_xor_b64 s[14:15], exec, s[4:5]
	s_cbranch_execz .LBB58_78
; %bb.1:
	s_load_dword s52, s[0:1], 0x8
	s_waitcnt lgkmcnt(0)
	v_cmp_gt_i32_e32 vcc, s52, v0
	s_and_saveexec_b64 s[20:21], vcc
	s_cbranch_execz .LBB58_75
; %bb.2:
	s_load_dwordx4 s[24:27], s[0:1], 0x10
	s_load_dword s4, s[0:1], 0x0
	s_load_dwordx2 s[28:29], s[0:1], 0x20
	s_mul_i32 s53, s52, s52
	s_mov_b32 s34, 0
	s_waitcnt lgkmcnt(0)
	v_lshl_add_u64 v[2:3], v[10:11], 2, s[24:25]
	global_load_dwordx2 v[2:3], v[2:3], off
	s_cmp_eq_u32 s4, 0
	s_cselect_b64 s[2:3], -1, 0
	s_cmp_lg_u32 s4, 0
	v_cmp_ne_u32_e64 s[0:1], 0, v0
	s_mov_b64 s[30:31], 0
	v_mov_b32_e32 v4, 0
	s_brev_b32 s35, 8
	v_mov_b32_e32 v36, 0x260
	v_mov_b32_e32 v37, 0x3ff00000
	;; [unrolled: 1-line block ×4, first 2 shown]
	v_mul_lo_u32 v40, v1, s53
	s_cselect_b64 s[36:37], -1, 0
	s_waitcnt vmcnt(0)
	v_subrev_u32_e32 v41, s33, v2
	v_xad_u32 v42, s33, -1, v3
	v_add_u32_e32 v2, v42, v41
	v_ashrrev_i32_e32 v12, 1, v2
	v_mul_lo_u32 v43, s53, v41
	v_ashrrev_i32_e32 v13, 31, v12
	v_cmp_lt_i32_e64 s[4:5], v41, v1
	v_cmp_ge_i32_e64 s[6:7], v41, v1
	v_cmp_lt_i32_e64 s[8:9], v41, v42
	v_add_u32_e32 v44, v43, v0
	v_lshl_add_u64 v[14:15], v[12:13], 2, s[26:27]
	v_mov_b32_e32 v13, v0
	s_branch .LBB58_4
.LBB58_3:                               ;   in Loop: Header=BB58_4 Depth=1
	v_add_u32_e32 v13, 64, v13
	v_cmp_le_i32_e32 vcc, s52, v13
	s_or_b64 s[30:31], vcc, s[30:31]
	v_add_u32_e32 v44, 64, v44
	s_andn2_b64 exec, exec, s[30:31]
	s_cbranch_execz .LBB58_75
.LBB58_4:                               ; =>This Loop Header: Depth=1
                                        ;     Child Loop BB58_10 Depth 2
                                        ;       Child Loop BB58_14 Depth 3
                                        ;         Child Loop BB58_15 Depth 4
                                        ;       Child Loop BB58_19 Depth 3
                                        ;         Child Loop BB58_21 Depth 4
                                        ;         Child Loop BB58_28 Depth 4
                                        ;           Child Loop BB58_30 Depth 5
                                        ;           Child Loop BB58_36 Depth 5
                                        ;     Child Loop BB58_43 Depth 2
                                        ;       Child Loop BB58_53 Depth 3
                                        ;       Child Loop BB58_61 Depth 3
                                        ;         Child Loop BB58_63 Depth 4
                                        ;       Child Loop BB58_71 Depth 3
	v_mul_lo_u32 v45, v13, s52
	s_and_saveexec_b64 s[10:11], s[6:7]
	s_xor_b64 s[10:11], exec, s[10:11]
; %bb.5:                                ;   in Loop: Header=BB58_4 Depth=1
	v_mul_lo_u32 v45, v13, s52
; %bb.6:                                ;   in Loop: Header=BB58_4 Depth=1
	s_or_saveexec_b64 s[38:39], s[10:11]
	v_mov_b64_e32 v[16:17], 0
	v_mov_b64_e32 v[18:19], 0
	s_xor_b64 exec, exec, s[38:39]
	s_cbranch_execz .LBB58_40
; %bb.7:                                ;   in Loop: Header=BB58_4 Depth=1
	v_mov_b64_e32 v[16:17], 0
	s_mov_b64 s[40:41], 0
	v_mov_b32_e32 v2, v41
	v_mov_b64_e32 v[18:19], 0
                                        ; implicit-def: $sgpr42_sgpr43
	s_branch .LBB58_10
.LBB58_8:                               ;   in Loop: Header=BB58_10 Depth=2
	v_add_u32_e32 v2, 1, v2
	v_cmp_ge_i32_e32 vcc, v2, v1
	s_andn2_b64 s[10:11], s[42:43], exec
	s_and_b64 s[12:13], vcc, exec
	s_or_b64 s[42:43], s[10:11], s[12:13]
.LBB58_9:                               ;   in Loop: Header=BB58_10 Depth=2
	s_or_b64 exec, exec, s[44:45]
	s_and_b64 s[10:11], exec, s[42:43]
	s_or_b64 s[40:41], s[10:11], s[40:41]
	s_andn2_b64 exec, exec, s[40:41]
	s_cbranch_execz .LBB58_39
.LBB58_10:                              ;   Parent Loop BB58_4 Depth=1
                                        ; =>  This Loop Header: Depth=2
                                        ;       Child Loop BB58_14 Depth 3
                                        ;         Child Loop BB58_15 Depth 4
                                        ;       Child Loop BB58_19 Depth 3
                                        ;         Child Loop BB58_21 Depth 4
                                        ;         Child Loop BB58_28 Depth 4
                                        ;           Child Loop BB58_30 Depth 5
                                        ;           Child Loop BB58_36 Depth 5
	v_ashrrev_i32_e32 v3, 31, v2
	v_lshl_add_u64 v[6:7], v[2:3], 2, s[26:27]
	global_load_dword v3, v[6:7], off
	s_or_b64 s[42:43], s[42:43], exec
	s_waitcnt vmcnt(0)
	v_subrev_u32_e32 v6, s33, v3
	v_ashrrev_i32_e32 v7, 31, v6
	v_lshl_add_u64 v[8:9], v[6:7], 2, s[16:17]
	global_load_dword v5, v[8:9], off
	s_waitcnt vmcnt(0)
	v_cmp_ne_u32_e32 vcc, -1, v5
	s_and_saveexec_b64 s[44:45], vcc
	s_cbranch_execz .LBB58_9
; %bb.11:                               ;   in Loop: Header=BB58_10 Depth=2
	v_lshlrev_b64 v[8:9], 2, v[6:7]
	v_lshl_add_u64 v[20:21], s[24:25], 0, v[8:9]
	v_lshl_add_u64 v[8:9], s[18:19], 0, v[8:9]
	global_load_dword v7, v[20:21], off
	s_nop 0
	global_load_dword v20, v[8:9], off sc1
	s_waitcnt vmcnt(0)
	v_cmp_eq_u32_e32 vcc, 0, v20
	s_and_saveexec_b64 s[10:11], vcc
	s_cbranch_execz .LBB58_16
; %bb.12:                               ;   in Loop: Header=BB58_10 Depth=2
	s_mov_b32 s46, 0
	s_mov_b64 s[12:13], 0
	s_branch .LBB58_14
.LBB58_13:                              ;   in Loop: Header=BB58_14 Depth=3
	global_load_dword v20, v[8:9], off sc1
	s_cmpk_lt_u32 s46, 0xf43
	s_cselect_b64 s[48:49], -1, 0
	s_cmp_lg_u64 s[48:49], 0
	s_addc_u32 s46, s46, 0
	s_waitcnt vmcnt(0)
	v_cmp_ne_u32_e32 vcc, 0, v20
	s_or_b64 s[12:13], vcc, s[12:13]
	s_andn2_b64 exec, exec, s[12:13]
	s_cbranch_execz .LBB58_16
.LBB58_14:                              ;   Parent Loop BB58_4 Depth=1
                                        ;     Parent Loop BB58_10 Depth=2
                                        ; =>    This Loop Header: Depth=3
                                        ;         Child Loop BB58_15 Depth 4
	s_cmp_eq_u32 s46, 0
	s_mov_b32 s47, s46
	s_cbranch_scc1 .LBB58_13
.LBB58_15:                              ;   Parent Loop BB58_4 Depth=1
                                        ;     Parent Loop BB58_10 Depth=2
                                        ;       Parent Loop BB58_14 Depth=3
                                        ; =>      This Inner Loop Header: Depth=4
	s_add_i32 s47, s47, -1
	s_cmp_eq_u32 s47, 0
	s_sleep 1
	s_cbranch_scc0 .LBB58_15
	s_branch .LBB58_13
.LBB58_16:                              ;   in Loop: Header=BB58_10 Depth=2
	s_or_b64 exec, exec, s[10:11]
	v_subrev_u32_e32 v46, s33, v7
	v_mul_lo_u32 v47, v6, s52
	v_mul_lo_u32 v6, v2, s53
	v_add_u32_e32 v48, v6, v13
	v_add_u32_e32 v49, v6, v45
	v_cmp_le_i32_e64 s[10:11], v46, v5
	v_mul_lo_u32 v50, s53, v46
	s_mov_b32 s54, 0
	buffer_inv sc1
	s_branch .LBB58_19
.LBB58_17:                              ;   in Loop: Header=BB58_19 Depth=3
	s_or_b64 exec, exec, s[46:47]
.LBB58_18:                              ;   in Loop: Header=BB58_19 Depth=3
	s_or_b64 exec, exec, s[12:13]
	v_mul_f64 v[30:31], v[22:23], v[22:23]
	v_fmac_f64_e32 v[30:31], v[20:21], v[20:21]
	v_div_scale_f64 v[32:33], s[12:13], v[30:31], v[30:31], 1.0
	v_rcp_f64_e32 v[34:35], v[32:33]
	s_waitcnt vmcnt(0)
	v_add_f64 v[28:29], v[6:7], -v[28:29]
	v_add_f64 v[8:9], v[8:9], -v[26:27]
	s_add_i32 s54, s54, 1
	v_fma_f64 v[6:7], -v[32:33], v[34:35], 1.0
	v_fmac_f64_e32 v[34:35], v[34:35], v[6:7]
	v_fma_f64 v[6:7], -v[32:33], v[34:35], 1.0
	v_fmac_f64_e32 v[34:35], v[34:35], v[6:7]
	v_div_scale_f64 v[6:7], vcc, 1.0, v[30:31], 1.0
	v_mul_f64 v[26:27], v[6:7], v[34:35]
	v_fma_f64 v[6:7], -v[32:33], v[26:27], v[6:7]
	s_cmp_eq_u32 s54, s52
	s_nop 0
	v_div_fmas_f64 v[6:7], v[6:7], v[34:35], v[26:27]
	v_div_fixup_f64 v[26:27], v[6:7], v[30:31], 1.0
	v_mul_f64 v[6:7], v[22:23], v[8:9]
	v_mul_f64 v[22:23], v[22:23], -v[28:29]
	v_fmac_f64_e32 v[6:7], v[28:29], v[20:21]
	v_fmac_f64_e32 v[22:23], v[8:9], v[20:21]
	v_mul_f64 v[6:7], v[26:27], v[6:7]
	v_mul_f64 v[8:9], v[26:27], v[22:23]
	v_fmac_f64_e32 v[18:19], v[6:7], v[6:7]
	v_fmac_f64_e32 v[16:17], v[8:9], v[6:7]
	;; [unrolled: 1-line block ×3, first 2 shown]
	v_fma_f64 v[16:17], v[6:7], -v[8:9], v[16:17]
	v_add_u32_e32 v50, 1, v50
	global_store_dwordx4 v[24:25], v[6:9], off
	s_cbranch_scc1 .LBB58_8
.LBB58_19:                              ;   Parent Loop BB58_4 Depth=1
                                        ;     Parent Loop BB58_10 Depth=2
                                        ; =>    This Loop Header: Depth=3
                                        ;         Child Loop BB58_21 Depth 4
                                        ;         Child Loop BB58_28 Depth 4
                                        ;           Child Loop BB58_30 Depth 5
                                        ;           Child Loop BB58_36 Depth 5
	s_mul_i32 s55, s54, s52
	s_add_i32 s12, s55, s54
	v_mul_lo_u32 v6, v5, s53
	v_add_u32_e32 v6, s12, v6
	v_ashrrev_i32_e32 v7, 31, v6
	v_lshl_add_u64 v[6:7], v[6:7], 4, s[28:29]
	global_load_dwordx4 v[6:9], v[6:7], off
	s_waitcnt vmcnt(0)
	v_cmp_neq_f64_e32 vcc, 0, v[6:7]
	v_cmp_neq_f64_e64 s[12:13], 0, v[8:9]
	s_or_b64 vcc, vcc, s[12:13]
	v_cndmask_b32_e32 v21, v37, v7, vcc
	s_nor_b64 s[46:47], vcc, s[0:1]
	v_cndmask_b32_e32 v20, 0, v6, vcc
	v_cndmask_b32_e32 v23, 0, v9, vcc
	;; [unrolled: 1-line block ×3, first 2 shown]
	s_and_saveexec_b64 s[12:13], s[46:47]
	s_cbranch_execz .LBB58_25
; %bb.20:                               ;   in Loop: Header=BB58_19 Depth=3
	s_mov_b64 s[46:47], exec
	s_brev_b32 s48, -2
.LBB58_21:                              ;   Parent Loop BB58_4 Depth=1
                                        ;     Parent Loop BB58_10 Depth=2
                                        ;       Parent Loop BB58_19 Depth=3
                                        ; =>      This Inner Loop Header: Depth=4
	s_ff1_i32_b64 s49, s[46:47]
	v_readlane_b32 s56, v3, s49
	s_lshl_b64 s[50:51], 1, s49
	s_min_i32 s48, s48, s56
	s_andn2_b64 s[46:47], s[46:47], s[50:51]
	s_cmp_lg_u64 s[46:47], 0
	s_cbranch_scc1 .LBB58_21
; %bb.22:                               ;   in Loop: Header=BB58_19 Depth=3
	v_mbcnt_lo_u32_b32 v6, exec_lo, 0
	v_mbcnt_hi_u32_b32 v6, exec_hi, v6
	v_cmp_eq_u32_e32 vcc, 0, v6
	s_and_saveexec_b64 s[46:47], vcc
	s_xor_b64 s[46:47], exec, s[46:47]
	s_cbranch_execz .LBB58_24
; %bb.23:                               ;   in Loop: Header=BB58_19 Depth=3
	v_mov_b32_e32 v6, s48
	global_atomic_smin v4, v6, s[22:23]
.LBB58_24:                              ;   in Loop: Header=BB58_19 Depth=3
	s_or_b64 exec, exec, s[46:47]
	v_mov_b64_e32 v[20:21], 1.0
	v_mov_b64_e32 v[22:23], 0
.LBB58_25:                              ;   in Loop: Header=BB58_19 Depth=3
	s_or_b64 exec, exec, s[12:13]
	v_add_u32_e32 v6, s54, v49
	v_add_u32_e32 v7, s55, v48
	v_cndmask_b32_e64 v6, v7, v6, s[2:3]
	v_ashrrev_i32_e32 v7, 31, v6
	v_lshl_add_u64 v[24:25], v[6:7], 4, s[28:29]
	global_load_dwordx4 v[6:9], v[24:25], off
	v_mov_b64_e32 v[26:27], 0
	v_mov_b64_e32 v[28:29], 0
	s_and_saveexec_b64 s[12:13], s[10:11]
	s_cbranch_execz .LBB58_18
; %bb.26:                               ;   in Loop: Header=BB58_19 Depth=3
	global_load_dword v51, v[14:15], off
	v_add_u32_e32 v52, s54, v47
	v_mov_b64_e32 v[26:27], 0
	s_mov_b64 s[46:47], 0
	v_mov_b32_e32 v53, v50
	v_mov_b32_e32 v30, v46
	v_mov_b64_e32 v[28:29], 0
	s_branch .LBB58_28
.LBB58_27:                              ;   in Loop: Header=BB58_28 Depth=4
	s_or_b64 exec, exec, s[48:49]
	v_add_u32_e32 v31, 1, v30
	v_cmp_ge_i32_e32 vcc, v30, v5
	v_add_u32_e32 v53, s53, v53
	s_or_b64 s[46:47], vcc, s[46:47]
	v_mov_b32_e32 v30, v31
	s_andn2_b64 exec, exec, s[46:47]
	s_cbranch_execz .LBB58_17
.LBB58_28:                              ;   Parent Loop BB58_4 Depth=1
                                        ;     Parent Loop BB58_10 Depth=2
                                        ;       Parent Loop BB58_19 Depth=3
                                        ; =>      This Loop Header: Depth=4
                                        ;           Child Loop BB58_30 Depth 5
                                        ;           Child Loop BB58_36 Depth 5
	v_ashrrev_i32_e32 v31, 31, v30
	v_lshl_add_u64 v[32:33], v[30:31], 2, s[26:27]
	global_load_dword v31, v[32:33], off
	s_waitcnt vmcnt(1)
	v_mov_b32_e32 v33, v51
	v_mov_b32_e32 v32, v12
	s_and_saveexec_b64 s[48:49], s[8:9]
	s_cbranch_execz .LBB58_32
; %bb.29:                               ;   in Loop: Header=BB58_28 Depth=4
	s_mov_b64 s[50:51], 0
	v_mov_b32_e32 v33, v51
	v_mov_b32_e32 v32, v12
	;; [unrolled: 1-line block ×4, first 2 shown]
.LBB58_30:                              ;   Parent Loop BB58_4 Depth=1
                                        ;     Parent Loop BB58_10 Depth=2
                                        ;       Parent Loop BB58_19 Depth=3
                                        ;         Parent Loop BB58_28 Depth=4
                                        ; =>        This Inner Loop Header: Depth=5
	v_add_u32_e32 v54, 1, v32
	s_waitcnt vmcnt(0)
	v_cmp_lt_i32_e32 vcc, v33, v31
	s_nop 1
	v_cndmask_b32_e32 v35, v32, v35, vcc
	v_cndmask_b32_e32 v34, v34, v54, vcc
	v_add_u32_e32 v32, v35, v34
	v_ashrrev_i32_e32 v32, 1, v32
	v_ashrrev_i32_e32 v33, 31, v32
	v_lshl_add_u64 v[54:55], v[32:33], 2, s[26:27]
	global_load_dword v33, v[54:55], off
	v_cmp_ge_i32_e32 vcc, v34, v35
	s_or_b64 s[50:51], vcc, s[50:51]
	s_andn2_b64 exec, exec, s[50:51]
	s_cbranch_execnz .LBB58_30
; %bb.31:                               ;   in Loop: Header=BB58_28 Depth=4
	s_or_b64 exec, exec, s[50:51]
.LBB58_32:                              ;   in Loop: Header=BB58_28 Depth=4
	s_or_b64 exec, exec, s[48:49]
	s_waitcnt vmcnt(0)
	v_cmp_eq_u32_e32 vcc, v33, v31
	s_and_saveexec_b64 s[48:49], vcc
	s_cbranch_execz .LBB58_27
; %bb.33:                               ;   in Loop: Header=BB58_28 Depth=4
	v_subrev_u32_e32 v31, s33, v31
	v_mul_lo_u32 v33, v30, s53
	v_mul_lo_u32 v32, v32, s53
	;; [unrolled: 1-line block ×3, first 2 shown]
	v_add_u32_e32 v54, s55, v33
	v_add_u32_e32 v55, v32, v45
	;; [unrolled: 1-line block ×3, first 2 shown]
	s_mov_b32 s56, 0
	v_mov_b32_e32 v57, v53
	s_branch .LBB58_36
.LBB58_34:                              ;   in Loop: Header=BB58_36 Depth=5
	v_ashrrev_i32_e32 v35, 31, v34
	v_ashrrev_i32_e32 v33, 31, v32
	v_lshl_add_u64 v[34:35], v[34:35], 4, s[28:29]
	v_lshl_add_u64 v[58:59], v[32:33], 4, s[28:29]
	global_load_dwordx4 v[32:35], v[34:35], off
	s_nop 0
	global_load_dwordx4 v[58:61], v[58:59], off
	s_waitcnt vmcnt(0)
	v_fmac_f64_e32 v[28:29], v[32:33], v[58:59]
	v_fmac_f64_e32 v[26:27], v[34:35], v[58:59]
	;; [unrolled: 1-line block ×3, first 2 shown]
	v_fma_f64 v[26:27], v[32:33], -v[60:61], v[26:27]
.LBB58_35:                              ;   in Loop: Header=BB58_36 Depth=5
	s_or_b64 exec, exec, s[50:51]
	s_add_i32 s56, s56, 1
	v_add_u32_e32 v56, s52, v56
	s_cmp_lg_u32 s52, s56
	v_add_u32_e32 v57, s52, v57
	s_cbranch_scc0 .LBB58_27
.LBB58_36:                              ;   Parent Loop BB58_4 Depth=1
                                        ;     Parent Loop BB58_10 Depth=2
                                        ;       Parent Loop BB58_19 Depth=3
                                        ;         Parent Loop BB58_28 Depth=4
                                        ; =>        This Inner Loop Header: Depth=5
	v_add_u32_e32 v32, s56, v31
	v_cmp_lt_i32_e32 vcc, v32, v52
	s_and_saveexec_b64 s[50:51], vcc
	s_cbranch_execz .LBB58_35
; %bb.37:                               ;   in Loop: Header=BB58_36 Depth=5
	s_andn2_b64 vcc, exec, s[2:3]
	v_mov_b32_e32 v32, v56
	v_mov_b32_e32 v34, v57
	s_cbranch_vccnz .LBB58_34
; %bb.38:                               ;   in Loop: Header=BB58_36 Depth=5
	v_add_u32_e32 v34, s56, v54
	v_add_u32_e32 v32, s56, v55
	s_branch .LBB58_34
.LBB58_39:                              ;   in Loop: Header=BB58_4 Depth=1
	s_or_b64 exec, exec, s[40:41]
.LBB58_40:                              ;   in Loop: Header=BB58_4 Depth=1
	s_or_b64 exec, exec, s[38:39]
	v_add_u32_e32 v32, v45, v40
	s_mov_b32 s42, 0
	v_mov_b32_e32 v33, v43
	s_branch .LBB58_43
.LBB58_41:                              ;   in Loop: Header=BB58_43 Depth=2
	v_mul_f64 v[28:29], v[2:3], v[2:3]
	v_fmac_f64_e32 v[28:29], v[20:21], v[20:21]
	v_div_scale_f64 v[30:31], s[12:13], v[28:29], v[28:29], 1.0
	v_rcp_f64_e32 v[34:35], v[30:31]
	s_waitcnt vmcnt(0)
	v_add_f64 v[24:25], v[6:7], -v[24:25]
	v_add_f64 v[8:9], v[8:9], -v[26:27]
	v_fma_f64 v[6:7], -v[30:31], v[34:35], 1.0
	v_fmac_f64_e32 v[34:35], v[34:35], v[6:7]
	v_fma_f64 v[6:7], -v[30:31], v[34:35], 1.0
	v_fmac_f64_e32 v[34:35], v[34:35], v[6:7]
	v_div_scale_f64 v[6:7], vcc, 1.0, v[28:29], 1.0
	v_mul_f64 v[26:27], v[6:7], v[34:35]
	v_fma_f64 v[6:7], -v[30:31], v[26:27], v[6:7]
	s_nop 1
	v_div_fmas_f64 v[6:7], v[6:7], v[34:35], v[26:27]
	v_div_fixup_f64 v[26:27], v[6:7], v[28:29], 1.0
	v_mul_f64 v[6:7], v[2:3], v[8:9]
	v_mul_f64 v[2:3], v[2:3], -v[24:25]
	v_fmac_f64_e32 v[6:7], v[24:25], v[20:21]
	v_fmac_f64_e32 v[2:3], v[8:9], v[20:21]
	v_mul_f64 v[6:7], v[26:27], v[6:7]
	v_mul_f64 v[8:9], v[26:27], v[2:3]
	v_fmac_f64_e32 v[18:19], v[6:7], v[6:7]
	v_fmac_f64_e32 v[16:17], v[8:9], v[6:7]
	;; [unrolled: 1-line block ×3, first 2 shown]
	v_fma_f64 v[16:17], v[6:7], -v[8:9], v[16:17]
	global_store_dwordx4 v[22:23], v[6:9], off
.LBB58_42:                              ;   in Loop: Header=BB58_43 Depth=2
	s_or_b64 exec, exec, s[10:11]
	s_add_i32 s42, s42, 1
	s_cmp_eq_u32 s42, s52
	v_add_u32_e32 v33, 1, v33
	buffer_wbl2 sc1
	s_waitcnt vmcnt(0)
	buffer_inv sc1
	s_cbranch_scc1 .LBB58_3
.LBB58_43:                              ;   Parent Loop BB58_4 Depth=1
                                        ; =>  This Loop Header: Depth=2
                                        ;       Child Loop BB58_53 Depth 3
                                        ;       Child Loop BB58_61 Depth 3
                                        ;         Child Loop BB58_63 Depth 4
                                        ;       Child Loop BB58_71 Depth 3
	s_mul_i32 s43, s42, s52
	v_add_u32_e32 v34, s43, v40
	v_add_u32_e32 v2, s42, v34
	v_ashrrev_i32_e32 v3, 31, v2
	v_cmp_eq_u32_e32 vcc, s42, v13
	v_lshl_add_u64 v[6:7], v[2:3], 4, s[28:29]
	s_and_saveexec_b64 s[10:11], vcc
	s_cbranch_execz .LBB58_51
; %bb.44:                               ;   in Loop: Header=BB58_43 Depth=2
	global_load_dwordx4 v[20:23], v[6:7], off
	s_waitcnt vmcnt(0)
	v_add_f64 v[2:3], v[20:21], -v[18:19]
	v_add_f64 v[22:23], v[22:23], -v[16:17]
	v_xor_b32_e32 v5, 0x80000000, v3
	v_cmp_gt_f64_e32 vcc, 0, v[2:3]
	v_xor_b32_e32 v8, 0x80000000, v23
                                        ; implicit-def: $vgpr20_vgpr21
	s_nop 0
	v_cndmask_b32_e32 v3, v3, v5, vcc
	v_cmp_gt_f64_e32 vcc, 0, v[22:23]
	s_nop 1
	v_cndmask_b32_e32 v9, v23, v8, vcc
	v_mov_b32_e32 v8, v22
	v_cmp_ngt_f64_e32 vcc, v[2:3], v[8:9]
	s_and_saveexec_b64 s[12:13], vcc
	s_xor_b64 s[12:13], exec, s[12:13]
	s_cbranch_execz .LBB58_48
; %bb.45:                               ;   in Loop: Header=BB58_43 Depth=2
	v_mov_b64_e32 v[20:21], 0
	v_cmp_neq_f64_e32 vcc, 0, v[22:23]
	s_and_saveexec_b64 s[38:39], vcc
	s_cbranch_execz .LBB58_47
; %bb.46:                               ;   in Loop: Header=BB58_43 Depth=2
	v_div_scale_f64 v[20:21], s[40:41], v[8:9], v[8:9], v[2:3]
	v_rcp_f64_e32 v[22:23], v[20:21]
	v_div_scale_f64 v[24:25], vcc, v[2:3], v[8:9], v[2:3]
	v_fma_f64 v[26:27], -v[20:21], v[22:23], 1.0
	v_fmac_f64_e32 v[22:23], v[22:23], v[26:27]
	v_fma_f64 v[26:27], -v[20:21], v[22:23], 1.0
	v_fmac_f64_e32 v[22:23], v[22:23], v[26:27]
	v_mul_f64 v[26:27], v[24:25], v[22:23]
	v_fma_f64 v[20:21], -v[20:21], v[26:27], v[24:25]
	v_div_fmas_f64 v[20:21], v[20:21], v[22:23], v[26:27]
	v_div_fixup_f64 v[2:3], v[20:21], v[8:9], v[2:3]
	v_fma_f64 v[2:3], v[2:3], v[2:3], 1.0
	v_cmp_gt_f64_e32 vcc, s[34:35], v[2:3]
	s_nop 1
	v_cndmask_b32_e32 v5, 0, v38, vcc
	v_ldexp_f64 v[2:3], v[2:3], v5
	v_rsq_f64_e32 v[20:21], v[2:3]
	v_cndmask_b32_e32 v5, 0, v39, vcc
	v_cmp_class_f64_e32 vcc, v[2:3], v36
	v_mul_f64 v[22:23], v[2:3], v[20:21]
	v_mul_f64 v[20:21], v[20:21], 0.5
	v_fma_f64 v[24:25], -v[20:21], v[22:23], 0.5
	v_fmac_f64_e32 v[22:23], v[22:23], v[24:25]
	v_fma_f64 v[26:27], -v[22:23], v[22:23], v[2:3]
	v_fmac_f64_e32 v[20:21], v[20:21], v[24:25]
	v_fmac_f64_e32 v[22:23], v[26:27], v[20:21]
	v_fma_f64 v[24:25], -v[22:23], v[22:23], v[2:3]
	v_fmac_f64_e32 v[22:23], v[24:25], v[20:21]
	v_ldexp_f64 v[20:21], v[22:23], v5
	v_cndmask_b32_e32 v3, v21, v3, vcc
	v_cndmask_b32_e32 v2, v20, v2, vcc
	v_mul_f64 v[20:21], v[8:9], v[2:3]
.LBB58_47:                              ;   in Loop: Header=BB58_43 Depth=2
	s_or_b64 exec, exec, s[38:39]
                                        ; implicit-def: $vgpr2_vgpr3
                                        ; implicit-def: $vgpr8_vgpr9
.LBB58_48:                              ;   in Loop: Header=BB58_43 Depth=2
	s_andn2_saveexec_b64 s[12:13], s[12:13]
	s_cbranch_execz .LBB58_50
; %bb.49:                               ;   in Loop: Header=BB58_43 Depth=2
	v_div_scale_f64 v[20:21], s[38:39], v[2:3], v[2:3], v[8:9]
	v_rcp_f64_e32 v[22:23], v[20:21]
	v_div_scale_f64 v[24:25], vcc, v[8:9], v[2:3], v[8:9]
	v_fma_f64 v[26:27], -v[20:21], v[22:23], 1.0
	v_fmac_f64_e32 v[22:23], v[22:23], v[26:27]
	v_fma_f64 v[26:27], -v[20:21], v[22:23], 1.0
	v_fmac_f64_e32 v[22:23], v[22:23], v[26:27]
	v_mul_f64 v[26:27], v[24:25], v[22:23]
	v_fma_f64 v[20:21], -v[20:21], v[26:27], v[24:25]
	v_div_fmas_f64 v[20:21], v[20:21], v[22:23], v[26:27]
	v_div_fixup_f64 v[8:9], v[20:21], v[2:3], v[8:9]
	v_fma_f64 v[8:9], v[8:9], v[8:9], 1.0
	v_cmp_gt_f64_e32 vcc, s[34:35], v[8:9]
	s_nop 1
	v_cndmask_b32_e32 v5, 0, v38, vcc
	v_ldexp_f64 v[8:9], v[8:9], v5
	v_rsq_f64_e32 v[20:21], v[8:9]
	v_cndmask_b32_e32 v5, 0, v39, vcc
	v_cmp_class_f64_e32 vcc, v[8:9], v36
	v_mul_f64 v[22:23], v[8:9], v[20:21]
	v_mul_f64 v[20:21], v[20:21], 0.5
	v_fma_f64 v[24:25], -v[20:21], v[22:23], 0.5
	v_fmac_f64_e32 v[22:23], v[22:23], v[24:25]
	v_fma_f64 v[26:27], -v[22:23], v[22:23], v[8:9]
	v_fmac_f64_e32 v[20:21], v[20:21], v[24:25]
	v_fmac_f64_e32 v[22:23], v[26:27], v[20:21]
	v_fma_f64 v[24:25], -v[22:23], v[22:23], v[8:9]
	v_fmac_f64_e32 v[22:23], v[24:25], v[20:21]
	v_ldexp_f64 v[20:21], v[22:23], v5
	v_cndmask_b32_e32 v9, v21, v9, vcc
	v_cndmask_b32_e32 v8, v20, v8, vcc
	v_mul_f64 v[20:21], v[2:3], v[8:9]
.LBB58_50:                              ;   in Loop: Header=BB58_43 Depth=2
	s_or_b64 exec, exec, s[12:13]
	v_cmp_gt_f64_e32 vcc, s[34:35], v[20:21]
	s_nop 1
	v_cndmask_b32_e32 v2, 0, v38, vcc
	v_ldexp_f64 v[2:3], v[20:21], v2
	v_rsq_f64_e32 v[8:9], v[2:3]
	v_cndmask_b32_e32 v5, 0, v39, vcc
	v_cmp_class_f64_e32 vcc, v[2:3], v36
	v_mul_f64 v[20:21], v[2:3], v[8:9]
	v_mul_f64 v[8:9], v[8:9], 0.5
	v_fma_f64 v[22:23], -v[8:9], v[20:21], 0.5
	v_fmac_f64_e32 v[20:21], v[20:21], v[22:23]
	v_fmac_f64_e32 v[8:9], v[8:9], v[22:23]
	v_fma_f64 v[22:23], -v[20:21], v[20:21], v[2:3]
	v_fmac_f64_e32 v[20:21], v[22:23], v[8:9]
	v_fma_f64 v[22:23], -v[20:21], v[20:21], v[2:3]
	v_fmac_f64_e32 v[20:21], v[22:23], v[8:9]
	v_ldexp_f64 v[8:9], v[20:21], v5
	v_cndmask_b32_e32 v3, v9, v3, vcc
	v_cndmask_b32_e32 v2, v8, v2, vcc
	v_mov_b32_e32 v5, v4
	global_store_dwordx4 v[6:7], v[2:5], off
.LBB58_51:                              ;   in Loop: Header=BB58_43 Depth=2
	s_or_b64 exec, exec, s[10:11]
	buffer_wbl2 sc1
	s_waitcnt vmcnt(0)
	buffer_inv sc1
	global_load_dwordx4 v[6:9], v[6:7], off
	s_waitcnt vmcnt(0)
	v_cmp_neq_f64_e32 vcc, 0, v[6:7]
	v_cmp_neq_f64_e64 s[10:11], 0, v[8:9]
	s_or_b64 vcc, vcc, s[10:11]
	v_cndmask_b32_e32 v3, 0, v9, vcc
	s_nor_b64 s[12:13], vcc, s[0:1]
	v_cndmask_b32_e32 v2, 0, v8, vcc
	v_cndmask_b32_e32 v21, v37, v7, vcc
	;; [unrolled: 1-line block ×3, first 2 shown]
	s_and_saveexec_b64 s[10:11], s[12:13]
	s_cbranch_execz .LBB58_57
; %bb.52:                               ;   in Loop: Header=BB58_43 Depth=2
	s_mov_b64 s[12:13], exec
	s_brev_b32 s38, -2
.LBB58_53:                              ;   Parent Loop BB58_4 Depth=1
                                        ;     Parent Loop BB58_43 Depth=2
                                        ; =>    This Inner Loop Header: Depth=3
	s_ff1_i32_b64 s39, s[12:13]
	v_add_u32_e32 v2, s33, v10
	s_lshl_b64 s[40:41], 1, s39
	v_readlane_b32 s44, v2, s39
	s_min_i32 s38, s38, s44
	s_andn2_b64 s[12:13], s[12:13], s[40:41]
	s_cmp_lg_u64 s[12:13], 0
	s_cbranch_scc1 .LBB58_53
; %bb.54:                               ;   in Loop: Header=BB58_43 Depth=2
	v_mbcnt_lo_u32_b32 v2, exec_lo, 0
	v_mbcnt_hi_u32_b32 v2, exec_hi, v2
	v_cmp_eq_u32_e32 vcc, 0, v2
	s_and_saveexec_b64 s[12:13], vcc
	s_xor_b64 s[12:13], exec, s[12:13]
	s_cbranch_execz .LBB58_56
; %bb.55:                               ;   in Loop: Header=BB58_43 Depth=2
	v_mov_b32_e32 v2, s38
	global_atomic_smin v4, v2, s[22:23]
.LBB58_56:                              ;   in Loop: Header=BB58_43 Depth=2
	s_or_b64 exec, exec, s[12:13]
	v_mov_b64_e32 v[2:3], 0
	v_mov_b64_e32 v[20:21], 1.0
.LBB58_57:                              ;   in Loop: Header=BB58_43 Depth=2
	s_or_b64 exec, exec, s[10:11]
	v_cmp_lt_i32_e32 vcc, s42, v13
	s_and_saveexec_b64 s[10:11], vcc
	s_cbranch_execz .LBB58_42
; %bb.58:                               ;   in Loop: Header=BB58_43 Depth=2
	v_add_u32_e32 v5, s42, v32
	v_add_u32_e32 v6, v34, v13
	v_cndmask_b32_e64 v6, v6, v5, s[2:3]
	v_ashrrev_i32_e32 v7, 31, v6
	v_lshl_add_u64 v[22:23], v[6:7], 4, s[28:29]
	global_load_dwordx4 v[6:9], v[22:23], off
	v_mov_b64_e32 v[24:25], 0
	v_mov_b64_e32 v[26:27], 0
	s_and_saveexec_b64 s[12:13], s[4:5]
	s_cbranch_execz .LBB58_68
; %bb.59:                               ;   in Loop: Header=BB58_43 Depth=2
	v_mov_b64_e32 v[24:25], 0
	s_mov_b64 s[38:39], 0
	v_mov_b32_e32 v5, v33
	v_mov_b32_e32 v35, v44
	;; [unrolled: 1-line block ×3, first 2 shown]
	v_mov_b64_e32 v[26:27], 0
	s_branch .LBB58_61
.LBB58_60:                              ;   in Loop: Header=BB58_61 Depth=3
	v_add_u32_e32 v46, 1, v46
	v_cmp_ge_i32_e32 vcc, v46, v1
	v_add_u32_e32 v35, s53, v35
	s_or_b64 s[38:39], vcc, s[38:39]
	v_add_u32_e32 v5, s53, v5
	s_andn2_b64 exec, exec, s[38:39]
	s_cbranch_execz .LBB58_67
.LBB58_61:                              ;   Parent Loop BB58_4 Depth=1
                                        ;     Parent Loop BB58_43 Depth=2
                                        ; =>    This Loop Header: Depth=3
                                        ;         Child Loop BB58_63 Depth 4
	v_mul_lo_u32 v28, v46, s53
	v_add_u32_e32 v47, s43, v28
	v_add_u32_e32 v48, v28, v45
	s_mov_b32 s44, 0
	s_mov_b32 s45, s52
	;; [unrolled: 1-line block ×3, first 2 shown]
	s_branch .LBB58_63
.LBB58_62:                              ;   in Loop: Header=BB58_63 Depth=4
	v_ashrrev_i32_e32 v31, 31, v30
	v_lshl_add_u64 v[54:55], v[30:31], 4, s[28:29]
	v_ashrrev_i32_e32 v29, 31, v28
	v_lshl_add_u64 v[56:57], v[28:29], 4, s[28:29]
	global_load_dwordx4 v[28:31], v[54:55], off
	global_load_dwordx4 v[50:53], v[56:57], off
	s_add_i32 s46, s46, 1
	s_add_i32 s44, s44, s52
	s_add_i32 s45, s45, -1
	s_cmp_eq_u32 s45, 0
	s_waitcnt vmcnt(0)
	v_fmac_f64_e32 v[24:25], v[50:51], v[28:29]
	v_fmac_f64_e32 v[26:27], v[52:53], v[28:29]
	;; [unrolled: 1-line block ×3, first 2 shown]
	v_fma_f64 v[26:27], v[50:51], -v[30:31], v[26:27]
	s_cbranch_scc1 .LBB58_60
.LBB58_63:                              ;   Parent Loop BB58_4 Depth=1
                                        ;     Parent Loop BB58_43 Depth=2
                                        ;       Parent Loop BB58_61 Depth=3
                                        ; =>      This Inner Loop Header: Depth=4
	s_mov_b64 s[40:41], -1
	s_and_b64 vcc, exec, s[36:37]
                                        ; implicit-def: $vgpr30
                                        ; implicit-def: $vgpr28
	s_cbranch_vccz .LBB58_65
; %bb.64:                               ;   in Loop: Header=BB58_63 Depth=4
	v_add_u32_e32 v28, s44, v5
	v_add_u32_e32 v30, s44, v35
	s_mov_b64 s[40:41], 0
.LBB58_65:                              ;   in Loop: Header=BB58_63 Depth=4
	s_andn2_b64 vcc, exec, s[40:41]
	s_cbranch_vccnz .LBB58_62
; %bb.66:                               ;   in Loop: Header=BB58_63 Depth=4
	v_add_u32_e32 v28, s46, v47
	v_add_u32_e32 v30, s46, v48
	s_branch .LBB58_62
.LBB58_67:                              ;   in Loop: Header=BB58_43 Depth=2
	s_or_b64 exec, exec, s[38:39]
.LBB58_68:                              ;   in Loop: Header=BB58_43 Depth=2
	s_or_b64 exec, exec, s[12:13]
	s_cmp_eq_u32 s42, 0
	s_cbranch_scc1 .LBB58_41
; %bb.69:                               ;   in Loop: Header=BB58_43 Depth=2
	s_mov_b32 s38, 0
	v_mov_b32_e32 v5, v40
	s_branch .LBB58_71
.LBB58_70:                              ;   in Loop: Header=BB58_71 Depth=3
	v_ashrrev_i32_e32 v31, 31, v30
	v_lshl_add_u64 v[50:51], v[30:31], 4, s[28:29]
	v_ashrrev_i32_e32 v29, 31, v28
	v_lshl_add_u64 v[52:53], v[28:29], 4, s[28:29]
	global_load_dwordx4 v[28:31], v[50:51], off
	global_load_dwordx4 v[46:49], v[52:53], off
	s_add_i32 s38, s38, 1
	s_cmp_eq_u32 s42, s38
	v_add_u32_e32 v5, s52, v5
	s_waitcnt vmcnt(0)
	v_fmac_f64_e32 v[24:25], v[46:47], v[28:29]
	v_fmac_f64_e32 v[26:27], v[48:49], v[28:29]
	;; [unrolled: 1-line block ×3, first 2 shown]
	v_fma_f64 v[26:27], v[46:47], -v[30:31], v[26:27]
	s_cbranch_scc1 .LBB58_41
.LBB58_71:                              ;   Parent Loop BB58_4 Depth=1
                                        ;     Parent Loop BB58_43 Depth=2
                                        ; =>    This Inner Loop Header: Depth=3
	s_mov_b64 s[12:13], -1
	s_and_b64 vcc, exec, s[36:37]
                                        ; implicit-def: $vgpr30
                                        ; implicit-def: $vgpr28
	s_cbranch_vccz .LBB58_73
; %bb.72:                               ;   in Loop: Header=BB58_71 Depth=3
	v_add_u32_e32 v28, s42, v5
	v_add_u32_e32 v30, v13, v5
	s_mov_b64 s[12:13], 0
.LBB58_73:                              ;   in Loop: Header=BB58_71 Depth=3
	s_andn2_b64 vcc, exec, s[12:13]
	s_cbranch_vccnz .LBB58_70
; %bb.74:                               ;   in Loop: Header=BB58_71 Depth=3
	v_add_u32_e32 v28, s38, v34
	v_add_u32_e32 v30, s38, v32
	s_branch .LBB58_70
.LBB58_75:
	s_or_b64 exec, exec, s[20:21]
	v_cmp_eq_u32_e32 vcc, 63, v0
	s_and_saveexec_b64 s[0:1], vcc
	s_cbranch_execz .LBB58_77
; %bb.76:
	v_lshl_add_u64 v[0:1], v[10:11], 2, s[18:19]
	v_mov_b32_e32 v2, 1
	buffer_wbl2 sc1
	global_store_dword v[0:1], v2, off sc1
.LBB58_77:
	s_or_b64 exec, exec, s[0:1]
                                        ; implicit-def: $vgpr0
                                        ; implicit-def: $vgpr10_vgpr11
.LBB58_78:
	s_andn2_saveexec_b64 s[0:1], s[14:15]
	s_cbranch_execz .LBB58_85
; %bb.79:
	v_cmp_eq_u32_e32 vcc, 63, v0
	s_and_saveexec_b64 s[0:1], vcc
	s_cbranch_execz .LBB58_85
; %bb.80:
	s_mov_b64 s[0:1], exec
	v_add_u32_e32 v0, s33, v10
	s_brev_b32 s2, -2
.LBB58_81:                              ; =>This Inner Loop Header: Depth=1
	s_ff1_i32_b64 s3, s[0:1]
	v_readlane_b32 s6, v0, s3
	s_lshl_b64 s[4:5], 1, s3
	s_min_i32 s2, s2, s6
	s_andn2_b64 s[0:1], s[0:1], s[4:5]
	s_cmp_lg_u64 s[0:1], 0
	s_cbranch_scc1 .LBB58_81
; %bb.82:
	v_mbcnt_lo_u32_b32 v0, exec_lo, 0
	v_mbcnt_hi_u32_b32 v0, exec_hi, v0
	v_cmp_eq_u32_e32 vcc, 0, v0
	s_and_saveexec_b64 s[0:1], vcc
	s_xor_b64 s[0:1], exec, s[0:1]
	s_cbranch_execz .LBB58_84
; %bb.83:
	v_mov_b32_e32 v0, 0
	v_mov_b32_e32 v1, s2
	global_atomic_smin v0, v1, s[22:23]
.LBB58_84:
	s_or_b64 exec, exec, s[0:1]
	v_lshl_add_u64 v[0:1], v[10:11], 2, s[18:19]
	v_mov_b32_e32 v2, 1
	buffer_wbl2 sc1
	s_waitcnt vmcnt(0)
	global_store_dword v[0:1], v2, off sc1
.LBB58_85:
	s_endpgm
	.section	.rodata,"a",@progbits
	.p2align	6, 0x0
	.amdhsa_kernel _ZN9rocsparseL23bsric0_binsearch_kernelILj64ELj64ELb1E21rocsparse_complex_numIdEEEv20rocsparse_direction_iiPKiS5_PT2_S5_PiS5_S8_21rocsparse_index_base_
		.amdhsa_group_segment_fixed_size 0
		.amdhsa_private_segment_fixed_size 0
		.amdhsa_kernarg_size 76
		.amdhsa_user_sgpr_count 2
		.amdhsa_user_sgpr_dispatch_ptr 0
		.amdhsa_user_sgpr_queue_ptr 0
		.amdhsa_user_sgpr_kernarg_segment_ptr 1
		.amdhsa_user_sgpr_dispatch_id 0
		.amdhsa_user_sgpr_kernarg_preload_length 0
		.amdhsa_user_sgpr_kernarg_preload_offset 0
		.amdhsa_user_sgpr_private_segment_size 0
		.amdhsa_uses_dynamic_stack 0
		.amdhsa_enable_private_segment 0
		.amdhsa_system_sgpr_workgroup_id_x 1
		.amdhsa_system_sgpr_workgroup_id_y 0
		.amdhsa_system_sgpr_workgroup_id_z 0
		.amdhsa_system_sgpr_workgroup_info 0
		.amdhsa_system_vgpr_workitem_id 0
		.amdhsa_next_free_vgpr 62
		.amdhsa_next_free_sgpr 57
		.amdhsa_accum_offset 64
		.amdhsa_reserve_vcc 1
		.amdhsa_float_round_mode_32 0
		.amdhsa_float_round_mode_16_64 0
		.amdhsa_float_denorm_mode_32 3
		.amdhsa_float_denorm_mode_16_64 3
		.amdhsa_dx10_clamp 1
		.amdhsa_ieee_mode 1
		.amdhsa_fp16_overflow 0
		.amdhsa_tg_split 0
		.amdhsa_exception_fp_ieee_invalid_op 0
		.amdhsa_exception_fp_denorm_src 0
		.amdhsa_exception_fp_ieee_div_zero 0
		.amdhsa_exception_fp_ieee_overflow 0
		.amdhsa_exception_fp_ieee_underflow 0
		.amdhsa_exception_fp_ieee_inexact 0
		.amdhsa_exception_int_div_zero 0
	.end_amdhsa_kernel
	.section	.text._ZN9rocsparseL23bsric0_binsearch_kernelILj64ELj64ELb1E21rocsparse_complex_numIdEEEv20rocsparse_direction_iiPKiS5_PT2_S5_PiS5_S8_21rocsparse_index_base_,"axG",@progbits,_ZN9rocsparseL23bsric0_binsearch_kernelILj64ELj64ELb1E21rocsparse_complex_numIdEEEv20rocsparse_direction_iiPKiS5_PT2_S5_PiS5_S8_21rocsparse_index_base_,comdat
.Lfunc_end58:
	.size	_ZN9rocsparseL23bsric0_binsearch_kernelILj64ELj64ELb1E21rocsparse_complex_numIdEEEv20rocsparse_direction_iiPKiS5_PT2_S5_PiS5_S8_21rocsparse_index_base_, .Lfunc_end58-_ZN9rocsparseL23bsric0_binsearch_kernelILj64ELj64ELb1E21rocsparse_complex_numIdEEEv20rocsparse_direction_iiPKiS5_PT2_S5_PiS5_S8_21rocsparse_index_base_
                                        ; -- End function
	.set _ZN9rocsparseL23bsric0_binsearch_kernelILj64ELj64ELb1E21rocsparse_complex_numIdEEEv20rocsparse_direction_iiPKiS5_PT2_S5_PiS5_S8_21rocsparse_index_base_.num_vgpr, 62
	.set _ZN9rocsparseL23bsric0_binsearch_kernelILj64ELj64ELb1E21rocsparse_complex_numIdEEEv20rocsparse_direction_iiPKiS5_PT2_S5_PiS5_S8_21rocsparse_index_base_.num_agpr, 0
	.set _ZN9rocsparseL23bsric0_binsearch_kernelILj64ELj64ELb1E21rocsparse_complex_numIdEEEv20rocsparse_direction_iiPKiS5_PT2_S5_PiS5_S8_21rocsparse_index_base_.numbered_sgpr, 57
	.set _ZN9rocsparseL23bsric0_binsearch_kernelILj64ELj64ELb1E21rocsparse_complex_numIdEEEv20rocsparse_direction_iiPKiS5_PT2_S5_PiS5_S8_21rocsparse_index_base_.num_named_barrier, 0
	.set _ZN9rocsparseL23bsric0_binsearch_kernelILj64ELj64ELb1E21rocsparse_complex_numIdEEEv20rocsparse_direction_iiPKiS5_PT2_S5_PiS5_S8_21rocsparse_index_base_.private_seg_size, 0
	.set _ZN9rocsparseL23bsric0_binsearch_kernelILj64ELj64ELb1E21rocsparse_complex_numIdEEEv20rocsparse_direction_iiPKiS5_PT2_S5_PiS5_S8_21rocsparse_index_base_.uses_vcc, 1
	.set _ZN9rocsparseL23bsric0_binsearch_kernelILj64ELj64ELb1E21rocsparse_complex_numIdEEEv20rocsparse_direction_iiPKiS5_PT2_S5_PiS5_S8_21rocsparse_index_base_.uses_flat_scratch, 0
	.set _ZN9rocsparseL23bsric0_binsearch_kernelILj64ELj64ELb1E21rocsparse_complex_numIdEEEv20rocsparse_direction_iiPKiS5_PT2_S5_PiS5_S8_21rocsparse_index_base_.has_dyn_sized_stack, 0
	.set _ZN9rocsparseL23bsric0_binsearch_kernelILj64ELj64ELb1E21rocsparse_complex_numIdEEEv20rocsparse_direction_iiPKiS5_PT2_S5_PiS5_S8_21rocsparse_index_base_.has_recursion, 0
	.set _ZN9rocsparseL23bsric0_binsearch_kernelILj64ELj64ELb1E21rocsparse_complex_numIdEEEv20rocsparse_direction_iiPKiS5_PT2_S5_PiS5_S8_21rocsparse_index_base_.has_indirect_call, 0
	.section	.AMDGPU.csdata,"",@progbits
; Kernel info:
; codeLenInByte = 3324
; TotalNumSgprs: 63
; NumVgprs: 62
; NumAgprs: 0
; TotalNumVgprs: 62
; ScratchSize: 0
; MemoryBound: 0
; FloatMode: 240
; IeeeMode: 1
; LDSByteSize: 0 bytes/workgroup (compile time only)
; SGPRBlocks: 7
; VGPRBlocks: 7
; NumSGPRsForWavesPerEU: 63
; NumVGPRsForWavesPerEU: 62
; AccumOffset: 64
; Occupancy: 8
; WaveLimiterHint : 1
; COMPUTE_PGM_RSRC2:SCRATCH_EN: 0
; COMPUTE_PGM_RSRC2:USER_SGPR: 2
; COMPUTE_PGM_RSRC2:TRAP_HANDLER: 0
; COMPUTE_PGM_RSRC2:TGID_X_EN: 1
; COMPUTE_PGM_RSRC2:TGID_Y_EN: 0
; COMPUTE_PGM_RSRC2:TGID_Z_EN: 0
; COMPUTE_PGM_RSRC2:TIDIG_COMP_CNT: 0
; COMPUTE_PGM_RSRC3_GFX90A:ACCUM_OFFSET: 15
; COMPUTE_PGM_RSRC3_GFX90A:TG_SPLIT: 0
	.section	.text._ZN9rocsparseL26bsric0_2_8_unrolled_kernelILi1ELi32ELi1E21rocsparse_complex_numIdEEEv20rocsparse_direction_iiPKiS5_PT2_S5_PiS5_S8_21rocsparse_index_base_,"axG",@progbits,_ZN9rocsparseL26bsric0_2_8_unrolled_kernelILi1ELi32ELi1E21rocsparse_complex_numIdEEEv20rocsparse_direction_iiPKiS5_PT2_S5_PiS5_S8_21rocsparse_index_base_,comdat
	.globl	_ZN9rocsparseL26bsric0_2_8_unrolled_kernelILi1ELi32ELi1E21rocsparse_complex_numIdEEEv20rocsparse_direction_iiPKiS5_PT2_S5_PiS5_S8_21rocsparse_index_base_ ; -- Begin function _ZN9rocsparseL26bsric0_2_8_unrolled_kernelILi1ELi32ELi1E21rocsparse_complex_numIdEEEv20rocsparse_direction_iiPKiS5_PT2_S5_PiS5_S8_21rocsparse_index_base_
	.p2align	8
	.type	_ZN9rocsparseL26bsric0_2_8_unrolled_kernelILi1ELi32ELi1E21rocsparse_complex_numIdEEEv20rocsparse_direction_iiPKiS5_PT2_S5_PiS5_S8_21rocsparse_index_base_,@function
_ZN9rocsparseL26bsric0_2_8_unrolled_kernelILi1ELi32ELi1E21rocsparse_complex_numIdEEEv20rocsparse_direction_iiPKiS5_PT2_S5_PiS5_S8_21rocsparse_index_base_: ; @_ZN9rocsparseL26bsric0_2_8_unrolled_kernelILi1ELi32ELi1E21rocsparse_complex_numIdEEEv20rocsparse_direction_iiPKiS5_PT2_S5_PiS5_S8_21rocsparse_index_base_
; %bb.0:
	s_load_dwordx8 s[4:11], s[0:1], 0x28
	s_mov_b32 s3, 0
	s_lshl_b64 s[2:3], s[2:3], 2
	s_waitcnt lgkmcnt(0)
	s_add_u32 s2, s8, s2
	s_addc_u32 s3, s9, s3
	s_load_dword s8, s[2:3], 0x0
	s_waitcnt lgkmcnt(0)
	s_ashr_i32 s9, s8, 31
	s_lshl_b64 s[2:3], s[8:9], 2
	s_add_u32 s12, s4, s2
	s_addc_u32 s13, s5, s3
	s_load_dword s16, s[12:13], 0x0
	s_load_dword s9, s[0:1], 0x48
	s_waitcnt lgkmcnt(0)
	s_cmp_lg_u32 s16, -1
	s_cbranch_scc0 .LBB59_15
; %bb.1:
	s_load_dwordx4 s[12:15], s[0:1], 0x10
	s_waitcnt lgkmcnt(0)
	s_add_u32 s18, s12, s2
	s_addc_u32 s19, s13, s3
	s_load_dword s22, s[18:19], 0x0
	s_waitcnt lgkmcnt(0)
	s_sub_i32 s17, s22, s9
	s_cmp_gt_i32 s17, s16
	s_cbranch_scc1 .LBB59_13
; %bb.2:
	s_add_i32 s18, s16, s9
	s_sub_i32 s23, s18, s22
	s_add_i32 s23, s23, 1
	s_mov_b64 s[20:21], -1
	s_cmp_lt_u32 s23, 2
	s_mov_b32 s18, s17
	s_cbranch_scc1 .LBB59_10
; %bb.3:
	s_add_i32 s18, s23, -2
	s_lshr_b32 s21, s18, 1
	s_add_i32 s21, s21, 1
	s_cmp_lt_u32 s18, 14
	s_mov_b32 s20, 0
	s_cbranch_scc1 .LBB59_6
; %bb.4:
	s_and_b32 s24, s21, -8
	s_movk_i32 s25, 0x100
.LBB59_5:                               ; =>This Inner Loop Header: Depth=1
	s_add_i32 s18, s17, s20
	s_ashr_i32 s19, s18, 31
	s_lshl_b64 s[26:27], s[18:19], 2
	s_add_u32 s26, s14, s26
	s_addc_u32 s27, s15, s27
	s_load_dwordx2 s[30:31], s[26:27], 0x0
	s_add_i32 s28, s18, 2
	s_ashr_i32 s29, s28, 31
	s_lshl_b64 s[26:27], s[28:29], 2
	v_mov_b32_e32 v0, s25
	s_waitcnt lgkmcnt(0)
	s_sub_i32 s19, s31, s9
	s_sub_i32 s28, s30, s9
	s_add_u32 s26, s14, s26
	s_addc_u32 s27, s15, s27
	s_load_dwordx2 s[30:31], s[26:27], 0x0
	v_mov_b32_e32 v1, s28
	s_add_i32 s28, s18, 4
	s_ashr_i32 s29, s28, 31
	v_mov_b32_e32 v2, s19
	s_lshl_b64 s[26:27], s[28:29], 2
	s_waitcnt lgkmcnt(0)
	s_sub_i32 s19, s31, s9
	s_sub_i32 s28, s30, s9
	s_add_u32 s26, s14, s26
	s_addc_u32 s27, s15, s27
	s_load_dwordx2 s[30:31], s[26:27], 0x0
	ds_write2_b32 v0, v1, v2 offset1:1
	v_mov_b32_e32 v1, s28
	s_add_i32 s28, s18, 6
	s_ashr_i32 s29, s28, 31
	v_mov_b32_e32 v2, s19
	s_lshl_b64 s[26:27], s[28:29], 2
	s_waitcnt lgkmcnt(0)
	s_sub_i32 s19, s31, s9
	s_sub_i32 s28, s30, s9
	s_add_u32 s26, s14, s26
	s_addc_u32 s27, s15, s27
	s_load_dwordx2 s[30:31], s[26:27], 0x0
	ds_write2_b32 v0, v1, v2 offset0:2 offset1:3
	v_mov_b32_e32 v1, s28
	s_add_i32 s28, s18, 8
	s_ashr_i32 s29, s28, 31
	v_mov_b32_e32 v2, s19
	s_lshl_b64 s[26:27], s[28:29], 2
	s_waitcnt lgkmcnt(0)
	s_sub_i32 s19, s31, s9
	s_sub_i32 s28, s30, s9
	s_add_u32 s26, s14, s26
	s_addc_u32 s27, s15, s27
	s_load_dwordx2 s[30:31], s[26:27], 0x0
	ds_write2_b32 v0, v1, v2 offset0:4 offset1:5
	v_mov_b32_e32 v1, s28
	s_add_i32 s28, s18, 10
	s_ashr_i32 s29, s28, 31
	v_mov_b32_e32 v2, s19
	s_lshl_b64 s[26:27], s[28:29], 2
	s_waitcnt lgkmcnt(0)
	s_sub_i32 s19, s31, s9
	s_sub_i32 s28, s30, s9
	s_add_u32 s26, s14, s26
	s_addc_u32 s27, s15, s27
	s_load_dwordx2 s[30:31], s[26:27], 0x0
	ds_write2_b32 v0, v1, v2 offset0:6 offset1:7
	v_mov_b32_e32 v1, s28
	s_add_i32 s28, s18, 12
	s_ashr_i32 s29, s28, 31
	v_mov_b32_e32 v2, s19
	s_lshl_b64 s[26:27], s[28:29], 2
	s_waitcnt lgkmcnt(0)
	s_sub_i32 s19, s31, s9
	s_sub_i32 s28, s30, s9
	s_add_u32 s26, s14, s26
	s_addc_u32 s27, s15, s27
	ds_write2_b32 v0, v1, v2 offset0:8 offset1:9
	v_mov_b32_e32 v1, s28
	s_load_dwordx2 s[28:29], s[26:27], 0x0
	s_add_i32 s18, s18, 14
	v_mov_b32_e32 v2, s19
	s_ashr_i32 s19, s18, 31
	s_lshl_b64 s[18:19], s[18:19], 2
	s_waitcnt lgkmcnt(0)
	s_sub_i32 s26, s29, s9
	s_sub_i32 s27, s28, s9
	s_add_u32 s18, s14, s18
	s_addc_u32 s19, s15, s19
	ds_write2_b32 v0, v1, v2 offset0:10 offset1:11
	v_mov_b32_e32 v1, s27
	v_mov_b32_e32 v2, s26
	s_load_dwordx2 s[26:27], s[18:19], 0x0
	s_add_i32 s20, s20, 16
	s_add_i32 s25, s25, 64
	s_add_i32 s24, s24, -8
	ds_write2_b32 v0, v1, v2 offset0:12 offset1:13
	s_waitcnt lgkmcnt(0)
	s_sub_i32 s18, s27, s9
	s_sub_i32 s19, s26, s9
	v_mov_b32_e32 v1, s19
	v_mov_b32_e32 v2, s18
	s_cmp_lg_u32 s24, 0
	ds_write2_b32 v0, v1, v2 offset0:14 offset1:15
	s_cbranch_scc1 .LBB59_5
.LBB59_6:
	s_and_b32 s21, s21, 7
	s_cmp_eq_u32 s21, 0
	s_cbranch_scc1 .LBB59_9
; %bb.7:
	s_lshl_b32 s18, s20, 2
	s_add_i32 s24, s18, 0x100
	s_add_i32 s18, s20, s22
	s_sub_i32 s18, s18, s9
.LBB59_8:                               ; =>This Inner Loop Header: Depth=1
	s_ashr_i32 s19, s18, 31
	s_lshl_b64 s[26:27], s[18:19], 2
	s_add_u32 s26, s14, s26
	s_addc_u32 s27, s15, s27
	s_load_dwordx2 s[28:29], s[26:27], 0x0
	v_mov_b32_e32 v0, s24
	s_add_i32 s24, s24, 8
	s_add_i32 s18, s18, 2
	s_add_i32 s21, s21, -1
	s_waitcnt lgkmcnt(0)
	s_sub_i32 s19, s29, s9
	s_sub_i32 s20, s28, s9
	v_mov_b32_e32 v1, s20
	v_mov_b32_e32 v2, s19
	s_cmp_lg_u32 s21, 0
	ds_write2_b32 v0, v1, v2 offset1:1
	s_cbranch_scc1 .LBB59_8
.LBB59_9:
	s_and_b32 s19, s23, -2
	s_add_i32 s18, s17, s19
	s_cmp_lg_u32 s23, s19
	s_cselect_b64 s[20:21], -1, 0
.LBB59_10:
	s_and_b64 vcc, exec, s[20:21]
	s_cbranch_vccz .LBB59_13
; %bb.11:
	s_add_i32 s19, s18, s9
	s_sub_i32 s19, s19, s22
	s_lshl_b32 s19, s19, 2
	s_add_i32 s21, s19, 0x100
	s_ashr_i32 s19, s18, 31
	s_add_i32 s20, s18, -1
	s_lshl_b64 s[18:19], s[18:19], 2
	s_add_u32 s18, s14, s18
	s_addc_u32 s19, s15, s19
.LBB59_12:                              ; =>This Inner Loop Header: Depth=1
	s_load_dword s22, s[18:19], 0x0
	v_mov_b32_e32 v0, s21
	s_add_i32 s20, s20, 1
	s_add_i32 s21, s21, 4
	s_waitcnt lgkmcnt(0)
	s_sub_i32 s22, s22, s9
	s_add_u32 s18, s18, 4
	s_addc_u32 s19, s19, 0
	v_mov_b32_e32 v1, s22
	s_cmp_ge_i32 s20, s16
	ds_write_b32 v0, v1
	s_cbranch_scc0 .LBB59_12
.LBB59_13:
	s_load_dwordx2 s[18:19], s[0:1], 0x20
	v_mov_b32_e32 v0, 0
	s_mov_b32 s33, 0
	v_mov_b32_e32 v1, v0
	v_mov_b32_e32 v2, v0
	v_mov_b32_e32 v3, v0
	s_cmp_lt_i32 s17, s16
	ds_write_b128 v0, v[0:3] offset:480
	s_waitcnt lgkmcnt(0)
	s_cbranch_scc1 .LBB59_16
; %bb.14:
	s_cbranch_execz .LBB59_17
	s_branch .LBB59_49
.LBB59_15:
	s_mov_b64 s[0:1], 0
	s_cbranch_execnz .LBB59_63
	s_branch .LBB59_64
.LBB59_16:
                                        ; implicit-def: $sgpr33
.LBB59_17:
	s_mov_b32 s33, 0
	v_mov_b32_e32 v8, 0
	v_mov_b32_e32 v9, 0x1c0
	;; [unrolled: 1-line block ×6, first 2 shown]
	s_mov_b32 s20, s17
	s_branch .LBB59_19
.LBB59_18:                              ;   in Loop: Header=BB59_19 Depth=1
                                        ; implicit-def: $sgpr20
	s_cbranch_execnz .LBB59_49
.LBB59_19:                              ; =>This Loop Header: Depth=1
                                        ;     Child Loop BB59_22 Depth 2
                                        ;     Child Loop BB59_33 Depth 2
                                        ;     Child Loop BB59_37 Depth 2
                                        ;     Child Loop BB59_42 Depth 2
	s_ashr_i32 s21, s20, 31
	s_lshl_b64 s[0:1], s[20:21], 2
	s_add_u32 s0, s14, s0
	s_addc_u32 s1, s15, s1
	s_load_dword s34, s[0:1], 0x0
	s_waitcnt lgkmcnt(0)
	s_sub_i32 s26, s34, s9
	s_ashr_i32 s27, s26, 31
	s_lshl_b64 s[24:25], s[26:27], 2
	s_add_u32 s0, s4, s24
	s_addc_u32 s1, s5, s25
	s_load_dword s0, s[0:1], 0x0
	s_waitcnt lgkmcnt(0)
	s_cmp_eq_u32 s0, -1
	s_cbranch_scc1 .LBB59_18
; %bb.20:                               ;   in Loop: Header=BB59_19 Depth=1
	s_add_u32 s22, s12, s24
	s_addc_u32 s23, s13, s25
	s_load_dword s1, s[22:23], 0x0
	s_lshl_b64 s[22:23], s[20:21], 4
	s_mov_b32 s21, 0
	ds_read_b32 v4, v8 offset:256
	s_waitcnt lgkmcnt(0)
	s_sub_i32 s28, s1, s9
	s_add_u32 s22, s18, s22
	s_addc_u32 s23, s19, s23
	global_load_dwordx4 v[0:3], v8, s[22:23]
	s_cmp_le_i32 s28, s0
	s_cselect_b64 s[30:31], -1, 0
	v_cmp_ge_i32_e32 vcc, s26, v4
	s_and_b64 s[30:31], s[30:31], vcc
	s_andn2_b64 vcc, exec, s[30:31]
	s_waitcnt vmcnt(0)
	ds_write2_b64 v9, v[0:1], v[2:3] offset1:1
	s_cbranch_vccnz .LBB59_32
; %bb.21:                               ;   in Loop: Header=BB59_19 Depth=1
	s_mov_b32 s1, 0
	s_mov_b32 s27, 0
.LBB59_22:                              ;   Parent Loop BB59_19 Depth=1
                                        ; =>  This Inner Loop Header: Depth=2
	s_ashr_i32 s29, s28, 31
	s_lshl_b64 s[30:31], s[28:29], 2
	s_add_u32 s30, s14, s30
	s_addc_u32 s31, s15, s31
	s_lshl_b32 s29, s27, 2
	s_load_dword s21, s[30:31], 0x0
	v_mov_b32_e32 v0, s29
	ds_read_b32 v0, v0 offset:256
	s_mov_b64 s[30:31], -1
                                        ; implicit-def: $sgpr36
                                        ; implicit-def: $sgpr35
	s_waitcnt lgkmcnt(0)
	s_sub_i32 s37, s21, s9
                                        ; implicit-def: $sgpr21
	v_cmp_ge_i32_e32 vcc, s37, v0
	v_readfirstlane_b32 s29, v0
	s_cbranch_vccz .LBB59_28
; %bb.23:                               ;   in Loop: Header=BB59_22 Depth=2
	s_cmp_le_i32 s37, s29
                                        ; implicit-def: $sgpr21
                                        ; implicit-def: $sgpr36
                                        ; implicit-def: $sgpr35
	s_cbranch_scc0 .LBB59_25
; %bb.24:                               ;   in Loop: Header=BB59_22 Depth=2
	s_add_i32 s21, s27, s17
	s_lshl_b32 s30, s1, 2
	v_mov_b32_e32 v0, s30
	v_mov_b32_e32 v1, s21
	;; [unrolled: 1-line block ×3, first 2 shown]
	ds_write2_b32 v0, v2, v1 offset1:32
	s_add_i32 s35, s27, 1
	s_add_i32 s36, s28, 1
	;; [unrolled: 1-line block ×3, first 2 shown]
	s_mov_b64 s[30:31], 0
.LBB59_25:                              ;   in Loop: Header=BB59_22 Depth=2
	s_andn2_b64 vcc, exec, s[30:31]
	s_cbranch_vccnz .LBB59_27
; %bb.26:                               ;   in Loop: Header=BB59_22 Depth=2
	s_add_i32 s35, s27, 1
	s_mov_b32 s21, s1
	s_mov_b32 s36, s28
.LBB59_27:                              ;   in Loop: Header=BB59_22 Depth=2
	s_mov_b64 s[30:31], 0
.LBB59_28:                              ;   in Loop: Header=BB59_22 Depth=2
	s_andn2_b64 vcc, exec, s[30:31]
	s_cbranch_vccnz .LBB59_30
; %bb.29:                               ;   in Loop: Header=BB59_22 Depth=2
	s_add_i32 s36, s28, 1
	s_mov_b32 s35, s27
	s_mov_b32 s21, s1
.LBB59_30:                              ;   in Loop: Header=BB59_22 Depth=2
	s_cmp_le_i32 s36, s0
	s_cselect_b64 s[30:31], -1, 0
	s_cmp_le_i32 s29, s26
	s_cselect_b64 s[28:29], -1, 0
	s_and_b64 s[28:29], s[30:31], s[28:29]
	s_and_b64 vcc, exec, s[28:29]
	s_cbranch_vccz .LBB59_32
; %bb.31:                               ;   in Loop: Header=BB59_22 Depth=2
	s_mov_b32 s1, s21
	s_mov_b32 s28, s36
	;; [unrolled: 1-line block ×3, first 2 shown]
	s_branch .LBB59_22
.LBB59_32:                              ;   in Loop: Header=BB59_19 Depth=1
	s_add_u32 s24, s6, s24
	s_addc_u32 s25, s7, s25
	s_waitcnt lgkmcnt(0)
.LBB59_33:                              ;   Parent Loop BB59_19 Depth=1
                                        ; =>  This Inner Loop Header: Depth=2
	global_load_dword v0, v8, s[24:25] sc1
	s_waitcnt vmcnt(0)
	v_cmp_eq_u32_e32 vcc, 0, v0
	s_cbranch_vccnz .LBB59_33
; %bb.34:                               ;   in Loop: Header=BB59_19 Depth=1
	s_ashr_i32 s1, s0, 31
	s_lshl_b64 s[0:1], s[0:1], 4
	s_add_u32 s0, s18, s0
	s_addc_u32 s1, s19, s1
	buffer_inv sc1
	global_load_dwordx4 v[0:3], v8, s[0:1]
	s_cmp_lt_i32 s21, 2
	s_waitcnt vmcnt(0)
	ds_write2_b64 v11, v[0:1], v[2:3] offset1:1
	s_waitcnt lgkmcnt(0)
	s_cbranch_scc1 .LBB59_39
; %bb.35:                               ;   in Loop: Header=BB59_19 Depth=1
	s_add_i32 s0, s21, -2
	s_add_i32 s1, s21, -1
	s_cmp_lt_u32 s0, 3
	s_cbranch_scc1 .LBB59_40
; %bb.36:                               ;   in Loop: Header=BB59_19 Depth=1
	s_and_b32 s0, s1, -4
	s_mov_b32 s21, 0
	v_mov_b64_e32 v[2:3], 0
	v_mov_b64_e32 v[0:1], 0
	s_mov_b32 s24, 0
.LBB59_37:                              ;   Parent Loop BB59_19 Depth=1
                                        ; =>  This Inner Loop Header: Depth=2
	v_mov_b32_e32 v14, s21
	ds_read_b128 v[4:7], v14
	ds_read_b128 v[14:17], v14 offset:128
	s_add_i32 s24, s24, 4
	s_add_i32 s21, s21, 16
	s_cmp_eq_u32 s0, s24
	s_waitcnt lgkmcnt(1)
	v_ashrrev_i32_e32 v19, 31, v4
	v_mov_b32_e32 v18, v4
	s_waitcnt lgkmcnt(0)
	v_ashrrev_i32_e32 v21, 31, v14
	v_mov_b32_e32 v20, v14
	v_ashrrev_i32_e32 v23, 31, v5
	v_mov_b32_e32 v22, v5
	;; [unrolled: 2-line block ×7, first 2 shown]
	v_lshlrev_b64 v[16:17], 4, v[18:19]
	v_lshlrev_b64 v[18:19], 4, v[20:21]
	;; [unrolled: 1-line block ×8, first 2 shown]
	v_lshl_add_u64 v[44:45], s[18:19], 0, v[18:19]
	v_lshl_add_u64 v[42:43], s[18:19], 0, v[16:17]
	;; [unrolled: 1-line block ×8, first 2 shown]
	global_load_dwordx4 v[4:7], v[44:45], off
	global_load_dwordx4 v[14:17], v[42:43], off
	;; [unrolled: 1-line block ×8, first 2 shown]
	s_waitcnt vmcnt(6)
	v_fmac_f64_e32 v[0:1], v[14:15], v[4:5]
	v_fmac_f64_e32 v[2:3], v[16:17], v[4:5]
	v_fmac_f64_e32 v[0:1], v[16:17], v[6:7]
	v_fma_f64 v[2:3], v[14:15], -v[6:7], v[2:3]
	s_waitcnt vmcnt(4)
	v_fmac_f64_e32 v[0:1], v[18:19], v[22:23]
	v_fmac_f64_e32 v[2:3], v[20:21], v[22:23]
	v_fmac_f64_e32 v[0:1], v[20:21], v[24:25]
	v_fma_f64 v[2:3], v[18:19], -v[24:25], v[2:3]
	;; [unrolled: 5-line block ×4, first 2 shown]
	s_cbranch_scc0 .LBB59_37
; %bb.38:                               ;   in Loop: Header=BB59_19 Depth=1
	s_and_b32 s1, s1, 3
	s_cmp_eq_u32 s1, 0
	s_cbranch_scc0 .LBB59_41
	s_branch .LBB59_43
.LBB59_39:                              ;   in Loop: Header=BB59_19 Depth=1
	v_mov_b64_e32 v[2:3], 0
	v_mov_b64_e32 v[0:1], 0
	s_branch .LBB59_43
.LBB59_40:                              ;   in Loop: Header=BB59_19 Depth=1
	s_mov_b32 s0, 0
	v_mov_b64_e32 v[2:3], 0
	v_mov_b64_e32 v[0:1], 0
	s_and_b32 s1, s1, 3
	s_cmp_eq_u32 s1, 0
	s_cbranch_scc1 .LBB59_43
.LBB59_41:                              ;   in Loop: Header=BB59_19 Depth=1
	s_lshl_b32 s0, s0, 2
.LBB59_42:                              ;   Parent Loop BB59_19 Depth=1
                                        ; =>  This Inner Loop Header: Depth=2
	v_mov_b32_e32 v4, s0
	ds_read2_b32 v[4:5], v4 offset1:32
	s_add_i32 s0, s0, 4
	s_add_i32 s1, s1, -1
	s_cmp_lg_u32 s1, 0
	s_waitcnt lgkmcnt(0)
	v_ashrrev_i32_e32 v7, 31, v4
	v_mov_b32_e32 v6, v4
	v_ashrrev_i32_e32 v15, 31, v5
	v_mov_b32_e32 v14, v5
	v_lshlrev_b64 v[4:5], 4, v[6:7]
	v_lshlrev_b64 v[6:7], 4, v[14:15]
	v_lshl_add_u64 v[18:19], s[18:19], 0, v[4:5]
	v_lshl_add_u64 v[20:21], s[18:19], 0, v[6:7]
	global_load_dwordx4 v[4:7], v[18:19], off
	global_load_dwordx4 v[14:17], v[20:21], off
	s_waitcnt vmcnt(0)
	v_fmac_f64_e32 v[0:1], v[4:5], v[14:15]
	v_fmac_f64_e32 v[2:3], v[6:7], v[14:15]
	v_fmac_f64_e32 v[0:1], v[6:7], v[16:17]
	v_fma_f64 v[2:3], v[4:5], -v[16:17], v[2:3]
	s_cbranch_scc1 .LBB59_42
.LBB59_43:                              ;   in Loop: Header=BB59_19 Depth=1
	ds_write_b128 v10, v[0:3]
	s_waitcnt lgkmcnt(0)
	ds_read_b128 v[4:7], v8 offset:384
	ds_read_b128 v[0:3], v9
	s_waitcnt lgkmcnt(1)
	v_cmp_neq_f64_e32 vcc, 0, v[4:5]
	v_cmp_neq_f64_e64 s[0:1], 0, v[6:7]
	s_or_b64 s[0:1], vcc, s[0:1]
	s_andn2_b64 vcc, exec, s[0:1]
	s_cbranch_vccz .LBB59_47
; %bb.44:                               ;   in Loop: Header=BB59_19 Depth=1
	v_mbcnt_lo_u32_b32 v4, exec_lo, 0
	v_mbcnt_hi_u32_b32 v4, exec_hi, v4
	v_cmp_ne_u32_e32 vcc, 0, v4
	s_and_b64 s[0:1], vcc, exec
	s_cbranch_scc1 .LBB59_46
; %bb.45:                               ;   in Loop: Header=BB59_19 Depth=1
	v_mov_b32_e32 v4, s34
	global_atomic_smin v8, v4, s[10:11]
.LBB59_46:                              ;   in Loop: Header=BB59_19 Depth=1
	v_mov_b64_e32 v[4:5], 1.0
	v_mov_b64_e32 v[6:7], 0
	s_branch .LBB59_48
.LBB59_47:                              ;   in Loop: Header=BB59_19 Depth=1
	v_cndmask_b32_e64 v4, 0, v4, s[0:1]
	v_cndmask_b32_e64 v5, v13, v5, s[0:1]
	;; [unrolled: 1-line block ×4, first 2 shown]
.LBB59_48:                              ;   in Loop: Header=BB59_19 Depth=1
	v_mul_f64 v[18:19], v[6:7], v[6:7]
	v_fmac_f64_e32 v[18:19], v[4:5], v[4:5]
	ds_read_b128 v[14:17], v10
	v_div_scale_f64 v[20:21], s[0:1], v[18:19], v[18:19], 1.0
	v_rcp_f64_e32 v[22:23], v[20:21]
	s_add_i32 s20, s20, 1
	s_waitcnt lgkmcnt(0)
	v_add_f64 v[14:15], v[0:1], -v[14:15]
	v_add_f64 v[2:3], v[2:3], -v[16:17]
	v_fma_f64 v[0:1], -v[20:21], v[22:23], 1.0
	v_fmac_f64_e32 v[22:23], v[22:23], v[0:1]
	v_fma_f64 v[0:1], -v[20:21], v[22:23], 1.0
	v_fmac_f64_e32 v[22:23], v[22:23], v[0:1]
	v_div_scale_f64 v[0:1], vcc, 1.0, v[18:19], 1.0
	v_mul_f64 v[16:17], v[0:1], v[22:23]
	v_fma_f64 v[0:1], -v[20:21], v[16:17], v[0:1]
	s_cmp_ge_i32 s20, s16
	s_nop 0
	v_div_fmas_f64 v[0:1], v[0:1], v[22:23], v[16:17]
	v_div_fixup_f64 v[16:17], v[0:1], v[18:19], 1.0
	v_mul_f64 v[0:1], v[6:7], v[2:3]
	v_mul_f64 v[6:7], v[6:7], -v[14:15]
	v_fmac_f64_e32 v[0:1], v[14:15], v[4:5]
	v_fmac_f64_e32 v[6:7], v[2:3], v[4:5]
	v_mul_f64 v[0:1], v[16:17], v[0:1]
	v_mul_f64 v[2:3], v[16:17], v[6:7]
	ds_write_b128 v9, v[0:3]
	s_waitcnt lgkmcnt(0)
	ds_read_b128 v[4:7], v9
	ds_read_b128 v[14:17], v12
	s_cselect_b64 s[0:1], -1, 0
	s_waitcnt lgkmcnt(0)
	v_fmac_f64_e32 v[14:15], v[0:1], v[4:5]
	v_fmac_f64_e32 v[16:17], v[2:3], v[4:5]
	;; [unrolled: 1-line block ×3, first 2 shown]
	v_fma_f64 v[16:17], v[0:1], -v[6:7], v[16:17]
	ds_write_b128 v12, v[14:17]
	s_waitcnt lgkmcnt(0)
	ds_read2_b64 v[0:3], v9 offset1:1
	s_waitcnt lgkmcnt(0)
	global_store_dwordx4 v8, v[0:3], s[22:23]
	buffer_wbl2 sc1
	s_waitcnt vmcnt(0)
	buffer_inv sc1
	s_and_b64 vcc, exec, s[0:1]
	s_cbranch_vccz .LBB59_19
.LBB59_49:
	s_ashr_i32 s17, s16, 31
	s_lshl_b64 s[0:1], s[16:17], 4
	s_add_u32 s4, s18, s0
	s_addc_u32 s5, s19, s1
	v_mov_b32_e32 v6, 0
	global_load_dwordx4 v[0:3], v6, s[4:5]
	s_waitcnt vmcnt(0)
	ds_write_b128 v6, v[0:3] offset:448
	s_waitcnt lgkmcnt(0)
; %bb.50:
	ds_read_b128 v[0:3], v6 offset:448
	ds_read_b128 v[8:11], v6 offset:480
	s_waitcnt lgkmcnt(0)
	v_add_f64 v[0:1], v[0:1], -v[8:9]
	v_add_f64 v[4:5], v[2:3], -v[10:11]
	v_xor_b32_e32 v2, 0x80000000, v1
	v_cmp_gt_f64_e32 vcc, 0, v[0:1]
	v_xor_b32_e32 v3, 0x80000000, v5
	s_nop 0
	v_cndmask_b32_e32 v1, v1, v2, vcc
	v_cmp_gt_f64_e32 vcc, 0, v[4:5]
	v_mov_b32_e32 v2, v4
	s_nop 0
	v_cndmask_b32_e32 v3, v5, v3, vcc
	v_cmp_ngt_f64_e32 vcc, v[0:1], v[2:3]
	s_cbranch_vccz .LBB59_53
; %bb.51:
	v_cmp_eq_f64_e32 vcc, 0, v[4:5]
	s_mov_b64 s[0:1], 0
	s_cbranch_vccnz .LBB59_70
; %bb.52:
	v_div_scale_f64 v[4:5], s[12:13], v[2:3], v[2:3], v[0:1]
	v_rcp_f64_e32 v[8:9], v[4:5]
	v_div_scale_f64 v[10:11], vcc, v[0:1], v[2:3], v[0:1]
	s_mov_b32 s12, 0
	v_fma_f64 v[12:13], -v[4:5], v[8:9], 1.0
	v_fmac_f64_e32 v[8:9], v[8:9], v[12:13]
	v_fma_f64 v[12:13], -v[4:5], v[8:9], 1.0
	v_fmac_f64_e32 v[8:9], v[8:9], v[12:13]
	v_mul_f64 v[12:13], v[10:11], v[8:9]
	v_fma_f64 v[4:5], -v[4:5], v[12:13], v[10:11]
	v_div_fmas_f64 v[4:5], v[4:5], v[8:9], v[12:13]
	v_div_fixup_f64 v[4:5], v[4:5], v[2:3], v[0:1]
	v_fma_f64 v[4:5], v[4:5], v[4:5], 1.0
	s_brev_b32 s13, 8
	v_cmp_gt_f64_e32 vcc, s[12:13], v[4:5]
	s_and_b64 s[12:13], vcc, exec
	s_cselect_b32 s12, 0x100, 0
	v_ldexp_f64 v[4:5], v[4:5], s12
	v_rsq_f64_e32 v[8:9], v[4:5]
	s_cselect_b32 s12, 0xffffff80, 0
	v_mov_b32_e32 v7, 0x260
	v_cmp_class_f64_e32 vcc, v[4:5], v7
	v_mul_f64 v[10:11], v[4:5], v[8:9]
	v_mul_f64 v[8:9], v[8:9], 0.5
	v_fma_f64 v[12:13], -v[8:9], v[10:11], 0.5
	v_fmac_f64_e32 v[10:11], v[10:11], v[12:13]
	v_fma_f64 v[14:15], -v[10:11], v[10:11], v[4:5]
	v_fmac_f64_e32 v[8:9], v[8:9], v[12:13]
	v_fmac_f64_e32 v[10:11], v[14:15], v[8:9]
	v_fma_f64 v[12:13], -v[10:11], v[10:11], v[4:5]
	v_fmac_f64_e32 v[10:11], v[12:13], v[8:9]
	v_ldexp_f64 v[8:9], v[10:11], s12
	v_cndmask_b32_e32 v5, v9, v5, vcc
	v_cndmask_b32_e32 v4, v8, v4, vcc
	v_mul_f64 v[4:5], v[2:3], v[4:5]
	s_andn2_b64 vcc, exec, s[0:1]
	s_cbranch_vccz .LBB59_54
	s_branch .LBB59_55
.LBB59_53:
                                        ; implicit-def: $vgpr4_vgpr5
.LBB59_54:
	v_div_scale_f64 v[4:5], s[0:1], v[0:1], v[0:1], v[2:3]
	v_rcp_f64_e32 v[8:9], v[4:5]
	v_div_scale_f64 v[10:11], vcc, v[2:3], v[0:1], v[2:3]
	s_mov_b32 s0, 0
	v_fma_f64 v[12:13], -v[4:5], v[8:9], 1.0
	v_fmac_f64_e32 v[8:9], v[8:9], v[12:13]
	v_fma_f64 v[12:13], -v[4:5], v[8:9], 1.0
	v_fmac_f64_e32 v[8:9], v[8:9], v[12:13]
	v_mul_f64 v[12:13], v[10:11], v[8:9]
	v_fma_f64 v[4:5], -v[4:5], v[12:13], v[10:11]
	v_div_fmas_f64 v[4:5], v[4:5], v[8:9], v[12:13]
	v_div_fixup_f64 v[2:3], v[4:5], v[0:1], v[2:3]
	v_fma_f64 v[2:3], v[2:3], v[2:3], 1.0
	s_brev_b32 s1, 8
	v_cmp_gt_f64_e32 vcc, s[0:1], v[2:3]
	s_and_b64 s[0:1], vcc, exec
	s_cselect_b32 s0, 0x100, 0
	v_ldexp_f64 v[2:3], v[2:3], s0
	v_rsq_f64_e32 v[4:5], v[2:3]
	s_cselect_b32 s0, 0xffffff80, 0
	v_mov_b32_e32 v7, 0x260
	v_cmp_class_f64_e32 vcc, v[2:3], v7
	v_mul_f64 v[8:9], v[2:3], v[4:5]
	v_mul_f64 v[4:5], v[4:5], 0.5
	v_fma_f64 v[10:11], -v[4:5], v[8:9], 0.5
	v_fmac_f64_e32 v[8:9], v[8:9], v[10:11]
	v_fma_f64 v[12:13], -v[8:9], v[8:9], v[2:3]
	v_fmac_f64_e32 v[4:5], v[4:5], v[10:11]
	v_fmac_f64_e32 v[8:9], v[12:13], v[4:5]
	v_fma_f64 v[10:11], -v[8:9], v[8:9], v[2:3]
	v_fmac_f64_e32 v[8:9], v[10:11], v[4:5]
	v_ldexp_f64 v[4:5], v[8:9], s0
	v_cndmask_b32_e32 v3, v5, v3, vcc
	v_cndmask_b32_e32 v2, v4, v2, vcc
	v_mul_f64 v[4:5], v[0:1], v[2:3]
.LBB59_55:
	s_mov_b32 s0, 0
	s_brev_b32 s1, 8
	v_cmp_gt_f64_e32 vcc, s[0:1], v[4:5]
	s_and_b64 s[0:1], vcc, exec
	s_cselect_b32 s0, 0x100, 0
	v_ldexp_f64 v[0:1], v[4:5], s0
	v_rsq_f64_e32 v[2:3], v[0:1]
	s_cselect_b32 s0, 0xffffff80, 0
	v_mul_f64 v[4:5], v[0:1], v[2:3]
	v_mul_f64 v[2:3], v[2:3], 0.5
	v_fma_f64 v[8:9], -v[2:3], v[4:5], 0.5
	v_fmac_f64_e32 v[4:5], v[4:5], v[8:9]
	v_fmac_f64_e32 v[2:3], v[2:3], v[8:9]
	v_fma_f64 v[8:9], -v[4:5], v[4:5], v[0:1]
	v_fmac_f64_e32 v[4:5], v[8:9], v[2:3]
	v_fma_f64 v[8:9], -v[4:5], v[4:5], v[0:1]
	v_fmac_f64_e32 v[4:5], v[8:9], v[2:3]
	v_ldexp_f64 v[2:3], v[4:5], s0
	v_mov_b32_e32 v4, 0x260
	v_cmp_class_f64_e32 vcc, v[0:1], v4
	s_nop 1
	v_cndmask_b32_e32 v0, v2, v0, vcc
	v_mov_b32_e32 v2, 0
	v_cndmask_b32_e32 v1, v3, v1, vcc
	v_mov_b32_e32 v3, v2
	ds_write_b128 v2, v[0:3] offset:448
; %bb.56:
	s_waitcnt lgkmcnt(0)
	ds_read_b128 v[0:3], v6 offset:448
	s_cmp_lg_u32 s33, 0
	s_cselect_b64 s[12:13], -1, 0
	s_waitcnt lgkmcnt(0)
	v_cmp_neq_f64_e32 vcc, 0, v[0:1]
	v_cmp_neq_f64_e64 s[0:1], 0, v[2:3]
	s_or_b64 s[0:1], vcc, s[0:1]
	s_or_b64 s[12:13], s[0:1], s[12:13]
	s_and_b64 vcc, exec, s[12:13]
	s_cbranch_vccnz .LBB59_60
; %bb.57:
	v_mbcnt_lo_u32_b32 v0, exec_lo, 0
	v_mbcnt_hi_u32_b32 v0, exec_hi, v0
	v_cmp_ne_u32_e32 vcc, 0, v0
	s_and_b64 s[0:1], vcc, exec
	s_cbranch_scc1 .LBB59_59
; %bb.58:
	s_add_i32 s0, s8, s9
	v_mov_b32_e32 v0, 0
	v_mov_b32_e32 v1, s0
	global_atomic_smin v0, v1, s[10:11]
.LBB59_59:
	v_mov_b64_e32 v[0:1], 1.0
	v_mov_b64_e32 v[2:3], 0
	s_cbranch_execz .LBB59_61
	s_branch .LBB59_62
.LBB59_60:
	v_mov_b32_e32 v4, 0x3ff00000
	v_cndmask_b32_e64 v1, v4, v1, s[0:1]
	v_cndmask_b32_e64 v0, 0, v0, s[0:1]
	v_cndmask_b32_e64 v3, 0, v3, s[0:1]
	v_cndmask_b32_e64 v2, 0, v2, s[0:1]
	s_cbranch_execnz .LBB59_62
.LBB59_61:
	v_mul_f64 v[12:13], v[2:3], v[2:3]
	v_mov_b32_e32 v18, 0x1c0
	v_fmac_f64_e32 v[12:13], v[0:1], v[0:1]
	v_mov_b32_e32 v19, 0x1e0
	ds_read_b128 v[4:7], v18
	ds_read_b128 v[8:11], v19
	v_div_scale_f64 v[14:15], s[0:1], v[12:13], v[12:13], 1.0
	v_rcp_f64_e32 v[16:17], v[14:15]
	s_waitcnt lgkmcnt(0)
	v_add_f64 v[8:9], v[4:5], -v[8:9]
	v_add_f64 v[6:7], v[6:7], -v[10:11]
	v_fma_f64 v[4:5], -v[14:15], v[16:17], 1.0
	v_fmac_f64_e32 v[16:17], v[16:17], v[4:5]
	v_fma_f64 v[4:5], -v[14:15], v[16:17], 1.0
	v_fmac_f64_e32 v[16:17], v[16:17], v[4:5]
	v_div_scale_f64 v[4:5], vcc, 1.0, v[12:13], 1.0
	v_mul_f64 v[10:11], v[4:5], v[16:17]
	v_fma_f64 v[4:5], -v[14:15], v[10:11], v[4:5]
	s_nop 1
	v_div_fmas_f64 v[4:5], v[4:5], v[16:17], v[10:11]
	v_div_fixup_f64 v[10:11], v[4:5], v[12:13], 1.0
	v_mul_f64 v[4:5], v[2:3], v[6:7]
	v_mul_f64 v[2:3], v[2:3], -v[8:9]
	v_fmac_f64_e32 v[4:5], v[8:9], v[0:1]
	v_fmac_f64_e32 v[2:3], v[6:7], v[0:1]
	v_mul_f64 v[4:5], v[10:11], v[4:5]
	v_mul_f64 v[6:7], v[10:11], v[2:3]
	v_mov_b32_e32 v0, 0
	ds_write_b128 v18, v[4:7]
	s_waitcnt lgkmcnt(0)
	ds_read_b128 v[0:3], v0 offset:448
	ds_read_b128 v[8:11], v19
	s_waitcnt lgkmcnt(0)
	v_fmac_f64_e32 v[8:9], v[4:5], v[0:1]
	v_fmac_f64_e32 v[10:11], v[6:7], v[0:1]
	;; [unrolled: 1-line block ×3, first 2 shown]
	v_fma_f64 v[10:11], v[4:5], -v[2:3], v[10:11]
	ds_write_b128 v19, v[8:11]
.LBB59_62:
	v_mov_b32_e32 v0, 0x1c0
	s_waitcnt lgkmcnt(0)
	ds_read2_b64 v[0:3], v0 offset1:1
	v_mov_b32_e32 v4, 0
	s_cmp_eq_u32 s33, 0
	s_cselect_b64 s[0:1], -1, 0
	s_waitcnt lgkmcnt(0)
	global_store_dwordx4 v4, v[0:3], s[4:5]
	s_branch .LBB59_64
.LBB59_63:
	s_cbranch_execnz .LBB59_67
.LBB59_64:
	s_and_b64 vcc, exec, s[0:1]
	s_cbranch_vccz .LBB59_66
.LBB59_65:
	s_add_u32 s0, s6, s2
	s_addc_u32 s1, s7, s3
	v_mov_b32_e32 v0, 0
	v_mov_b32_e32 v1, 1
	buffer_wbl2 sc1
	s_waitcnt vmcnt(0)
	global_store_dword v0, v1, s[0:1] sc1
.LBB59_66:
	s_endpgm
.LBB59_67:
	v_mbcnt_lo_u32_b32 v0, exec_lo, 0
	v_mbcnt_hi_u32_b32 v0, exec_hi, v0
	v_cmp_ne_u32_e32 vcc, 0, v0
	s_and_b64 s[0:1], vcc, exec
	s_cbranch_scc0 .LBB59_69
; %bb.68:
	s_cbranch_execnz .LBB59_65
	s_branch .LBB59_66
.LBB59_69:
	s_add_i32 s0, s8, s9
	v_mov_b32_e32 v0, 0
	v_mov_b32_e32 v1, s0
	global_atomic_smin v0, v1, s[10:11]
	s_cbranch_execnz .LBB59_65
	s_branch .LBB59_66
.LBB59_70:
	v_mov_b64_e32 v[4:5], 0
	s_andn2_b64 vcc, exec, s[0:1]
	s_cbranch_vccz .LBB59_54
	s_branch .LBB59_55
	.section	.rodata,"a",@progbits
	.p2align	6, 0x0
	.amdhsa_kernel _ZN9rocsparseL26bsric0_2_8_unrolled_kernelILi1ELi32ELi1E21rocsparse_complex_numIdEEEv20rocsparse_direction_iiPKiS5_PT2_S5_PiS5_S8_21rocsparse_index_base_
		.amdhsa_group_segment_fixed_size 512
		.amdhsa_private_segment_fixed_size 0
		.amdhsa_kernarg_size 76
		.amdhsa_user_sgpr_count 2
		.amdhsa_user_sgpr_dispatch_ptr 0
		.amdhsa_user_sgpr_queue_ptr 0
		.amdhsa_user_sgpr_kernarg_segment_ptr 1
		.amdhsa_user_sgpr_dispatch_id 0
		.amdhsa_user_sgpr_kernarg_preload_length 0
		.amdhsa_user_sgpr_kernarg_preload_offset 0
		.amdhsa_user_sgpr_private_segment_size 0
		.amdhsa_uses_dynamic_stack 0
		.amdhsa_enable_private_segment 0
		.amdhsa_system_sgpr_workgroup_id_x 1
		.amdhsa_system_sgpr_workgroup_id_y 0
		.amdhsa_system_sgpr_workgroup_id_z 0
		.amdhsa_system_sgpr_workgroup_info 0
		.amdhsa_system_vgpr_workitem_id 0
		.amdhsa_next_free_vgpr 58
		.amdhsa_next_free_sgpr 38
		.amdhsa_accum_offset 60
		.amdhsa_reserve_vcc 1
		.amdhsa_float_round_mode_32 0
		.amdhsa_float_round_mode_16_64 0
		.amdhsa_float_denorm_mode_32 3
		.amdhsa_float_denorm_mode_16_64 3
		.amdhsa_dx10_clamp 1
		.amdhsa_ieee_mode 1
		.amdhsa_fp16_overflow 0
		.amdhsa_tg_split 0
		.amdhsa_exception_fp_ieee_invalid_op 0
		.amdhsa_exception_fp_denorm_src 0
		.amdhsa_exception_fp_ieee_div_zero 0
		.amdhsa_exception_fp_ieee_overflow 0
		.amdhsa_exception_fp_ieee_underflow 0
		.amdhsa_exception_fp_ieee_inexact 0
		.amdhsa_exception_int_div_zero 0
	.end_amdhsa_kernel
	.section	.text._ZN9rocsparseL26bsric0_2_8_unrolled_kernelILi1ELi32ELi1E21rocsparse_complex_numIdEEEv20rocsparse_direction_iiPKiS5_PT2_S5_PiS5_S8_21rocsparse_index_base_,"axG",@progbits,_ZN9rocsparseL26bsric0_2_8_unrolled_kernelILi1ELi32ELi1E21rocsparse_complex_numIdEEEv20rocsparse_direction_iiPKiS5_PT2_S5_PiS5_S8_21rocsparse_index_base_,comdat
.Lfunc_end59:
	.size	_ZN9rocsparseL26bsric0_2_8_unrolled_kernelILi1ELi32ELi1E21rocsparse_complex_numIdEEEv20rocsparse_direction_iiPKiS5_PT2_S5_PiS5_S8_21rocsparse_index_base_, .Lfunc_end59-_ZN9rocsparseL26bsric0_2_8_unrolled_kernelILi1ELi32ELi1E21rocsparse_complex_numIdEEEv20rocsparse_direction_iiPKiS5_PT2_S5_PiS5_S8_21rocsparse_index_base_
                                        ; -- End function
	.set _ZN9rocsparseL26bsric0_2_8_unrolled_kernelILi1ELi32ELi1E21rocsparse_complex_numIdEEEv20rocsparse_direction_iiPKiS5_PT2_S5_PiS5_S8_21rocsparse_index_base_.num_vgpr, 58
	.set _ZN9rocsparseL26bsric0_2_8_unrolled_kernelILi1ELi32ELi1E21rocsparse_complex_numIdEEEv20rocsparse_direction_iiPKiS5_PT2_S5_PiS5_S8_21rocsparse_index_base_.num_agpr, 0
	.set _ZN9rocsparseL26bsric0_2_8_unrolled_kernelILi1ELi32ELi1E21rocsparse_complex_numIdEEEv20rocsparse_direction_iiPKiS5_PT2_S5_PiS5_S8_21rocsparse_index_base_.numbered_sgpr, 38
	.set _ZN9rocsparseL26bsric0_2_8_unrolled_kernelILi1ELi32ELi1E21rocsparse_complex_numIdEEEv20rocsparse_direction_iiPKiS5_PT2_S5_PiS5_S8_21rocsparse_index_base_.num_named_barrier, 0
	.set _ZN9rocsparseL26bsric0_2_8_unrolled_kernelILi1ELi32ELi1E21rocsparse_complex_numIdEEEv20rocsparse_direction_iiPKiS5_PT2_S5_PiS5_S8_21rocsparse_index_base_.private_seg_size, 0
	.set _ZN9rocsparseL26bsric0_2_8_unrolled_kernelILi1ELi32ELi1E21rocsparse_complex_numIdEEEv20rocsparse_direction_iiPKiS5_PT2_S5_PiS5_S8_21rocsparse_index_base_.uses_vcc, 1
	.set _ZN9rocsparseL26bsric0_2_8_unrolled_kernelILi1ELi32ELi1E21rocsparse_complex_numIdEEEv20rocsparse_direction_iiPKiS5_PT2_S5_PiS5_S8_21rocsparse_index_base_.uses_flat_scratch, 0
	.set _ZN9rocsparseL26bsric0_2_8_unrolled_kernelILi1ELi32ELi1E21rocsparse_complex_numIdEEEv20rocsparse_direction_iiPKiS5_PT2_S5_PiS5_S8_21rocsparse_index_base_.has_dyn_sized_stack, 0
	.set _ZN9rocsparseL26bsric0_2_8_unrolled_kernelILi1ELi32ELi1E21rocsparse_complex_numIdEEEv20rocsparse_direction_iiPKiS5_PT2_S5_PiS5_S8_21rocsparse_index_base_.has_recursion, 0
	.set _ZN9rocsparseL26bsric0_2_8_unrolled_kernelILi1ELi32ELi1E21rocsparse_complex_numIdEEEv20rocsparse_direction_iiPKiS5_PT2_S5_PiS5_S8_21rocsparse_index_base_.has_indirect_call, 0
	.section	.AMDGPU.csdata,"",@progbits
; Kernel info:
; codeLenInByte = 3840
; TotalNumSgprs: 44
; NumVgprs: 58
; NumAgprs: 0
; TotalNumVgprs: 58
; ScratchSize: 0
; MemoryBound: 0
; FloatMode: 240
; IeeeMode: 1
; LDSByteSize: 512 bytes/workgroup (compile time only)
; SGPRBlocks: 5
; VGPRBlocks: 7
; NumSGPRsForWavesPerEU: 44
; NumVGPRsForWavesPerEU: 58
; AccumOffset: 60
; Occupancy: 8
; WaveLimiterHint : 1
; COMPUTE_PGM_RSRC2:SCRATCH_EN: 0
; COMPUTE_PGM_RSRC2:USER_SGPR: 2
; COMPUTE_PGM_RSRC2:TRAP_HANDLER: 0
; COMPUTE_PGM_RSRC2:TGID_X_EN: 1
; COMPUTE_PGM_RSRC2:TGID_Y_EN: 0
; COMPUTE_PGM_RSRC2:TGID_Z_EN: 0
; COMPUTE_PGM_RSRC2:TIDIG_COMP_CNT: 0
; COMPUTE_PGM_RSRC3_GFX90A:ACCUM_OFFSET: 14
; COMPUTE_PGM_RSRC3_GFX90A:TG_SPLIT: 0
	.section	.text._ZN9rocsparseL26bsric0_2_8_unrolled_kernelILi4ELi32ELi2E21rocsparse_complex_numIdEEEv20rocsparse_direction_iiPKiS5_PT2_S5_PiS5_S8_21rocsparse_index_base_,"axG",@progbits,_ZN9rocsparseL26bsric0_2_8_unrolled_kernelILi4ELi32ELi2E21rocsparse_complex_numIdEEEv20rocsparse_direction_iiPKiS5_PT2_S5_PiS5_S8_21rocsparse_index_base_,comdat
	.globl	_ZN9rocsparseL26bsric0_2_8_unrolled_kernelILi4ELi32ELi2E21rocsparse_complex_numIdEEEv20rocsparse_direction_iiPKiS5_PT2_S5_PiS5_S8_21rocsparse_index_base_ ; -- Begin function _ZN9rocsparseL26bsric0_2_8_unrolled_kernelILi4ELi32ELi2E21rocsparse_complex_numIdEEEv20rocsparse_direction_iiPKiS5_PT2_S5_PiS5_S8_21rocsparse_index_base_
	.p2align	8
	.type	_ZN9rocsparseL26bsric0_2_8_unrolled_kernelILi4ELi32ELi2E21rocsparse_complex_numIdEEEv20rocsparse_direction_iiPKiS5_PT2_S5_PiS5_S8_21rocsparse_index_base_,@function
_ZN9rocsparseL26bsric0_2_8_unrolled_kernelILi4ELi32ELi2E21rocsparse_complex_numIdEEEv20rocsparse_direction_iiPKiS5_PT2_S5_PiS5_S8_21rocsparse_index_base_: ; @_ZN9rocsparseL26bsric0_2_8_unrolled_kernelILi4ELi32ELi2E21rocsparse_complex_numIdEEEv20rocsparse_direction_iiPKiS5_PT2_S5_PiS5_S8_21rocsparse_index_base_
; %bb.0:
	s_load_dwordx8 s[4:11], s[0:1], 0x28
	s_mov_b32 s3, 0
	s_lshl_b64 s[2:3], s[2:3], 2
	v_and_b32_e32 v12, 0x3ff, v0
	v_bfe_u32 v13, v0, 10, 10
	s_waitcnt lgkmcnt(0)
	s_add_u32 s2, s8, s2
	s_addc_u32 s3, s9, s3
	s_load_dword s16, s[2:3], 0x0
	s_waitcnt lgkmcnt(0)
	s_ashr_i32 s17, s16, 31
	s_lshl_b64 s[8:9], s[16:17], 2
	s_add_u32 s2, s4, s8
	s_addc_u32 s3, s5, s9
	s_load_dword s30, s[2:3], 0x0
	s_load_dword s17, s[0:1], 0x48
	s_waitcnt lgkmcnt(0)
	s_cmp_lg_u32 s30, -1
	s_cbranch_scc0 .LBB60_16
; %bb.1:
	s_load_dwordx4 s[12:15], s[0:1], 0x10
	v_lshlrev_b32_e32 v18, 1, v13
	v_add_u32_e32 v17, v18, v12
	s_waitcnt lgkmcnt(0)
	s_add_u32 s2, s12, s8
	s_addc_u32 s3, s13, s9
	s_load_dword s24, s[2:3], 0x0
	s_waitcnt lgkmcnt(0)
	s_sub_i32 s31, s24, s17
	v_add_u32_e32 v0, s31, v17
	v_cmp_ge_i32_e32 vcc, s30, v0
	s_and_saveexec_b64 s[2:3], vcc
	s_cbranch_execz .LBB60_14
; %bb.2:
	v_add_u32_e32 v1, s24, v17
	v_subrev_u32_e32 v1, s17, v1
	v_add_u32_e32 v1, 4, v1
	s_add_i32 s18, s30, 1
	v_max_i32_e32 v1, s18, v1
	v_not_b32_e32 v2, v12
	v_add3_u32 v1, s17, v1, v2
	v_add_u32_e32 v2, s24, v18
	v_sub_u32_e32 v1, v1, v2
	v_cmp_lt_u32_e32 vcc, 3, v1
	s_mov_b64 s[20:21], -1
	s_and_saveexec_b64 s[18:19], vcc
	s_cbranch_execz .LBB60_11
; %bb.3:
	v_lshrrev_b32_e32 v4, 2, v1
	v_add_u32_e32 v2, -1, v4
	v_add_u32_e32 v1, 4, v0
	v_lshrrev_b32_e32 v3, 1, v2
	v_add_u32_e32 v5, 1, v3
	v_cmp_lt_u32_e32 vcc, 13, v2
	v_mov_b64_e32 v[2:3], v[0:1]
	s_and_saveexec_b64 s[20:21], vcc
	s_cbranch_execz .LBB60_7
; %bb.4:
	v_and_b32_e32 v6, -8, v5
	s_mov_b64 s[22:23], 0
	v_mov_b64_e32 v[2:3], v[0:1]
.LBB60_5:                               ; =>This Inner Loop Header: Depth=1
	v_ashrrev_i32_e32 v11, 31, v2
	v_mov_b32_e32 v10, v2
	v_ashrrev_i32_e32 v9, 31, v3
	v_mov_b32_e32 v8, v3
	v_add_u32_e32 v14, 8, v2
	v_add_u32_e32 v20, 8, v3
	v_lshl_add_u64 v[10:11], v[10:11], 2, s[14:15]
	v_add_u32_e32 v22, 16, v2
	v_add_u32_e32 v24, 16, v3
	;; [unrolled: 1-line block ×12, first 2 shown]
	v_lshl_add_u64 v[8:9], v[8:9], 2, s[14:15]
	v_ashrrev_i32_e32 v21, 31, v20
	v_ashrrev_i32_e32 v15, 31, v14
	global_load_dword v1, v[10:11], off
	global_load_dword v7, v[8:9], off
	v_ashrrev_i32_e32 v25, 31, v24
	v_ashrrev_i32_e32 v23, 31, v22
	;; [unrolled: 1-line block ×12, first 2 shown]
	v_lshl_add_u64 v[8:9], v[14:15], 2, s[14:15]
	v_lshl_add_u64 v[10:11], v[20:21], 2, s[14:15]
	;; [unrolled: 1-line block ×13, first 2 shown]
	global_load_dword v15, v[10:11], off
	v_lshl_add_u64 v[10:11], v[44:45], 2, s[14:15]
	global_load_dword v16, v[8:9], off
	global_load_dword v19, v[48:49], off
	global_load_dword v21, v[46:47], off
	global_load_dword v23, v[52:53], off
	global_load_dword v25, v[50:51], off
	global_load_dword v27, v[56:57], off
	global_load_dword v29, v[54:55], off
	global_load_dword v31, v[60:61], off
	global_load_dword v33, v[58:59], off
	global_load_dword v35, v[64:65], off
	global_load_dword v37, v[62:63], off
	global_load_dword v39, v[10:11], off
	global_load_dword v41, v[66:67], off
	v_subrev_u32_e32 v9, s31, v2
	v_add_u32_e32 v6, -8, v6
	v_subrev_u32_e32 v8, s31, v3
	v_lshlrev_b32_e32 v9, 2, v9
	v_subrev_u32_e32 v11, s31, v14
	v_cmp_eq_u32_e32 vcc, 0, v6
	v_add_u32_e32 v3, 64, v3
	v_add_u32_e32 v2, 64, v2
	v_lshlrev_b32_e32 v8, 2, v8
	v_subrev_u32_e32 v10, s31, v20
	v_subrev_u32_e32 v14, s31, v24
	;; [unrolled: 1-line block ×13, first 2 shown]
	v_lshlrev_b32_e32 v11, 2, v11
	s_or_b64 s[22:23], vcc, s[22:23]
	v_lshlrev_b32_e32 v10, 2, v10
	v_lshlrev_b32_e32 v20, 2, v20
	;; [unrolled: 1-line block ×13, first 2 shown]
	s_waitcnt vmcnt(15)
	v_subrev_u32_e32 v1, s17, v1
	s_waitcnt vmcnt(14)
	v_subrev_u32_e32 v7, s17, v7
	ds_write_b32 v9, v1 offset:256
	ds_write_b32 v8, v7 offset:256
	s_waitcnt vmcnt(12)
	v_subrev_u32_e32 v7, s17, v16
	s_waitcnt vmcnt(11)
	v_subrev_u32_e32 v8, s17, v19
	;; [unrolled: 2-line block ×8, first 2 shown]
	v_subrev_u32_e32 v1, s17, v15
	v_subrev_u32_e32 v15, s17, v23
	;; [unrolled: 1-line block ×3, first 2 shown]
	s_waitcnt vmcnt(2)
	v_subrev_u32_e32 v29, s17, v37
	s_waitcnt vmcnt(1)
	v_subrev_u32_e32 v31, s17, v39
	;; [unrolled: 2-line block ×3, first 2 shown]
	ds_write_b32 v11, v7 offset:256
	ds_write_b32 v10, v1 offset:256
	;; [unrolled: 1-line block ×14, first 2 shown]
	s_andn2_b64 exec, exec, s[22:23]
	s_cbranch_execnz .LBB60_5
; %bb.6:
	s_or_b64 exec, exec, s[22:23]
.LBB60_7:
	s_or_b64 exec, exec, s[20:21]
	v_and_b32_e32 v1, 7, v5
	v_cmp_ne_u32_e32 vcc, 0, v1
	s_and_saveexec_b64 s[20:21], vcc
	s_cbranch_execz .LBB60_10
; %bb.8:
	s_mov_b64 s[22:23], 0
.LBB60_9:                               ; =>This Inner Loop Header: Depth=1
	v_ashrrev_i32_e32 v7, 31, v3
	v_mov_b32_e32 v6, v3
	v_ashrrev_i32_e32 v9, 31, v2
	v_mov_b32_e32 v8, v2
	v_lshl_add_u64 v[6:7], v[6:7], 2, s[14:15]
	v_lshl_add_u64 v[8:9], v[8:9], 2, s[14:15]
	global_load_dword v5, v[6:7], off
	global_load_dword v10, v[8:9], off
	v_add_u32_e32 v1, -1, v1
	v_subrev_u32_e32 v7, s31, v2
	v_cmp_eq_u32_e32 vcc, 0, v1
	v_subrev_u32_e32 v6, s31, v3
	v_add_u32_e32 v3, 8, v3
	v_add_u32_e32 v2, 8, v2
	v_lshlrev_b32_e32 v7, 2, v7
	s_or_b64 s[22:23], vcc, s[22:23]
	v_lshlrev_b32_e32 v6, 2, v6
	s_waitcnt vmcnt(1)
	v_subrev_u32_e32 v5, s17, v5
	s_waitcnt vmcnt(0)
	v_subrev_u32_e32 v8, s17, v10
	ds_write_b32 v7, v8 offset:256
	ds_write_b32 v6, v5 offset:256
	s_andn2_b64 exec, exec, s[22:23]
	s_cbranch_execnz .LBB60_9
.LBB60_10:
	s_or_b64 exec, exec, s[20:21]
	v_add_u32_e32 v1, 1, v4
	v_and_b32_e32 v2, 0x7ffffffe, v1
	v_cmp_ne_u32_e32 vcc, v1, v2
	v_lshl_add_u32 v0, v2, 2, v0
	s_orn2_b64 s[20:21], vcc, exec
.LBB60_11:
	s_or_b64 exec, exec, s[18:19]
	s_and_b64 exec, exec, s[20:21]
	s_cbranch_execz .LBB60_14
; %bb.12:
	v_add_u32_e32 v1, s17, v0
	v_subrev_u32_e32 v1, s24, v1
	v_mov_b32_e32 v2, 0x100
	v_lshl_add_u32 v4, v1, 2, v2
	v_ashrrev_i32_e32 v1, 31, v0
	v_lshl_add_u64 v[2:3], v[0:1], 2, s[14:15]
	s_mov_b64 s[18:19], 0
.LBB60_13:                              ; =>This Inner Loop Header: Depth=1
	global_load_dword v1, v[2:3], off
	v_add_u32_e32 v0, 4, v0
	v_cmp_lt_i32_e32 vcc, s30, v0
	v_lshl_add_u64 v[2:3], v[2:3], 0, 16
	s_or_b64 s[18:19], vcc, s[18:19]
	s_waitcnt vmcnt(0)
	v_subrev_u32_e32 v1, s17, v1
	ds_write_b32 v4, v1
	v_add_u32_e32 v4, 16, v4
	s_andn2_b64 exec, exec, s[18:19]
	s_cbranch_execnz .LBB60_13
.LBB60_14:
	s_or_b64 exec, exec, s[2:3]
	s_load_dwordx2 s[18:19], s[0:1], 0x20
	v_mov_b32_e32 v0, 0x2a0
	v_mad_u32_u24 v16, v13, 48, v0
	v_mov_b32_e32 v0, 0
	v_lshl_add_u32 v14, v12, 4, v16
	v_mov_b32_e32 v1, v0
	v_mov_b32_e32 v2, v0
	;; [unrolled: 1-line block ×3, first 2 shown]
	s_cmp_lt_i32 s31, s30
	ds_write_b128 v14, v[0:3]
	s_waitcnt lgkmcnt(0)
	s_cbranch_scc1 .LBB60_18
; %bb.15:
	v_lshl_add_u32 v19, v12, 1, v13
	v_or_b32_e32 v15, v12, v13
	s_load_dword s33, s[0:1], 0x0
	s_cbranch_execz .LBB60_19
	s_branch .LBB60_64
.LBB60_16:
	s_cbranch_execnz .LBB60_93
.LBB60_17:
	s_endpgm
.LBB60_18:
                                        ; implicit-def: $vgpr19
                                        ; implicit-def: $vgpr15
	s_load_dword s33, s[0:1], 0x0
.LBB60_19:
	s_waitcnt lgkmcnt(0)
	s_cmp_lg_u32 s33, 0
	v_mul_u32_u24_e32 v1, 48, v13
	v_lshlrev_b32_e32 v2, 4, v12
	s_movk_i32 s0, 0x180
	s_cselect_b64 s[20:21], -1, 0
	s_cmp_eq_u32 s33, 0
	v_lshlrev_b32_e32 v20, 1, v12
	v_mov_b32_e32 v0, 0x240
	v_add3_u32 v23, v1, v2, s0
	v_mov_b32_e32 v1, 0x1e0
	v_add_u32_e32 v19, v20, v13
	v_mad_u32_u24 v21, v13, 48, v0
	v_mad_u32_u24 v26, v13, 48, v1
	v_or_b32_e32 v15, v12, v13
	s_cselect_b64 vcc, -1, 0
	v_add_u32_e32 v22, v21, v2
	v_add_u32_e32 v24, 2, v12
	;; [unrolled: 1-line block ×4, first 2 shown]
	v_mad_u32_u24 v28, v12, 48, v0
	v_cmp_ne_u32_e64 s[0:1], 0, v15
	v_cndmask_b32_e32 v29, v19, v17, vcc
	v_mov_b32_e32 v30, 0
	v_mov_b32_e32 v31, 0x3ff00000
	s_mov_b32 s22, s31
	s_branch .LBB60_22
.LBB60_20:                              ;   in Loop: Header=BB60_22 Depth=1
	s_or_b64 exec, exec, s[24:25]
	v_mov_b64_e32 v[8:9], 0
	v_mov_b64_e32 v[6:7], 1.0
.LBB60_21:                              ;   in Loop: Header=BB60_22 Depth=1
	s_or_b64 exec, exec, s[2:3]
	ds_read_b128 v[32:35], v30 offset:432
	ds_read_b128 v[36:39], v21
	ds_read_b128 v[40:43], v26 offset:16
	v_mul_f64 v[10:11], v[8:9], v[8:9]
	v_fmac_f64_e32 v[10:11], v[6:7], v[6:7]
	s_add_i32 s22, s22, 1
	s_cmp_ge_i32 s22, s30
	s_waitcnt lgkmcnt(0)
	v_fmac_f64_e32 v[42:43], v[34:35], v[36:37]
	v_fmac_f64_e32 v[40:41], v[32:33], v[36:37]
	v_div_scale_f64 v[36:37], s[2:3], v[10:11], v[10:11], 1.0
	v_fma_f64 v[32:33], v[32:33], -v[38:39], v[42:43]
	v_rcp_f64_e32 v[42:43], v[36:37]
	v_fmac_f64_e32 v[40:41], v[34:35], v[38:39]
	v_add_f64 v[34:35], v[0:1], -v[40:41]
	v_add_f64 v[2:3], v[2:3], -v[32:33]
	v_fma_f64 v[0:1], -v[36:37], v[42:43], 1.0
	v_fmac_f64_e32 v[42:43], v[42:43], v[0:1]
	v_fma_f64 v[0:1], -v[36:37], v[42:43], 1.0
	v_fmac_f64_e32 v[42:43], v[42:43], v[0:1]
	v_div_scale_f64 v[0:1], vcc, 1.0, v[10:11], 1.0
	v_mul_f64 v[32:33], v[0:1], v[42:43]
	v_fma_f64 v[0:1], -v[36:37], v[32:33], v[0:1]
	s_cselect_b64 s[2:3], -1, 0
	s_nop 0
	v_div_fmas_f64 v[0:1], v[0:1], v[42:43], v[32:33]
	v_div_fixup_f64 v[10:11], v[0:1], v[10:11], 1.0
	v_mul_f64 v[0:1], v[8:9], v[2:3]
	v_mul_f64 v[8:9], v[8:9], -v[34:35]
	v_fmac_f64_e32 v[0:1], v[34:35], v[6:7]
	v_fmac_f64_e32 v[8:9], v[2:3], v[6:7]
	v_mul_f64 v[0:1], v[10:11], v[0:1]
	v_mul_f64 v[2:3], v[10:11], v[8:9]
	ds_write_b128 v21, v[0:3] offset:16
	s_waitcnt lgkmcnt(0)
	ds_read_b128 v[6:9], v28 offset:16
	ds_read_b128 v[32:35], v14
	s_waitcnt lgkmcnt(0)
	v_fmac_f64_e32 v[32:33], v[0:1], v[6:7]
	v_fmac_f64_e32 v[34:35], v[2:3], v[6:7]
	v_fmac_f64_e32 v[32:33], v[2:3], v[8:9]
	v_fma_f64 v[34:35], v[0:1], -v[8:9], v[34:35]
	ds_write_b128 v14, v[32:35]
	s_waitcnt lgkmcnt(0)
	ds_read2_b64 v[0:3], v22 offset1:1
	s_waitcnt lgkmcnt(0)
	global_store_dwordx4 v[4:5], v[0:3], off
	buffer_wbl2 sc1
	s_waitcnt vmcnt(0)
	buffer_inv sc1
	s_and_b64 vcc, exec, s[2:3]
	s_cbranch_vccnz .LBB60_64
.LBB60_22:                              ; =>This Loop Header: Depth=1
                                        ;     Child Loop BB60_25 Depth 2
                                        ;     Child Loop BB60_36 Depth 2
                                        ;     Child Loop BB60_41 Depth 2
	s_ashr_i32 s23, s22, 31
	s_lshl_b64 s[2:3], s[22:23], 2
	s_add_u32 s2, s14, s2
	s_addc_u32 s3, s15, s3
	s_load_dword s23, s[2:3], 0x0
	s_waitcnt lgkmcnt(0)
	s_sub_i32 s24, s23, s17
	s_ashr_i32 s25, s24, 31
	s_lshl_b64 s[2:3], s[24:25], 2
	s_add_u32 s26, s4, s2
	s_addc_u32 s27, s5, s3
	s_load_dword s25, s[26:27], 0x0
	s_waitcnt lgkmcnt(0)
	s_cmp_eq_u32 s25, -1
	s_cbranch_scc1 .LBB60_49
; %bb.23:                               ;   in Loop: Header=BB60_22 Depth=1
	v_lshl_add_u32 v0, s22, 2, v29
	v_ashrrev_i32_e32 v1, 31, v0
	v_lshl_add_u64 v[4:5], v[0:1], 4, s[18:19]
	global_load_dwordx4 v[0:3], v[4:5], off
	s_add_u32 s26, s12, s2
	s_addc_u32 s27, s13, s3
	s_load_dword s26, s[26:27], 0x0
	ds_read_b32 v6, v30 offset:256
	s_mov_b32 s27, 0
	s_waitcnt lgkmcnt(0)
	s_sub_i32 s26, s26, s17
	s_cmp_le_i32 s26, s25
	v_cmp_ge_i32_e32 vcc, s24, v6
	s_cselect_b64 s[28:29], -1, 0
	s_and_b64 s[28:29], s[28:29], vcc
	s_andn2_b64 vcc, exec, s[28:29]
	s_waitcnt vmcnt(0)
	ds_write2_b64 v22, v[0:1], v[2:3] offset1:1
	s_cbranch_vccnz .LBB60_35
; %bb.24:                               ;   in Loop: Header=BB60_22 Depth=1
	s_mov_b32 s34, 0
	s_mov_b32 s35, 0
.LBB60_25:                              ;   Parent Loop BB60_22 Depth=1
                                        ; =>  This Inner Loop Header: Depth=2
	s_ashr_i32 s27, s26, 31
	s_lshl_b64 s[28:29], s[26:27], 2
	s_add_u32 s28, s14, s28
	s_addc_u32 s29, s15, s29
	s_load_dword s27, s[28:29], 0x0
	s_lshl_b32 s28, s35, 2
	v_mov_b32_e32 v0, s28
	ds_read_b32 v0, v0 offset:256
	s_mov_b64 s[28:29], -1
	s_waitcnt lgkmcnt(0)
	s_sub_i32 s39, s27, s17
                                        ; implicit-def: $sgpr27
                                        ; implicit-def: $sgpr38
                                        ; implicit-def: $sgpr37
	v_cmp_ge_i32_e32 vcc, s39, v0
	v_readfirstlane_b32 s36, v0
	s_cbranch_vccz .LBB60_31
; %bb.26:                               ;   in Loop: Header=BB60_25 Depth=2
	s_cmp_le_i32 s39, s36
                                        ; implicit-def: $sgpr27
                                        ; implicit-def: $sgpr38
                                        ; implicit-def: $sgpr37
	s_cbranch_scc0 .LBB60_28
; %bb.27:                               ;   in Loop: Header=BB60_25 Depth=2
	s_add_i32 s27, s35, s31
	s_lshl_b32 s27, s27, 2
	s_lshl_b32 s28, s34, 2
	v_mov_b32_e32 v1, s27
	s_lshl_b32 s27, s26, 2
	v_mov_b32_e32 v0, s28
	v_mov_b32_e32 v2, s27
	ds_write2_b32 v0, v2, v1 offset1:32
	s_add_i32 s37, s35, 1
	s_add_i32 s38, s26, 1
	;; [unrolled: 1-line block ×3, first 2 shown]
	s_mov_b64 s[28:29], 0
.LBB60_28:                              ;   in Loop: Header=BB60_25 Depth=2
	s_andn2_b64 vcc, exec, s[28:29]
	s_cbranch_vccnz .LBB60_30
; %bb.29:                               ;   in Loop: Header=BB60_25 Depth=2
	s_add_i32 s37, s35, 1
	s_mov_b32 s27, s34
	s_mov_b32 s38, s26
.LBB60_30:                              ;   in Loop: Header=BB60_25 Depth=2
	s_mov_b64 s[28:29], 0
.LBB60_31:                              ;   in Loop: Header=BB60_25 Depth=2
	s_andn2_b64 vcc, exec, s[28:29]
	s_cbranch_vccnz .LBB60_33
; %bb.32:                               ;   in Loop: Header=BB60_25 Depth=2
	s_add_i32 s38, s26, 1
	s_mov_b32 s37, s35
	s_mov_b32 s27, s34
.LBB60_33:                              ;   in Loop: Header=BB60_25 Depth=2
	s_cmp_le_i32 s38, s25
	s_cselect_b64 s[28:29], -1, 0
	s_cmp_le_i32 s36, s24
	s_cselect_b64 s[34:35], -1, 0
	s_and_b64 s[28:29], s[28:29], s[34:35]
	s_and_b64 vcc, exec, s[28:29]
	s_cbranch_vccz .LBB60_35
; %bb.34:                               ;   in Loop: Header=BB60_25 Depth=2
	s_mov_b32 s34, s27
	s_mov_b32 s26, s38
	;; [unrolled: 1-line block ×3, first 2 shown]
	s_branch .LBB60_25
.LBB60_35:                              ;   in Loop: Header=BB60_22 Depth=1
	s_add_u32 s2, s6, s2
	s_addc_u32 s3, s7, s3
	s_waitcnt lgkmcnt(0)
.LBB60_36:                              ;   Parent Loop BB60_22 Depth=1
                                        ; =>  This Inner Loop Header: Depth=2
	global_load_dword v0, v30, s[2:3] sc1
	s_waitcnt vmcnt(0)
	v_cmp_eq_u32_e32 vcc, 0, v0
	s_cbranch_vccnz .LBB60_36
; %bb.37:                               ;   in Loop: Header=BB60_22 Depth=1
	v_lshl_add_u32 v0, s25, 2, v29
	v_ashrrev_i32_e32 v1, 31, v0
	v_lshl_add_u64 v[0:1], v[0:1], 4, s[18:19]
	buffer_inv sc1
	global_load_dwordx4 v[6:9], v[0:1], off
	v_mov_b64_e32 v[2:3], 0
	s_cmp_lt_i32 s27, 2
	v_mov_b64_e32 v[0:1], 0
	s_waitcnt vmcnt(0)
	ds_write2_b64 v23, v[6:7], v[8:9] offset1:1
	s_waitcnt lgkmcnt(0)
	s_cbranch_scc1 .LBB60_57
; %bb.38:                               ;   in Loop: Header=BB60_22 Depth=1
	s_add_i32 s25, s27, -1
	s_cmp_eq_u32 s27, 2
	s_cbranch_scc1 .LBB60_50
; %bb.39:                               ;   in Loop: Header=BB60_22 Depth=1
	v_mov_b64_e32 v[2:3], 0
	s_and_b32 s24, s25, -2
	s_mov_b32 s26, 0
	s_mov_b32 s27, 0
	v_mov_b64_e32 v[0:1], v[2:3]
	s_branch .LBB60_41
.LBB60_40:                              ;   in Loop: Header=BB60_41 Depth=2
	s_add_i32 s27, s27, 2
	s_add_i32 s26, s26, 8
	s_cmp_eq_u32 s24, s27
	s_cbranch_scc1 .LBB60_51
.LBB60_41:                              ;   Parent Loop BB60_22 Depth=1
                                        ; =>  This Inner Loop Header: Depth=2
	v_mov_b32_e32 v6, s26
	s_waitcnt lgkmcnt(0)
	ds_read2_b32 v[10:11], v6 offset1:32
	s_mov_b64 s[2:3], -1
	s_and_b64 vcc, exec, s[20:21]
                                        ; implicit-def: $vgpr8_vgpr9
                                        ; implicit-def: $vgpr6_vgpr7
	s_cbranch_vccz .LBB60_43
; %bb.42:                               ;   in Loop: Header=BB60_41 Depth=2
	s_waitcnt lgkmcnt(0)
	v_add_u32_e32 v6, v10, v12
	v_ashrrev_i32_e32 v7, 31, v6
	v_add_u32_e32 v8, v11, v13
	v_lshl_add_u64 v[6:7], v[6:7], 4, s[18:19]
	v_ashrrev_i32_e32 v9, 31, v8
	v_lshl_add_u64 v[8:9], v[8:9], 4, s[18:19]
	global_load_dwordx4 v[32:35], v[6:7], off
	global_load_dwordx4 v[36:39], v[8:9], off
	v_add_u32_e32 v6, v24, v10
	v_ashrrev_i32_e32 v7, 31, v6
	v_add_u32_e32 v8, v25, v11
	v_lshl_add_u64 v[6:7], v[6:7], 4, s[18:19]
	v_ashrrev_i32_e32 v9, 31, v8
	v_lshl_add_u64 v[8:9], v[8:9], 4, s[18:19]
	global_load_dwordx4 v[40:43], v[6:7], off
	global_load_dwordx4 v[44:47], v[8:9], off
	s_mov_b64 s[2:3], 0
	s_waitcnt vmcnt(2)
	v_fma_f64 v[6:7], v[32:33], v[36:37], v[0:1]
	v_fma_f64 v[8:9], v[34:35], v[36:37], v[2:3]
	v_fmac_f64_e32 v[6:7], v[34:35], v[38:39]
	v_fma_f64 v[8:9], v[32:33], -v[38:39], v[8:9]
	s_waitcnt vmcnt(0)
	v_fmac_f64_e32 v[6:7], v[40:41], v[44:45]
	v_fmac_f64_e32 v[8:9], v[42:43], v[44:45]
	;; [unrolled: 1-line block ×3, first 2 shown]
	v_fma_f64 v[8:9], v[40:41], -v[46:47], v[8:9]
.LBB60_43:                              ;   in Loop: Header=BB60_41 Depth=2
	s_andn2_b64 vcc, exec, s[2:3]
	s_cbranch_vccnz .LBB60_45
; %bb.44:                               ;   in Loop: Header=BB60_41 Depth=2
	s_waitcnt lgkmcnt(0)
	v_add_u32_e32 v6, v10, v20
	v_ashrrev_i32_e32 v7, 31, v6
	v_lshl_add_u64 v[44:45], v[6:7], 4, s[18:19]
	v_add_u32_e32 v6, v11, v18
	v_ashrrev_i32_e32 v7, 31, v6
	v_lshl_add_u64 v[10:11], v[6:7], 4, s[18:19]
	global_load_dwordx4 v[6:9], v[10:11], off
	global_load_dwordx4 v[32:35], v[44:45], off
	global_load_dwordx4 v[36:39], v[44:45], off offset:16
	global_load_dwordx4 v[40:43], v[10:11], off offset:16
	s_waitcnt vmcnt(2)
	v_fmac_f64_e32 v[0:1], v[32:33], v[6:7]
	v_fmac_f64_e32 v[2:3], v[34:35], v[6:7]
	;; [unrolled: 1-line block ×3, first 2 shown]
	v_fma_f64 v[2:3], v[32:33], -v[8:9], v[2:3]
	s_waitcnt vmcnt(0)
	v_fmac_f64_e32 v[0:1], v[36:37], v[40:41]
	v_fmac_f64_e32 v[2:3], v[38:39], v[40:41]
	;; [unrolled: 1-line block ×3, first 2 shown]
	v_fma_f64 v[8:9], v[36:37], -v[42:43], v[2:3]
	v_mov_b64_e32 v[6:7], v[0:1]
.LBB60_45:                              ;   in Loop: Header=BB60_41 Depth=2
	v_mov_b32_e32 v0, s26
	s_waitcnt lgkmcnt(0)
	ds_read2_b32 v[10:11], v0 offset0:1 offset1:33
	s_andn2_b64 vcc, exec, s[20:21]
	s_mov_b64 s[2:3], -1
                                        ; implicit-def: $vgpr2_vgpr3
	s_cbranch_vccnz .LBB60_47
; %bb.46:                               ;   in Loop: Header=BB60_41 Depth=2
	s_waitcnt lgkmcnt(0)
	v_add_u32_e32 v0, v10, v12
	v_ashrrev_i32_e32 v1, 31, v0
	v_add_u32_e32 v2, v11, v13
	v_lshl_add_u64 v[0:1], v[0:1], 4, s[18:19]
	v_ashrrev_i32_e32 v3, 31, v2
	v_lshl_add_u64 v[2:3], v[2:3], 4, s[18:19]
	global_load_dwordx4 v[32:35], v[0:1], off
	global_load_dwordx4 v[36:39], v[2:3], off
	v_add_u32_e32 v0, v24, v10
	v_ashrrev_i32_e32 v1, 31, v0
	v_add_u32_e32 v2, v25, v11
	v_lshl_add_u64 v[0:1], v[0:1], 4, s[18:19]
	v_ashrrev_i32_e32 v3, 31, v2
	v_lshl_add_u64 v[2:3], v[2:3], 4, s[18:19]
	global_load_dwordx4 v[40:43], v[0:1], off
	global_load_dwordx4 v[44:47], v[2:3], off
	s_mov_b64 s[2:3], 0
	s_waitcnt vmcnt(2)
	v_fma_f64 v[0:1], v[32:33], v[36:37], v[6:7]
	v_fma_f64 v[2:3], v[34:35], v[36:37], v[8:9]
	v_fmac_f64_e32 v[0:1], v[34:35], v[38:39]
	v_fma_f64 v[2:3], v[32:33], -v[38:39], v[2:3]
	s_waitcnt vmcnt(0)
	v_fmac_f64_e32 v[0:1], v[40:41], v[44:45]
	v_fmac_f64_e32 v[2:3], v[42:43], v[44:45]
	;; [unrolled: 1-line block ×3, first 2 shown]
	v_fma_f64 v[2:3], v[40:41], -v[46:47], v[2:3]
.LBB60_47:                              ;   in Loop: Header=BB60_41 Depth=2
	s_andn2_b64 vcc, exec, s[2:3]
	s_cbranch_vccnz .LBB60_40
; %bb.48:                               ;   in Loop: Header=BB60_41 Depth=2
	s_waitcnt lgkmcnt(0)
	v_add_u32_e32 v0, v10, v20
	v_ashrrev_i32_e32 v1, 31, v0
	v_lshl_add_u64 v[44:45], v[0:1], 4, s[18:19]
	v_add_u32_e32 v0, v11, v18
	v_ashrrev_i32_e32 v1, 31, v0
	v_lshl_add_u64 v[10:11], v[0:1], 4, s[18:19]
	global_load_dwordx4 v[0:3], v[10:11], off
	global_load_dwordx4 v[32:35], v[44:45], off
	global_load_dwordx4 v[36:39], v[44:45], off offset:16
	global_load_dwordx4 v[40:43], v[10:11], off offset:16
	s_waitcnt vmcnt(2)
	v_fmac_f64_e32 v[6:7], v[32:33], v[0:1]
	v_fmac_f64_e32 v[8:9], v[34:35], v[0:1]
	;; [unrolled: 1-line block ×3, first 2 shown]
	v_fma_f64 v[0:1], v[32:33], -v[2:3], v[8:9]
	s_waitcnt vmcnt(0)
	v_fmac_f64_e32 v[6:7], v[36:37], v[40:41]
	v_fmac_f64_e32 v[0:1], v[38:39], v[40:41]
	;; [unrolled: 1-line block ×3, first 2 shown]
	v_fma_f64 v[2:3], v[36:37], -v[42:43], v[0:1]
	v_mov_b64_e32 v[0:1], v[6:7]
	s_branch .LBB60_40
.LBB60_49:                              ;   in Loop: Header=BB60_22 Depth=1
                                        ; implicit-def: $sgpr22
	s_cbranch_execz .LBB60_22
	s_branch .LBB60_64
.LBB60_50:                              ;   in Loop: Header=BB60_22 Depth=1
	v_mov_b64_e32 v[0:1], 0
	s_mov_b32 s24, 0
	v_mov_b64_e32 v[2:3], v[0:1]
.LBB60_51:                              ;   in Loop: Header=BB60_22 Depth=1
	s_bitcmp0_b32 s25, 0
	s_cbranch_scc1 .LBB60_57
; %bb.52:                               ;   in Loop: Header=BB60_22 Depth=1
	s_lshl_b32 s2, s24, 2
	v_mov_b32_e32 v6, s2
	ds_read2_b32 v[6:7], v6 offset1:32
	s_andn2_b64 vcc, exec, s[20:21]
	s_mov_b64 s[2:3], -1
                                        ; implicit-def: $vgpr10_vgpr11
                                        ; implicit-def: $vgpr8_vgpr9
	s_cbranch_vccnz .LBB60_54
; %bb.53:                               ;   in Loop: Header=BB60_22 Depth=1
	s_waitcnt lgkmcnt(0)
	v_add_u32_e32 v8, v6, v12
	v_ashrrev_i32_e32 v9, 31, v8
	v_add_u32_e32 v10, v7, v13
	v_lshl_add_u64 v[8:9], v[8:9], 4, s[18:19]
	v_ashrrev_i32_e32 v11, 31, v10
	v_lshl_add_u64 v[10:11], v[10:11], 4, s[18:19]
	global_load_dwordx4 v[32:35], v[8:9], off
	global_load_dwordx4 v[36:39], v[10:11], off
	v_add_u32_e32 v8, v24, v6
	v_ashrrev_i32_e32 v9, 31, v8
	v_add_u32_e32 v10, v25, v7
	v_lshl_add_u64 v[8:9], v[8:9], 4, s[18:19]
	v_ashrrev_i32_e32 v11, 31, v10
	v_lshl_add_u64 v[10:11], v[10:11], 4, s[18:19]
	global_load_dwordx4 v[40:43], v[8:9], off
	global_load_dwordx4 v[44:47], v[10:11], off
	s_mov_b64 s[2:3], 0
	s_waitcnt vmcnt(2)
	v_fma_f64 v[8:9], v[32:33], v[36:37], v[0:1]
	v_fma_f64 v[10:11], v[34:35], v[36:37], v[2:3]
	v_fmac_f64_e32 v[8:9], v[34:35], v[38:39]
	v_fma_f64 v[10:11], v[32:33], -v[38:39], v[10:11]
	s_waitcnt vmcnt(0)
	v_fmac_f64_e32 v[8:9], v[40:41], v[44:45]
	v_fmac_f64_e32 v[10:11], v[42:43], v[44:45]
	;; [unrolled: 1-line block ×3, first 2 shown]
	v_fma_f64 v[10:11], v[40:41], -v[46:47], v[10:11]
.LBB60_54:                              ;   in Loop: Header=BB60_22 Depth=1
	s_andn2_b64 vcc, exec, s[2:3]
	s_cbranch_vccnz .LBB60_56
; %bb.55:                               ;   in Loop: Header=BB60_22 Depth=1
	s_waitcnt lgkmcnt(0)
	v_add_u32_e32 v8, v6, v20
	v_add_u32_e32 v6, v7, v18
	v_ashrrev_i32_e32 v7, 31, v6
	v_ashrrev_i32_e32 v9, 31, v8
	v_lshl_add_u64 v[44:45], v[6:7], 4, s[18:19]
	v_lshl_add_u64 v[10:11], v[8:9], 4, s[18:19]
	global_load_dwordx4 v[6:9], v[44:45], off
	global_load_dwordx4 v[32:35], v[10:11], off
	global_load_dwordx4 v[36:39], v[10:11], off offset:16
	global_load_dwordx4 v[40:43], v[44:45], off offset:16
	s_waitcnt vmcnt(2)
	v_fmac_f64_e32 v[0:1], v[32:33], v[6:7]
	v_fmac_f64_e32 v[2:3], v[34:35], v[6:7]
	;; [unrolled: 1-line block ×3, first 2 shown]
	v_fma_f64 v[2:3], v[32:33], -v[8:9], v[2:3]
	s_waitcnt vmcnt(0)
	v_fmac_f64_e32 v[0:1], v[36:37], v[40:41]
	v_fmac_f64_e32 v[2:3], v[38:39], v[40:41]
	;; [unrolled: 1-line block ×3, first 2 shown]
	v_fma_f64 v[10:11], v[36:37], -v[42:43], v[2:3]
	v_mov_b64_e32 v[8:9], v[0:1]
.LBB60_56:                              ;   in Loop: Header=BB60_22 Depth=1
	s_waitcnt lgkmcnt(1)
	v_mov_b64_e32 v[2:3], v[10:11]
	v_mov_b64_e32 v[0:1], v[8:9]
.LBB60_57:                              ;   in Loop: Header=BB60_22 Depth=1
	ds_write_b128 v27, v[0:3]
	s_waitcnt lgkmcnt(0)
	ds_read_b128 v[6:9], v30 offset:384
	ds_read_b128 v[0:3], v21
	s_waitcnt lgkmcnt(1)
	v_cmp_neq_f64_e32 vcc, 0, v[6:7]
	v_cmp_neq_f64_e64 s[2:3], 0, v[8:9]
	s_or_b64 vcc, vcc, s[2:3]
	v_cndmask_b32_e32 v7, v31, v7, vcc
	s_nor_b64 s[24:25], vcc, s[0:1]
	v_cndmask_b32_e32 v6, 0, v6, vcc
	v_cndmask_b32_e32 v9, 0, v9, vcc
	;; [unrolled: 1-line block ×3, first 2 shown]
	s_and_saveexec_b64 s[2:3], s[24:25]
	s_cbranch_execz .LBB60_61
; %bb.58:                               ;   in Loop: Header=BB60_22 Depth=1
	v_mbcnt_lo_u32_b32 v6, exec_lo, 0
	v_mbcnt_hi_u32_b32 v6, exec_hi, v6
	v_cmp_eq_u32_e32 vcc, 0, v6
	s_and_saveexec_b64 s[24:25], vcc
	s_cbranch_execz .LBB60_60
; %bb.59:                               ;   in Loop: Header=BB60_22 Depth=1
	v_mov_b32_e32 v6, s23
	global_atomic_smin v30, v6, s[10:11]
.LBB60_60:                              ;   in Loop: Header=BB60_22 Depth=1
	s_or_b64 exec, exec, s[24:25]
	v_mov_b64_e32 v[8:9], 0
	v_mov_b64_e32 v[6:7], 1.0
.LBB60_61:                              ;   in Loop: Header=BB60_22 Depth=1
	s_or_b64 exec, exec, s[2:3]
	v_mul_f64 v[10:11], v[8:9], v[8:9]
	v_fmac_f64_e32 v[10:11], v[6:7], v[6:7]
	ds_read_b128 v[32:35], v26
	v_div_scale_f64 v[36:37], s[2:3], v[10:11], v[10:11], 1.0
	v_rcp_f64_e32 v[38:39], v[36:37]
	s_waitcnt lgkmcnt(0)
	v_add_f64 v[32:33], v[0:1], -v[32:33]
	v_add_f64 v[2:3], v[2:3], -v[34:35]
	v_fma_f64 v[0:1], -v[36:37], v[38:39], 1.0
	v_fmac_f64_e32 v[38:39], v[38:39], v[0:1]
	v_fma_f64 v[0:1], -v[36:37], v[38:39], 1.0
	v_fmac_f64_e32 v[38:39], v[38:39], v[0:1]
	v_div_scale_f64 v[0:1], vcc, 1.0, v[10:11], 1.0
	v_mul_f64 v[34:35], v[0:1], v[38:39]
	v_fma_f64 v[0:1], -v[36:37], v[34:35], v[0:1]
	s_nop 1
	v_div_fmas_f64 v[0:1], v[0:1], v[38:39], v[34:35]
	v_div_fixup_f64 v[10:11], v[0:1], v[10:11], 1.0
	v_mul_f64 v[0:1], v[8:9], v[2:3]
	v_mul_f64 v[8:9], v[8:9], -v[32:33]
	v_fmac_f64_e32 v[0:1], v[32:33], v[6:7]
	v_fmac_f64_e32 v[8:9], v[2:3], v[6:7]
	v_mul_f64 v[0:1], v[10:11], v[0:1]
	v_mul_f64 v[2:3], v[10:11], v[8:9]
	ds_write_b128 v21, v[0:3]
	s_waitcnt lgkmcnt(0)
	ds_read_b128 v[6:9], v28
	ds_read_b128 v[32:35], v14
	s_waitcnt lgkmcnt(0)
	v_fmac_f64_e32 v[32:33], v[0:1], v[6:7]
	v_fmac_f64_e32 v[34:35], v[2:3], v[6:7]
	;; [unrolled: 1-line block ×3, first 2 shown]
	v_fma_f64 v[34:35], v[0:1], -v[8:9], v[34:35]
	ds_write_b128 v14, v[32:35]
	s_waitcnt lgkmcnt(0)
	ds_read_b128 v[6:9], v30 offset:448
	ds_read_b128 v[0:3], v21 offset:16
	s_waitcnt lgkmcnt(1)
	v_cmp_neq_f64_e32 vcc, 0, v[6:7]
	v_cmp_neq_f64_e64 s[2:3], 0, v[8:9]
	s_or_b64 vcc, vcc, s[2:3]
	v_cndmask_b32_e32 v7, v31, v7, vcc
	s_nor_b64 s[24:25], vcc, s[0:1]
	v_cndmask_b32_e32 v6, 0, v6, vcc
	v_cndmask_b32_e32 v9, 0, v9, vcc
	;; [unrolled: 1-line block ×3, first 2 shown]
	s_and_saveexec_b64 s[2:3], s[24:25]
	s_cbranch_execz .LBB60_21
; %bb.62:                               ;   in Loop: Header=BB60_22 Depth=1
	v_mbcnt_lo_u32_b32 v6, exec_lo, 0
	v_mbcnt_hi_u32_b32 v6, exec_hi, v6
	v_cmp_eq_u32_e32 vcc, 0, v6
	s_and_saveexec_b64 s[24:25], vcc
	s_cbranch_execz .LBB60_20
; %bb.63:                               ;   in Loop: Header=BB60_22 Depth=1
	v_mov_b32_e32 v6, s23
	global_atomic_smin v30, v6, s[10:11]
	s_branch .LBB60_20
.LBB60_64:
	s_waitcnt lgkmcnt(0)
	s_cmp_eq_u32 s33, 0
	s_cselect_b64 vcc, -1, 0
	v_cndmask_b32_e32 v0, v19, v17, vcc
	v_lshl_add_u32 v0, s30, 2, v0
	v_ashrrev_i32_e32 v1, 31, v0
	v_lshl_add_u64 v[0:1], v[0:1], 4, s[18:19]
	global_load_dwordx4 v[2:5], v[0:1], off
	v_mov_b32_e32 v6, 0x240
	v_mad_u32_u24 v9, v13, 48, v6
	v_cmp_ne_u32_e64 s[2:3], 0, v13
	v_lshl_add_u32 v8, v12, 4, v9
	v_cmp_eq_u32_e32 vcc, 0, v13
	s_waitcnt vmcnt(0)
	ds_write2_b64 v8, v[2:3], v[4:5] offset1:1
	s_waitcnt lgkmcnt(0)
	s_and_saveexec_b64 s[0:1], vcc
	s_cbranch_execz .LBB60_71
; %bb.65:
	v_mov_b32_e32 v6, 0
	ds_read_b128 v[2:5], v6 offset:672
	ds_read_b128 v[18:21], v6 offset:576
	s_waitcnt lgkmcnt(0)
	v_add_f64 v[2:3], v[18:19], -v[2:3]
	v_add_f64 v[6:7], v[20:21], -v[4:5]
	v_xor_b32_e32 v4, 0x80000000, v3
	v_cmp_gt_f64_e32 vcc, 0, v[2:3]
	v_xor_b32_e32 v5, 0x80000000, v7
	s_nop 0
	v_cndmask_b32_e32 v3, v3, v4, vcc
	v_cmp_gt_f64_e32 vcc, 0, v[6:7]
	v_mov_b32_e32 v4, v6
	s_nop 0
	v_cndmask_b32_e32 v5, v7, v5, vcc
	v_cmp_ngt_f64_e32 vcc, v[2:3], v[4:5]
	s_cbranch_vccz .LBB60_68
; %bb.66:
	v_cmp_eq_f64_e32 vcc, 0, v[6:7]
	s_mov_b64 s[4:5], 0
	s_cbranch_vccnz .LBB60_97
; %bb.67:
	v_div_scale_f64 v[6:7], s[12:13], v[4:5], v[4:5], v[2:3]
	v_rcp_f64_e32 v[10:11], v[6:7]
	v_div_scale_f64 v[18:19], vcc, v[2:3], v[4:5], v[2:3]
	s_mov_b32 s12, 0
	v_fma_f64 v[20:21], -v[6:7], v[10:11], 1.0
	v_fmac_f64_e32 v[10:11], v[10:11], v[20:21]
	v_fma_f64 v[20:21], -v[6:7], v[10:11], 1.0
	v_fmac_f64_e32 v[10:11], v[10:11], v[20:21]
	v_mul_f64 v[20:21], v[18:19], v[10:11]
	v_fma_f64 v[6:7], -v[6:7], v[20:21], v[18:19]
	v_div_fmas_f64 v[6:7], v[6:7], v[10:11], v[20:21]
	v_div_fixup_f64 v[6:7], v[6:7], v[4:5], v[2:3]
	v_fma_f64 v[6:7], v[6:7], v[6:7], 1.0
	s_brev_b32 s13, 8
	v_cmp_gt_f64_e32 vcc, s[12:13], v[6:7]
	s_and_b64 s[12:13], vcc, exec
	s_cselect_b32 s12, 0x100, 0
	v_ldexp_f64 v[6:7], v[6:7], s12
	v_rsq_f64_e32 v[10:11], v[6:7]
	s_cselect_b32 s12, 0xffffff80, 0
	v_mov_b32_e32 v17, 0x260
	v_cmp_class_f64_e32 vcc, v[6:7], v17
	v_mul_f64 v[18:19], v[6:7], v[10:11]
	v_mul_f64 v[10:11], v[10:11], 0.5
	v_fma_f64 v[20:21], -v[10:11], v[18:19], 0.5
	v_fmac_f64_e32 v[18:19], v[18:19], v[20:21]
	v_fma_f64 v[22:23], -v[18:19], v[18:19], v[6:7]
	v_fmac_f64_e32 v[10:11], v[10:11], v[20:21]
	v_fmac_f64_e32 v[18:19], v[22:23], v[10:11]
	v_fma_f64 v[20:21], -v[18:19], v[18:19], v[6:7]
	v_fmac_f64_e32 v[18:19], v[20:21], v[10:11]
	v_ldexp_f64 v[10:11], v[18:19], s12
	v_cndmask_b32_e32 v7, v11, v7, vcc
	v_cndmask_b32_e32 v6, v10, v6, vcc
	v_mul_f64 v[6:7], v[4:5], v[6:7]
	s_andn2_b64 vcc, exec, s[4:5]
	s_cbranch_vccz .LBB60_69
	s_branch .LBB60_70
.LBB60_68:
                                        ; implicit-def: $vgpr6_vgpr7
.LBB60_69:
	v_div_scale_f64 v[6:7], s[4:5], v[2:3], v[2:3], v[4:5]
	v_rcp_f64_e32 v[10:11], v[6:7]
	v_div_scale_f64 v[18:19], vcc, v[4:5], v[2:3], v[4:5]
	s_mov_b32 s4, 0
	v_fma_f64 v[20:21], -v[6:7], v[10:11], 1.0
	v_fmac_f64_e32 v[10:11], v[10:11], v[20:21]
	v_fma_f64 v[20:21], -v[6:7], v[10:11], 1.0
	v_fmac_f64_e32 v[10:11], v[10:11], v[20:21]
	v_mul_f64 v[20:21], v[18:19], v[10:11]
	v_fma_f64 v[6:7], -v[6:7], v[20:21], v[18:19]
	v_div_fmas_f64 v[6:7], v[6:7], v[10:11], v[20:21]
	v_div_fixup_f64 v[4:5], v[6:7], v[2:3], v[4:5]
	v_fma_f64 v[4:5], v[4:5], v[4:5], 1.0
	s_brev_b32 s5, 8
	v_cmp_gt_f64_e32 vcc, s[4:5], v[4:5]
	s_and_b64 s[4:5], vcc, exec
	s_cselect_b32 s4, 0x100, 0
	v_ldexp_f64 v[4:5], v[4:5], s4
	v_rsq_f64_e32 v[6:7], v[4:5]
	s_cselect_b32 s4, 0xffffff80, 0
	v_mul_f64 v[10:11], v[4:5], v[6:7]
	v_mul_f64 v[6:7], v[6:7], 0.5
	v_fma_f64 v[18:19], -v[6:7], v[10:11], 0.5
	v_fmac_f64_e32 v[10:11], v[10:11], v[18:19]
	v_fma_f64 v[20:21], -v[10:11], v[10:11], v[4:5]
	v_fmac_f64_e32 v[6:7], v[6:7], v[18:19]
	v_fmac_f64_e32 v[10:11], v[20:21], v[6:7]
	v_fma_f64 v[18:19], -v[10:11], v[10:11], v[4:5]
	v_fmac_f64_e32 v[10:11], v[18:19], v[6:7]
	v_ldexp_f64 v[6:7], v[10:11], s4
	v_mov_b32_e32 v10, 0x260
	v_cmp_class_f64_e32 vcc, v[4:5], v10
	s_nop 1
	v_cndmask_b32_e32 v5, v7, v5, vcc
	v_cndmask_b32_e32 v4, v6, v4, vcc
	v_mul_f64 v[6:7], v[2:3], v[4:5]
.LBB60_70:
	s_mov_b32 s4, 0
	s_brev_b32 s5, 8
	v_cmp_gt_f64_e32 vcc, s[4:5], v[6:7]
	s_and_b64 s[4:5], vcc, exec
	s_cselect_b32 s4, 0x100, 0
	v_ldexp_f64 v[2:3], v[6:7], s4
	v_rsq_f64_e32 v[4:5], v[2:3]
	s_cselect_b32 s4, 0xffffff80, 0
	v_mul_f64 v[6:7], v[2:3], v[4:5]
	v_mul_f64 v[4:5], v[4:5], 0.5
	v_fma_f64 v[10:11], -v[4:5], v[6:7], 0.5
	v_fmac_f64_e32 v[6:7], v[6:7], v[10:11]
	v_fmac_f64_e32 v[4:5], v[4:5], v[10:11]
	v_fma_f64 v[10:11], -v[6:7], v[6:7], v[2:3]
	v_fmac_f64_e32 v[6:7], v[10:11], v[4:5]
	v_fma_f64 v[10:11], -v[6:7], v[6:7], v[2:3]
	v_fmac_f64_e32 v[6:7], v[10:11], v[4:5]
	v_ldexp_f64 v[4:5], v[6:7], s4
	v_mov_b32_e32 v6, 0x260
	v_cmp_class_f64_e32 vcc, v[2:3], v6
	s_nop 1
	v_cndmask_b32_e32 v2, v4, v2, vcc
	v_mov_b32_e32 v4, 0
	v_cndmask_b32_e32 v3, v5, v3, vcc
	v_mov_b32_e32 v5, v4
	ds_write_b128 v4, v[2:5] offset:576
.LBB60_71:
	s_or_b64 exec, exec, s[0:1]
	v_mov_b32_e32 v2, 0
	s_waitcnt lgkmcnt(0)
	ds_read_b128 v[2:5], v2 offset:576
	v_cmp_ne_u32_e64 s[0:1], 0, v15
	v_mov_b32_e32 v6, 0x3ff00000
	s_add_i32 s14, s16, s17
	s_waitcnt lgkmcnt(0)
	v_cmp_neq_f64_e32 vcc, 0, v[2:3]
	v_cmp_neq_f64_e64 s[4:5], 0, v[4:5]
	s_or_b64 vcc, vcc, s[4:5]
	v_cndmask_b32_e32 v3, v6, v3, vcc
	s_nor_b64 s[12:13], vcc, s[0:1]
	v_cndmask_b32_e32 v2, 0, v2, vcc
	v_cndmask_b32_e32 v5, 0, v5, vcc
	;; [unrolled: 1-line block ×3, first 2 shown]
	s_and_saveexec_b64 s[4:5], s[12:13]
	s_cbranch_execz .LBB60_75
; %bb.72:
	v_mbcnt_lo_u32_b32 v2, exec_lo, 0
	v_mbcnt_hi_u32_b32 v2, exec_hi, v2
	v_cmp_eq_u32_e32 vcc, 0, v2
	s_and_saveexec_b64 s[12:13], vcc
	s_cbranch_execz .LBB60_74
; %bb.73:
	v_mov_b32_e32 v2, 0
	v_mov_b32_e32 v3, s14
	global_atomic_smin v2, v3, s[10:11]
.LBB60_74:
	s_or_b64 exec, exec, s[12:13]
	v_mov_b64_e32 v[4:5], 0
	v_mov_b64_e32 v[2:3], 1.0
.LBB60_75:
	s_or_b64 exec, exec, s[4:5]
	v_mov_b32_e32 v6, 0x240
	v_mad_u32_u24 v10, v12, 48, v6
	s_and_saveexec_b64 s[4:5], s[2:3]
	s_cbranch_execz .LBB60_77
; %bb.76:
	v_mul_f64 v[6:7], v[4:5], v[4:5]
	v_fmac_f64_e32 v[6:7], v[2:3], v[2:3]
	ds_read_b128 v[18:21], v9
	ds_read_b128 v[22:25], v16
	v_div_scale_f64 v[26:27], s[2:3], v[6:7], v[6:7], 1.0
	v_rcp_f64_e32 v[28:29], v[26:27]
	s_waitcnt lgkmcnt(0)
	v_add_f64 v[22:23], v[18:19], -v[22:23]
	v_add_f64 v[20:21], v[20:21], -v[24:25]
	v_fma_f64 v[18:19], -v[26:27], v[28:29], 1.0
	v_fmac_f64_e32 v[28:29], v[28:29], v[18:19]
	v_fma_f64 v[18:19], -v[26:27], v[28:29], 1.0
	v_fmac_f64_e32 v[28:29], v[28:29], v[18:19]
	v_div_scale_f64 v[18:19], vcc, 1.0, v[6:7], 1.0
	v_mul_f64 v[24:25], v[18:19], v[28:29]
	v_fma_f64 v[18:19], -v[26:27], v[24:25], v[18:19]
	s_nop 1
	v_div_fmas_f64 v[18:19], v[18:19], v[28:29], v[24:25]
	v_div_fixup_f64 v[6:7], v[18:19], v[6:7], 1.0
	v_mul_f64 v[18:19], v[4:5], v[20:21]
	v_mul_f64 v[4:5], v[4:5], -v[22:23]
	v_fmac_f64_e32 v[18:19], v[22:23], v[2:3]
	v_fmac_f64_e32 v[4:5], v[20:21], v[2:3]
	v_mul_f64 v[18:19], v[6:7], v[18:19]
	v_mul_f64 v[20:21], v[6:7], v[4:5]
	ds_write_b128 v9, v[18:21]
	s_waitcnt lgkmcnt(0)
	ds_read_b128 v[2:5], v10
	ds_read_b128 v[22:25], v14
	s_waitcnt lgkmcnt(0)
	v_fmac_f64_e32 v[22:23], v[18:19], v[2:3]
	v_fmac_f64_e32 v[24:25], v[20:21], v[2:3]
	;; [unrolled: 1-line block ×3, first 2 shown]
	v_fma_f64 v[24:25], v[18:19], -v[4:5], v[24:25]
	ds_write_b128 v14, v[22:25]
.LBB60_77:
	s_or_b64 exec, exec, s[4:5]
	v_cmp_eq_u32_e32 vcc, 1, v13
	s_waitcnt lgkmcnt(0)
	s_and_saveexec_b64 s[2:3], vcc
	s_cbranch_execz .LBB60_84
; %bb.78:
	v_mov_b32_e32 v6, 0
	ds_read_b128 v[2:5], v6 offset:736
	ds_read_b128 v[18:21], v6 offset:640
	s_waitcnt lgkmcnt(0)
	v_add_f64 v[2:3], v[18:19], -v[2:3]
	v_add_f64 v[6:7], v[20:21], -v[4:5]
	v_xor_b32_e32 v4, 0x80000000, v3
	v_cmp_gt_f64_e32 vcc, 0, v[2:3]
	v_xor_b32_e32 v5, 0x80000000, v7
	s_nop 0
	v_cndmask_b32_e32 v3, v3, v4, vcc
	v_cmp_gt_f64_e32 vcc, 0, v[6:7]
	v_mov_b32_e32 v4, v6
	s_nop 0
	v_cndmask_b32_e32 v5, v7, v5, vcc
	v_cmp_gt_f64_e32 vcc, v[2:3], v[4:5]
	s_cbranch_vccnz .LBB60_81
; %bb.79:
	v_cmp_eq_f64_e32 vcc, 0, v[6:7]
	s_mov_b64 s[4:5], 0
	s_cbranch_vccnz .LBB60_98
; %bb.80:
	v_div_scale_f64 v[6:7], s[12:13], v[4:5], v[4:5], v[2:3]
	v_rcp_f64_e32 v[18:19], v[6:7]
	v_div_scale_f64 v[20:21], vcc, v[2:3], v[4:5], v[2:3]
	s_mov_b32 s12, 0
	v_fma_f64 v[22:23], -v[6:7], v[18:19], 1.0
	v_fmac_f64_e32 v[18:19], v[18:19], v[22:23]
	v_fma_f64 v[22:23], -v[6:7], v[18:19], 1.0
	v_fmac_f64_e32 v[18:19], v[18:19], v[22:23]
	v_mul_f64 v[22:23], v[20:21], v[18:19]
	v_fma_f64 v[6:7], -v[6:7], v[22:23], v[20:21]
	v_div_fmas_f64 v[6:7], v[6:7], v[18:19], v[22:23]
	v_div_fixup_f64 v[6:7], v[6:7], v[4:5], v[2:3]
	v_fma_f64 v[6:7], v[6:7], v[6:7], 1.0
	s_brev_b32 s13, 8
	v_cmp_gt_f64_e32 vcc, s[12:13], v[6:7]
	s_and_b64 s[12:13], vcc, exec
	s_cselect_b32 s12, 0x100, 0
	v_ldexp_f64 v[6:7], v[6:7], s12
	v_rsq_f64_e32 v[18:19], v[6:7]
	s_cselect_b32 s12, 0xffffff80, 0
	v_mov_b32_e32 v11, 0x260
	v_cmp_class_f64_e32 vcc, v[6:7], v11
	v_mul_f64 v[20:21], v[6:7], v[18:19]
	v_mul_f64 v[18:19], v[18:19], 0.5
	v_fma_f64 v[22:23], -v[18:19], v[20:21], 0.5
	v_fmac_f64_e32 v[20:21], v[20:21], v[22:23]
	v_fma_f64 v[24:25], -v[20:21], v[20:21], v[6:7]
	v_fmac_f64_e32 v[18:19], v[18:19], v[22:23]
	v_fmac_f64_e32 v[20:21], v[24:25], v[18:19]
	v_fma_f64 v[22:23], -v[20:21], v[20:21], v[6:7]
	v_fmac_f64_e32 v[20:21], v[22:23], v[18:19]
	v_ldexp_f64 v[18:19], v[20:21], s12
	v_cndmask_b32_e32 v7, v19, v7, vcc
	v_cndmask_b32_e32 v6, v18, v6, vcc
	v_mul_f64 v[6:7], v[4:5], v[6:7]
	s_andn2_b64 vcc, exec, s[4:5]
	s_cbranch_vccz .LBB60_82
	s_branch .LBB60_83
.LBB60_81:
                                        ; implicit-def: $vgpr6_vgpr7
.LBB60_82:
	v_div_scale_f64 v[6:7], s[4:5], v[2:3], v[2:3], v[4:5]
	v_rcp_f64_e32 v[18:19], v[6:7]
	v_div_scale_f64 v[20:21], vcc, v[4:5], v[2:3], v[4:5]
	s_mov_b32 s4, 0
	v_fma_f64 v[22:23], -v[6:7], v[18:19], 1.0
	v_fmac_f64_e32 v[18:19], v[18:19], v[22:23]
	v_fma_f64 v[22:23], -v[6:7], v[18:19], 1.0
	v_fmac_f64_e32 v[18:19], v[18:19], v[22:23]
	v_mul_f64 v[22:23], v[20:21], v[18:19]
	v_fma_f64 v[6:7], -v[6:7], v[22:23], v[20:21]
	v_div_fmas_f64 v[6:7], v[6:7], v[18:19], v[22:23]
	v_div_fixup_f64 v[4:5], v[6:7], v[2:3], v[4:5]
	v_fma_f64 v[4:5], v[4:5], v[4:5], 1.0
	s_brev_b32 s5, 8
	v_cmp_gt_f64_e32 vcc, s[4:5], v[4:5]
	s_and_b64 s[4:5], vcc, exec
	s_cselect_b32 s4, 0x100, 0
	v_ldexp_f64 v[4:5], v[4:5], s4
	v_rsq_f64_e32 v[6:7], v[4:5]
	s_cselect_b32 s4, 0xffffff80, 0
	v_mov_b32_e32 v11, 0x260
	v_cmp_class_f64_e32 vcc, v[4:5], v11
	v_mul_f64 v[18:19], v[4:5], v[6:7]
	v_mul_f64 v[6:7], v[6:7], 0.5
	v_fma_f64 v[20:21], -v[6:7], v[18:19], 0.5
	v_fmac_f64_e32 v[18:19], v[18:19], v[20:21]
	v_fma_f64 v[22:23], -v[18:19], v[18:19], v[4:5]
	v_fmac_f64_e32 v[6:7], v[6:7], v[20:21]
	v_fmac_f64_e32 v[18:19], v[22:23], v[6:7]
	v_fma_f64 v[20:21], -v[18:19], v[18:19], v[4:5]
	v_fmac_f64_e32 v[18:19], v[20:21], v[6:7]
	v_ldexp_f64 v[6:7], v[18:19], s4
	v_cndmask_b32_e32 v5, v7, v5, vcc
	v_cndmask_b32_e32 v4, v6, v4, vcc
	v_mul_f64 v[6:7], v[2:3], v[4:5]
.LBB60_83:
	s_mov_b32 s4, 0
	s_brev_b32 s5, 8
	v_cmp_gt_f64_e32 vcc, s[4:5], v[6:7]
	s_and_b64 s[4:5], vcc, exec
	s_cselect_b32 s4, 0x100, 0
	v_ldexp_f64 v[2:3], v[6:7], s4
	v_rsq_f64_e32 v[4:5], v[2:3]
	s_cselect_b32 s4, 0xffffff80, 0
	v_mul_f64 v[6:7], v[2:3], v[4:5]
	v_mul_f64 v[4:5], v[4:5], 0.5
	v_fma_f64 v[18:19], -v[4:5], v[6:7], 0.5
	v_fmac_f64_e32 v[6:7], v[6:7], v[18:19]
	v_fmac_f64_e32 v[4:5], v[4:5], v[18:19]
	v_fma_f64 v[18:19], -v[6:7], v[6:7], v[2:3]
	v_fmac_f64_e32 v[6:7], v[18:19], v[4:5]
	v_fma_f64 v[18:19], -v[6:7], v[6:7], v[2:3]
	v_fmac_f64_e32 v[6:7], v[18:19], v[4:5]
	v_ldexp_f64 v[4:5], v[6:7], s4
	v_mov_b32_e32 v6, 0x260
	v_cmp_class_f64_e32 vcc, v[2:3], v6
	s_nop 1
	v_cndmask_b32_e32 v2, v4, v2, vcc
	v_mov_b32_e32 v4, 0
	v_cndmask_b32_e32 v3, v5, v3, vcc
	v_mov_b32_e32 v5, v4
	ds_write_b128 v4, v[2:5] offset:640
.LBB60_84:
	s_or_b64 exec, exec, s[2:3]
	v_mov_b32_e32 v2, 0
	s_waitcnt lgkmcnt(0)
	ds_read_b128 v[2:5], v2 offset:640
	v_mov_b32_e32 v6, 0x3ff00000
	s_waitcnt lgkmcnt(0)
	v_cmp_neq_f64_e32 vcc, 0, v[2:3]
	v_cmp_neq_f64_e64 s[2:3], 0, v[4:5]
	s_or_b64 vcc, vcc, s[2:3]
	v_cndmask_b32_e32 v3, v6, v3, vcc
	s_nor_b64 s[2:3], vcc, s[0:1]
	v_cndmask_b32_e32 v2, 0, v2, vcc
	v_cndmask_b32_e32 v5, 0, v5, vcc
	;; [unrolled: 1-line block ×3, first 2 shown]
	s_and_saveexec_b64 s[0:1], s[2:3]
	s_cbranch_execz .LBB60_88
; %bb.85:
	v_mbcnt_lo_u32_b32 v2, exec_lo, 0
	v_mbcnt_hi_u32_b32 v2, exec_hi, v2
	v_cmp_eq_u32_e32 vcc, 0, v2
	s_and_saveexec_b64 s[2:3], vcc
	s_cbranch_execz .LBB60_87
; %bb.86:
	v_mov_b32_e32 v2, 0
	v_mov_b32_e32 v3, s14
	global_atomic_smin v2, v3, s[10:11]
.LBB60_87:
	s_or_b64 exec, exec, s[2:3]
	v_mov_b64_e32 v[4:5], 0
	v_mov_b64_e32 v[2:3], 1.0
.LBB60_88:
	s_or_b64 exec, exec, s[0:1]
	v_cmp_lt_u32_e32 vcc, 1, v13
	s_and_saveexec_b64 s[0:1], vcc
	s_cbranch_execz .LBB60_90
; %bb.89:
	v_mul_f64 v[6:7], v[4:5], v[4:5]
	v_fmac_f64_e32 v[6:7], v[2:3], v[2:3]
	ds_read_b128 v[18:21], v9 offset:16
	ds_read_b128 v[22:25], v16 offset:16
	v_div_scale_f64 v[16:17], s[2:3], v[6:7], v[6:7], 1.0
	v_rcp_f64_e32 v[26:27], v[16:17]
	s_waitcnt lgkmcnt(0)
	v_add_f64 v[18:19], v[18:19], -v[22:23]
	v_add_f64 v[20:21], v[20:21], -v[24:25]
	v_fma_f64 v[22:23], -v[16:17], v[26:27], 1.0
	v_fmac_f64_e32 v[26:27], v[26:27], v[22:23]
	v_fma_f64 v[22:23], -v[16:17], v[26:27], 1.0
	v_fmac_f64_e32 v[26:27], v[26:27], v[22:23]
	v_div_scale_f64 v[22:23], vcc, 1.0, v[6:7], 1.0
	v_mul_f64 v[24:25], v[22:23], v[26:27]
	v_fma_f64 v[16:17], -v[16:17], v[24:25], v[22:23]
	s_nop 1
	v_div_fmas_f64 v[16:17], v[16:17], v[26:27], v[24:25]
	v_div_fixup_f64 v[6:7], v[16:17], v[6:7], 1.0
	v_mul_f64 v[16:17], v[4:5], v[20:21]
	v_mul_f64 v[4:5], v[4:5], -v[18:19]
	v_fmac_f64_e32 v[16:17], v[18:19], v[2:3]
	v_fmac_f64_e32 v[4:5], v[20:21], v[2:3]
	v_mul_f64 v[16:17], v[6:7], v[16:17]
	v_mul_f64 v[18:19], v[6:7], v[4:5]
	ds_write_b128 v9, v[16:19] offset:16
	s_waitcnt lgkmcnt(0)
	ds_read_b128 v[2:5], v10 offset:16
	ds_read_b128 v[20:23], v14
	s_waitcnt lgkmcnt(0)
	v_fmac_f64_e32 v[20:21], v[16:17], v[2:3]
	v_fmac_f64_e32 v[22:23], v[18:19], v[2:3]
	;; [unrolled: 1-line block ×3, first 2 shown]
	v_fma_f64 v[22:23], v[16:17], -v[4:5], v[22:23]
	ds_write_b128 v14, v[20:23]
.LBB60_90:
	s_or_b64 exec, exec, s[0:1]
	s_waitcnt lgkmcnt(0)
	ds_read2_b64 v[2:5], v8 offset1:1
	v_cmp_eq_u32_e32 vcc, 0, v15
	s_waitcnt lgkmcnt(0)
	global_store_dwordx4 v[0:1], v[2:5], off
	s_and_saveexec_b64 s[0:1], vcc
	s_cbranch_execz .LBB60_92
; %bb.91:
	s_add_u32 s2, s6, s8
	s_addc_u32 s3, s7, s9
	v_mov_b32_e32 v0, 0
	v_mov_b32_e32 v1, 1
	buffer_wbl2 sc1
	s_waitcnt vmcnt(0)
	global_store_dword v0, v1, s[2:3] sc1
.LBB60_92:
	s_or_b64 exec, exec, s[0:1]
	s_branch .LBB60_17
.LBB60_93:
	v_or_b32_e32 v0, v12, v13
	v_cmp_eq_u32_e32 vcc, 0, v0
	s_and_saveexec_b64 s[0:1], vcc
	s_cbranch_execz .LBB60_17
; %bb.94:
	v_mbcnt_lo_u32_b32 v0, exec_lo, 0
	v_mbcnt_hi_u32_b32 v0, exec_hi, v0
	v_cmp_eq_u32_e32 vcc, 0, v0
	s_and_saveexec_b64 s[0:1], vcc
	s_cbranch_execz .LBB60_96
; %bb.95:
	s_add_i32 s2, s16, s17
	v_mov_b32_e32 v0, 0
	v_mov_b32_e32 v1, s2
	global_atomic_smin v0, v1, s[10:11]
.LBB60_96:
	s_or_b64 exec, exec, s[0:1]
	s_add_u32 s0, s6, s8
	s_addc_u32 s1, s7, s9
	v_mov_b32_e32 v0, 0
	v_mov_b32_e32 v1, 1
	buffer_wbl2 sc1
	s_waitcnt vmcnt(0)
	global_store_dword v0, v1, s[0:1] sc1
	s_endpgm
.LBB60_97:
	v_mov_b64_e32 v[6:7], 0
	s_andn2_b64 vcc, exec, s[4:5]
	s_cbranch_vccz .LBB60_69
	s_branch .LBB60_70
.LBB60_98:
	v_mov_b64_e32 v[6:7], 0
	s_andn2_b64 vcc, exec, s[4:5]
	s_cbranch_vccz .LBB60_82
	s_branch .LBB60_83
	.section	.rodata,"a",@progbits
	.p2align	6, 0x0
	.amdhsa_kernel _ZN9rocsparseL26bsric0_2_8_unrolled_kernelILi4ELi32ELi2E21rocsparse_complex_numIdEEEv20rocsparse_direction_iiPKiS5_PT2_S5_PiS5_S8_21rocsparse_index_base_
		.amdhsa_group_segment_fixed_size 768
		.amdhsa_private_segment_fixed_size 0
		.amdhsa_kernarg_size 76
		.amdhsa_user_sgpr_count 2
		.amdhsa_user_sgpr_dispatch_ptr 0
		.amdhsa_user_sgpr_queue_ptr 0
		.amdhsa_user_sgpr_kernarg_segment_ptr 1
		.amdhsa_user_sgpr_dispatch_id 0
		.amdhsa_user_sgpr_kernarg_preload_length 0
		.amdhsa_user_sgpr_kernarg_preload_offset 0
		.amdhsa_user_sgpr_private_segment_size 0
		.amdhsa_uses_dynamic_stack 0
		.amdhsa_enable_private_segment 0
		.amdhsa_system_sgpr_workgroup_id_x 1
		.amdhsa_system_sgpr_workgroup_id_y 0
		.amdhsa_system_sgpr_workgroup_id_z 0
		.amdhsa_system_sgpr_workgroup_info 0
		.amdhsa_system_vgpr_workitem_id 1
		.amdhsa_next_free_vgpr 68
		.amdhsa_next_free_sgpr 40
		.amdhsa_accum_offset 68
		.amdhsa_reserve_vcc 1
		.amdhsa_float_round_mode_32 0
		.amdhsa_float_round_mode_16_64 0
		.amdhsa_float_denorm_mode_32 3
		.amdhsa_float_denorm_mode_16_64 3
		.amdhsa_dx10_clamp 1
		.amdhsa_ieee_mode 1
		.amdhsa_fp16_overflow 0
		.amdhsa_tg_split 0
		.amdhsa_exception_fp_ieee_invalid_op 0
		.amdhsa_exception_fp_denorm_src 0
		.amdhsa_exception_fp_ieee_div_zero 0
		.amdhsa_exception_fp_ieee_overflow 0
		.amdhsa_exception_fp_ieee_underflow 0
		.amdhsa_exception_fp_ieee_inexact 0
		.amdhsa_exception_int_div_zero 0
	.end_amdhsa_kernel
	.section	.text._ZN9rocsparseL26bsric0_2_8_unrolled_kernelILi4ELi32ELi2E21rocsparse_complex_numIdEEEv20rocsparse_direction_iiPKiS5_PT2_S5_PiS5_S8_21rocsparse_index_base_,"axG",@progbits,_ZN9rocsparseL26bsric0_2_8_unrolled_kernelILi4ELi32ELi2E21rocsparse_complex_numIdEEEv20rocsparse_direction_iiPKiS5_PT2_S5_PiS5_S8_21rocsparse_index_base_,comdat
.Lfunc_end60:
	.size	_ZN9rocsparseL26bsric0_2_8_unrolled_kernelILi4ELi32ELi2E21rocsparse_complex_numIdEEEv20rocsparse_direction_iiPKiS5_PT2_S5_PiS5_S8_21rocsparse_index_base_, .Lfunc_end60-_ZN9rocsparseL26bsric0_2_8_unrolled_kernelILi4ELi32ELi2E21rocsparse_complex_numIdEEEv20rocsparse_direction_iiPKiS5_PT2_S5_PiS5_S8_21rocsparse_index_base_
                                        ; -- End function
	.set _ZN9rocsparseL26bsric0_2_8_unrolled_kernelILi4ELi32ELi2E21rocsparse_complex_numIdEEEv20rocsparse_direction_iiPKiS5_PT2_S5_PiS5_S8_21rocsparse_index_base_.num_vgpr, 68
	.set _ZN9rocsparseL26bsric0_2_8_unrolled_kernelILi4ELi32ELi2E21rocsparse_complex_numIdEEEv20rocsparse_direction_iiPKiS5_PT2_S5_PiS5_S8_21rocsparse_index_base_.num_agpr, 0
	.set _ZN9rocsparseL26bsric0_2_8_unrolled_kernelILi4ELi32ELi2E21rocsparse_complex_numIdEEEv20rocsparse_direction_iiPKiS5_PT2_S5_PiS5_S8_21rocsparse_index_base_.numbered_sgpr, 40
	.set _ZN9rocsparseL26bsric0_2_8_unrolled_kernelILi4ELi32ELi2E21rocsparse_complex_numIdEEEv20rocsparse_direction_iiPKiS5_PT2_S5_PiS5_S8_21rocsparse_index_base_.num_named_barrier, 0
	.set _ZN9rocsparseL26bsric0_2_8_unrolled_kernelILi4ELi32ELi2E21rocsparse_complex_numIdEEEv20rocsparse_direction_iiPKiS5_PT2_S5_PiS5_S8_21rocsparse_index_base_.private_seg_size, 0
	.set _ZN9rocsparseL26bsric0_2_8_unrolled_kernelILi4ELi32ELi2E21rocsparse_complex_numIdEEEv20rocsparse_direction_iiPKiS5_PT2_S5_PiS5_S8_21rocsparse_index_base_.uses_vcc, 1
	.set _ZN9rocsparseL26bsric0_2_8_unrolled_kernelILi4ELi32ELi2E21rocsparse_complex_numIdEEEv20rocsparse_direction_iiPKiS5_PT2_S5_PiS5_S8_21rocsparse_index_base_.uses_flat_scratch, 0
	.set _ZN9rocsparseL26bsric0_2_8_unrolled_kernelILi4ELi32ELi2E21rocsparse_complex_numIdEEEv20rocsparse_direction_iiPKiS5_PT2_S5_PiS5_S8_21rocsparse_index_base_.has_dyn_sized_stack, 0
	.set _ZN9rocsparseL26bsric0_2_8_unrolled_kernelILi4ELi32ELi2E21rocsparse_complex_numIdEEEv20rocsparse_direction_iiPKiS5_PT2_S5_PiS5_S8_21rocsparse_index_base_.has_recursion, 0
	.set _ZN9rocsparseL26bsric0_2_8_unrolled_kernelILi4ELi32ELi2E21rocsparse_complex_numIdEEEv20rocsparse_direction_iiPKiS5_PT2_S5_PiS5_S8_21rocsparse_index_base_.has_indirect_call, 0
	.section	.AMDGPU.csdata,"",@progbits
; Kernel info:
; codeLenInByte = 6464
; TotalNumSgprs: 46
; NumVgprs: 68
; NumAgprs: 0
; TotalNumVgprs: 68
; ScratchSize: 0
; MemoryBound: 1
; FloatMode: 240
; IeeeMode: 1
; LDSByteSize: 768 bytes/workgroup (compile time only)
; SGPRBlocks: 5
; VGPRBlocks: 8
; NumSGPRsForWavesPerEU: 46
; NumVGPRsForWavesPerEU: 68
; AccumOffset: 68
; Occupancy: 7
; WaveLimiterHint : 1
; COMPUTE_PGM_RSRC2:SCRATCH_EN: 0
; COMPUTE_PGM_RSRC2:USER_SGPR: 2
; COMPUTE_PGM_RSRC2:TRAP_HANDLER: 0
; COMPUTE_PGM_RSRC2:TGID_X_EN: 1
; COMPUTE_PGM_RSRC2:TGID_Y_EN: 0
; COMPUTE_PGM_RSRC2:TGID_Z_EN: 0
; COMPUTE_PGM_RSRC2:TIDIG_COMP_CNT: 1
; COMPUTE_PGM_RSRC3_GFX90A:ACCUM_OFFSET: 16
; COMPUTE_PGM_RSRC3_GFX90A:TG_SPLIT: 0
	.section	.text._ZN9rocsparseL26bsric0_2_8_unrolled_kernelILi9ELi32ELi3E21rocsparse_complex_numIdEEEv20rocsparse_direction_iiPKiS5_PT2_S5_PiS5_S8_21rocsparse_index_base_,"axG",@progbits,_ZN9rocsparseL26bsric0_2_8_unrolled_kernelILi9ELi32ELi3E21rocsparse_complex_numIdEEEv20rocsparse_direction_iiPKiS5_PT2_S5_PiS5_S8_21rocsparse_index_base_,comdat
	.globl	_ZN9rocsparseL26bsric0_2_8_unrolled_kernelILi9ELi32ELi3E21rocsparse_complex_numIdEEEv20rocsparse_direction_iiPKiS5_PT2_S5_PiS5_S8_21rocsparse_index_base_ ; -- Begin function _ZN9rocsparseL26bsric0_2_8_unrolled_kernelILi9ELi32ELi3E21rocsparse_complex_numIdEEEv20rocsparse_direction_iiPKiS5_PT2_S5_PiS5_S8_21rocsparse_index_base_
	.p2align	8
	.type	_ZN9rocsparseL26bsric0_2_8_unrolled_kernelILi9ELi32ELi3E21rocsparse_complex_numIdEEEv20rocsparse_direction_iiPKiS5_PT2_S5_PiS5_S8_21rocsparse_index_base_,@function
_ZN9rocsparseL26bsric0_2_8_unrolled_kernelILi9ELi32ELi3E21rocsparse_complex_numIdEEEv20rocsparse_direction_iiPKiS5_PT2_S5_PiS5_S8_21rocsparse_index_base_: ; @_ZN9rocsparseL26bsric0_2_8_unrolled_kernelILi9ELi32ELi3E21rocsparse_complex_numIdEEEv20rocsparse_direction_iiPKiS5_PT2_S5_PiS5_S8_21rocsparse_index_base_
; %bb.0:
	s_load_dwordx8 s[4:11], s[0:1], 0x28
	s_mov_b32 s3, 0
	s_lshl_b64 s[2:3], s[2:3], 2
	v_and_b32_e32 v7, 0x3ff, v0
	v_bfe_u32 v16, v0, 10, 10
	s_waitcnt lgkmcnt(0)
	s_add_u32 s2, s8, s2
	s_addc_u32 s3, s9, s3
	s_load_dword s16, s[2:3], 0x0
	s_waitcnt lgkmcnt(0)
	s_ashr_i32 s17, s16, 31
	s_lshl_b64 s[8:9], s[16:17], 2
	s_add_u32 s2, s4, s8
	s_addc_u32 s3, s5, s9
	s_load_dword s30, s[2:3], 0x0
	s_load_dword s17, s[0:1], 0x48
	s_waitcnt lgkmcnt(0)
	s_cmp_lg_u32 s30, -1
	s_cbranch_scc0 .LBB61_59
; %bb.1:
	s_load_dwordx4 s[12:15], s[0:1], 0x10
	s_load_dwordx2 s[18:19], s[0:1], 0x20
	v_mad_u32_u24 v17, v16, 3, v7
	v_mul_u32_u24_e32 v21, 3, v16
	s_waitcnt lgkmcnt(0)
	s_add_u32 s2, s12, s8
	s_addc_u32 s3, s13, s9
	s_load_dword s26, s[2:3], 0x0
	s_waitcnt lgkmcnt(0)
	s_sub_i32 s31, s26, s17
	v_add_u32_e32 v0, s31, v17
	v_cmp_ge_i32_e32 vcc, s30, v0
	s_and_saveexec_b64 s[20:21], vcc
	s_cbranch_execz .LBB61_14
; %bb.2:
	v_add_u32_e32 v1, s26, v7
	v_add_u32_e32 v2, v1, v21
	v_subrev_u32_e32 v2, s17, v2
	v_add_u32_e32 v2, 9, v2
	s_add_i32 s2, s30, 1
	v_max_i32_e32 v2, s2, v2
	v_add_u32_e32 v2, s17, v2
	v_sub_u32_e32 v1, v2, v1
	v_add_u32_e32 v1, -9, v1
	v_cmp_ne_u32_e32 vcc, v1, v21
	s_mov_b64 s[22:23], -1
	s_nop 0
	v_addc_co_u32_e64 v2, s[2:3], 0, v21, vcc
	v_sub_u32_e32 v1, v1, v2
	s_mov_b32 s2, 0x38e38e39
	v_mul_hi_u32 v1, v1, s2
	v_lshrrev_b32_e32 v1, 1, v1
	v_addc_co_u32_e32 v4, vcc, 0, v1, vcc
	v_cmp_ne_u32_e32 vcc, 0, v4
	s_and_saveexec_b64 s[2:3], vcc
	s_cbranch_execz .LBB61_11
; %bb.3:
	v_add_u32_e32 v2, -1, v4
	v_add_u32_e32 v1, 9, v0
	v_lshrrev_b32_e32 v2, 1, v2
	v_add_u32_e32 v5, 1, v2
	v_cmp_lt_u32_e32 vcc, 14, v4
	v_mov_b64_e32 v[2:3], v[0:1]
	s_and_saveexec_b64 s[22:23], vcc
	s_cbranch_execz .LBB61_7
; %bb.4:
	v_and_b32_e32 v6, -8, v5
	s_mov_b64 s[24:25], 0
	v_mov_b64_e32 v[2:3], v[0:1]
.LBB61_5:                               ; =>This Inner Loop Header: Depth=1
	v_ashrrev_i32_e32 v9, 31, v3
	v_mov_b32_e32 v8, v3
	v_ashrrev_i32_e32 v11, 31, v2
	v_mov_b32_e32 v10, v2
	v_add_u32_e32 v12, 18, v2
	v_add_u32_e32 v14, 18, v3
	;; [unrolled: 1-line block ×14, first 2 shown]
	v_lshl_add_u64 v[10:11], v[10:11], 2, s[14:15]
	v_lshl_add_u64 v[8:9], v[8:9], 2, s[14:15]
	v_ashrrev_i32_e32 v15, 31, v14
	v_ashrrev_i32_e32 v13, 31, v12
	;; [unrolled: 1-line block ×14, first 2 shown]
	global_load_dword v1, v[10:11], off
	global_load_dword v20, v[8:9], off
	v_lshl_add_u64 v[8:9], v[12:13], 2, s[14:15]
	v_lshl_add_u64 v[10:11], v[14:15], 2, s[14:15]
	;; [unrolled: 1-line block ×13, first 2 shown]
	global_load_dword v13, v[10:11], off
	v_lshl_add_u64 v[10:11], v[42:43], 2, s[14:15]
	global_load_dword v15, v[8:9], off
	global_load_dword v19, v[46:47], off
	;; [unrolled: 1-line block ×13, first 2 shown]
	v_subrev_u32_e32 v8, s31, v3
	v_subrev_u32_e32 v9, s31, v2
	v_add_u32_e32 v6, -8, v6
	v_lshlrev_b32_e32 v9, 2, v9
	v_lshlrev_b32_e32 v8, 2, v8
	v_subrev_u32_e32 v11, s31, v12
	v_cmp_eq_u32_e32 vcc, 0, v6
	v_add_u32_e32 v3, 0x90, v3
	v_add_u32_e32 v2, 0x90, v2
	v_subrev_u32_e32 v10, s31, v14
	v_subrev_u32_e32 v12, s31, v22
	;; [unrolled: 1-line block ×13, first 2 shown]
	v_lshlrev_b32_e32 v11, 2, v11
	s_or_b64 s[24:25], vcc, s[24:25]
	v_lshlrev_b32_e32 v10, 2, v10
	v_lshlrev_b32_e32 v14, 2, v14
	;; [unrolled: 1-line block ×13, first 2 shown]
	s_waitcnt vmcnt(15)
	v_subrev_u32_e32 v1, s17, v1
	s_waitcnt vmcnt(14)
	v_subrev_u32_e32 v20, s17, v20
	ds_write_b32 v9, v1 offset:1024
	ds_write_b32 v8, v20 offset:1024
	s_waitcnt vmcnt(12)
	v_subrev_u32_e32 v8, s17, v15
	s_waitcnt vmcnt(11)
	v_subrev_u32_e32 v9, s17, v19
	;; [unrolled: 2-line block ×8, first 2 shown]
	v_subrev_u32_e32 v1, s17, v13
	v_subrev_u32_e32 v13, s17, v23
	;; [unrolled: 1-line block ×3, first 2 shown]
	s_waitcnt vmcnt(2)
	v_subrev_u32_e32 v31, s17, v39
	s_waitcnt vmcnt(1)
	v_subrev_u32_e32 v33, s17, v41
	;; [unrolled: 2-line block ×3, first 2 shown]
	ds_write_b32 v11, v8 offset:1024
	ds_write_b32 v10, v1 offset:1024
	;; [unrolled: 1-line block ×14, first 2 shown]
	s_andn2_b64 exec, exec, s[24:25]
	s_cbranch_execnz .LBB61_5
; %bb.6:
	s_or_b64 exec, exec, s[24:25]
.LBB61_7:
	s_or_b64 exec, exec, s[22:23]
	v_and_b32_e32 v1, 7, v5
	v_cmp_ne_u32_e32 vcc, 0, v1
	s_and_saveexec_b64 s[22:23], vcc
	s_cbranch_execz .LBB61_10
; %bb.8:
	v_sub_u32_e32 v1, 0, v1
	s_mov_b64 s[24:25], 0
.LBB61_9:                               ; =>This Inner Loop Header: Depth=1
	v_ashrrev_i32_e32 v9, 31, v3
	v_mov_b32_e32 v8, v3
	v_ashrrev_i32_e32 v11, 31, v2
	v_mov_b32_e32 v10, v2
	v_lshl_add_u64 v[8:9], v[8:9], 2, s[14:15]
	v_lshl_add_u64 v[10:11], v[10:11], 2, s[14:15]
	global_load_dword v5, v[8:9], off
	global_load_dword v6, v[10:11], off
	v_subrev_u32_e32 v9, s31, v2
	v_add_co_u32_e32 v1, vcc, 1, v1
	v_subrev_u32_e32 v8, s31, v3
	v_add_u32_e32 v3, 18, v3
	v_add_u32_e32 v2, 18, v2
	v_lshlrev_b32_e32 v9, 2, v9
	s_or_b64 s[24:25], vcc, s[24:25]
	v_lshlrev_b32_e32 v8, 2, v8
	s_waitcnt vmcnt(1)
	v_subrev_u32_e32 v5, s17, v5
	s_waitcnt vmcnt(0)
	v_subrev_u32_e32 v6, s17, v6
	ds_write_b32 v9, v6 offset:1024
	ds_write_b32 v8, v5 offset:1024
	s_andn2_b64 exec, exec, s[24:25]
	s_cbranch_execnz .LBB61_9
.LBB61_10:
	s_or_b64 exec, exec, s[22:23]
	v_add_u32_e32 v2, 1, v4
	v_and_b32_e32 v3, 0x7ffffffe, v2
	v_mad_u64_u32 v[0:1], s[22:23], v3, 9, v[0:1]
	v_cmp_ne_u32_e32 vcc, v2, v3
	s_orn2_b64 s[22:23], vcc, exec
.LBB61_11:
	s_or_b64 exec, exec, s[2:3]
	s_and_b64 exec, exec, s[22:23]
	s_cbranch_execz .LBB61_14
; %bb.12:
	v_add_u32_e32 v1, s17, v0
	v_subrev_u32_e32 v1, s26, v1
	v_mov_b32_e32 v2, 0x400
	v_lshl_add_u32 v4, v1, 2, v2
	v_ashrrev_i32_e32 v1, 31, v0
	v_lshl_add_u64 v[2:3], v[0:1], 2, s[14:15]
	s_mov_b64 s[2:3], 0
.LBB61_13:                              ; =>This Inner Loop Header: Depth=1
	global_load_dword v1, v[2:3], off
	v_add_u32_e32 v0, 9, v0
	v_cmp_lt_i32_e32 vcc, s30, v0
	v_lshl_add_u64 v[2:3], v[2:3], 0, 36
	s_or_b64 s[2:3], vcc, s[2:3]
	s_waitcnt vmcnt(0)
	v_subrev_u32_e32 v1, s17, v1
	ds_write_b32 v4, v1
	v_add_u32_e32 v4, 36, v4
	s_andn2_b64 exec, exec, s[2:3]
	s_cbranch_execnz .LBB61_13
.LBB61_14:
	s_or_b64 exec, exec, s[20:21]
	s_load_dword s33, s[0:1], 0x0
	v_mov_b32_e32 v0, 0x240
	v_lshl_add_u32 v20, v16, 6, v0
	v_mov_b32_e32 v0, 0
	v_lshl_add_u32 v19, v7, 4, v20
	v_mov_b32_e32 v1, v0
	v_mov_b32_e32 v2, v0
	;; [unrolled: 1-line block ×3, first 2 shown]
	s_cmp_ge_i32 s31, s30
	v_mad_u32_u24 v18, v7, 3, v16
	ds_write_b128 v19, v[0:3]
	s_waitcnt lgkmcnt(0)
	s_cbranch_scc1 .LBB61_53
; %bb.15:
	s_cmp_lg_u32 s33, 0
	v_lshlrev_b32_e32 v3, 6, v16
	v_lshlrev_b32_e32 v4, 4, v7
	s_cselect_b64 s[20:21], -1, 0
	s_cmp_eq_u32 s33, 0
	v_add_u32_e32 v22, 0x180, v3
	v_add_u32_e32 v24, v3, v4
	;; [unrolled: 1-line block ×3, first 2 shown]
	v_mov_b32_e32 v3, 0x180
	v_mad_u32_u24 v2, v7, 3, v16
	v_lshl_add_u32 v27, v7, 6, v3
	v_or_b32_e32 v3, v7, v16
	s_cselect_b64 vcc, -1, 0
	v_mul_u32_u24_e32 v1, 3, v7
	v_add_u32_e32 v23, v22, v4
	v_add_u32_e32 v26, v25, v4
	v_cmp_ne_u32_e64 s[0:1], 0, v3
	v_cndmask_b32_e32 v6, v2, v17, vcc
	v_mov_b32_e32 v28, 0x3ff00000
	s_mov_b32 s22, s31
	s_branch .LBB61_18
.LBB61_16:                              ;   in Loop: Header=BB61_18 Depth=1
	s_or_b64 exec, exec, s[24:25]
	v_mov_b64_e32 v[12:13], 0
	v_mov_b64_e32 v[10:11], 1.0
.LBB61_17:                              ;   in Loop: Header=BB61_18 Depth=1
	s_or_b64 exec, exec, s[2:3]
	ds_read_b128 v[30:33], v22
	ds_read_b128 v[34:37], v0 offset:128
	ds_read_b128 v[38:41], v25 offset:32
	;; [unrolled: 1-line block ×4, first 2 shown]
	s_add_i32 s22, s22, 1
	s_cmp_ge_i32 s22, s30
	s_waitcnt lgkmcnt(2)
	v_fmac_f64_e32 v[40:41], v[36:37], v[30:31]
	v_fmac_f64_e32 v[38:39], v[34:35], v[30:31]
	v_mul_f64 v[30:31], v[12:13], v[12:13]
	v_fmac_f64_e32 v[30:31], v[10:11], v[10:11]
	v_fma_f64 v[14:15], v[34:35], -v[32:33], v[40:41]
	v_fmac_f64_e32 v[38:39], v[36:37], v[32:33]
	v_div_scale_f64 v[32:33], s[2:3], v[30:31], v[30:31], 1.0
	v_rcp_f64_e32 v[34:35], v[32:33]
	s_waitcnt lgkmcnt(0)
	v_fmac_f64_e32 v[38:39], v[42:43], v[46:47]
	v_fmac_f64_e32 v[38:39], v[44:45], v[48:49]
	v_add_f64 v[36:37], v[2:3], -v[38:39]
	v_fma_f64 v[2:3], -v[32:33], v[34:35], 1.0
	v_fmac_f64_e32 v[34:35], v[34:35], v[2:3]
	v_fmac_f64_e32 v[14:15], v[44:45], v[46:47]
	v_fma_f64 v[2:3], -v[32:33], v[34:35], 1.0
	v_fma_f64 v[14:15], v[42:43], -v[48:49], v[14:15]
	v_fmac_f64_e32 v[34:35], v[34:35], v[2:3]
	v_div_scale_f64 v[2:3], vcc, 1.0, v[30:31], 1.0
	v_add_f64 v[4:5], v[4:5], -v[14:15]
	v_mul_f64 v[14:15], v[2:3], v[34:35]
	v_fma_f64 v[2:3], -v[32:33], v[14:15], v[2:3]
	s_nop 0
	v_div_fmas_f64 v[2:3], v[2:3], v[34:35], v[14:15]
	v_div_fixup_f64 v[14:15], v[2:3], v[30:31], 1.0
	v_mul_f64 v[2:3], v[12:13], v[4:5]
	v_mul_f64 v[12:13], v[12:13], -v[36:37]
	v_fmac_f64_e32 v[2:3], v[36:37], v[10:11]
	v_fmac_f64_e32 v[12:13], v[4:5], v[10:11]
	v_mul_f64 v[2:3], v[14:15], v[2:3]
	v_mul_f64 v[4:5], v[14:15], v[12:13]
	ds_write_b128 v22, v[2:5] offset:32
	s_waitcnt lgkmcnt(0)
	ds_read_b128 v[10:13], v27 offset:32
	ds_read_b128 v[30:33], v19
	s_cselect_b64 s[2:3], -1, 0
	s_waitcnt lgkmcnt(0)
	v_fmac_f64_e32 v[30:31], v[2:3], v[10:11]
	v_fmac_f64_e32 v[32:33], v[4:5], v[10:11]
	;; [unrolled: 1-line block ×3, first 2 shown]
	v_fma_f64 v[32:33], v[2:3], -v[12:13], v[32:33]
	ds_write_b128 v19, v[30:33]
	s_waitcnt lgkmcnt(0)
	ds_read2_b64 v[2:5], v23 offset1:1
	s_waitcnt lgkmcnt(0)
	global_store_dwordx4 v[8:9], v[2:5], off
	buffer_wbl2 sc1
	s_waitcnt vmcnt(0)
	buffer_inv sc1
	s_and_b64 vcc, exec, s[2:3]
	s_cbranch_vccnz .LBB61_53
.LBB61_18:                              ; =>This Loop Header: Depth=1
                                        ;     Child Loop BB61_21 Depth 2
                                        ;     Child Loop BB61_32 Depth 2
	;; [unrolled: 1-line block ×3, first 2 shown]
	s_ashr_i32 s23, s22, 31
	s_lshl_b64 s[2:3], s[22:23], 2
	s_add_u32 s2, s14, s2
	s_addc_u32 s3, s15, s3
	s_load_dword s23, s[2:3], 0x0
	s_waitcnt lgkmcnt(0)
	s_sub_i32 s24, s23, s17
	s_ashr_i32 s25, s24, 31
	s_lshl_b64 s[2:3], s[24:25], 2
	s_add_u32 s26, s4, s2
	s_addc_u32 s27, s5, s3
	s_load_dword s25, s[26:27], 0x0
	s_waitcnt lgkmcnt(0)
	s_cmp_eq_u32 s25, -1
	s_cbranch_scc1 .LBB61_52
; %bb.19:                               ;   in Loop: Header=BB61_18 Depth=1
	v_mad_u64_u32 v[2:3], s[26:27], s22, 9, v[6:7]
	v_ashrrev_i32_e32 v3, 31, v2
	v_lshl_add_u64 v[8:9], v[2:3], 4, s[18:19]
	global_load_dwordx4 v[2:5], v[8:9], off
	s_add_u32 s26, s12, s2
	s_addc_u32 s27, s13, s3
	s_load_dword s26, s[26:27], 0x0
	ds_read_b32 v10, v0 offset:1024
	s_mov_b32 s27, 0
	s_waitcnt lgkmcnt(0)
	s_sub_i32 s26, s26, s17
	s_cmp_le_i32 s26, s25
	v_cmp_ge_i32_e32 vcc, s24, v10
	s_cselect_b64 s[28:29], -1, 0
	s_and_b64 s[28:29], s[28:29], vcc
	s_andn2_b64 vcc, exec, s[28:29]
	s_waitcnt vmcnt(0)
	ds_write2_b64 v23, v[2:3], v[4:5] offset1:1
	s_cbranch_vccnz .LBB61_31
; %bb.20:                               ;   in Loop: Header=BB61_18 Depth=1
	s_mov_b32 s34, 0
	s_mov_b32 s35, 0
.LBB61_21:                              ;   Parent Loop BB61_18 Depth=1
                                        ; =>  This Inner Loop Header: Depth=2
	s_ashr_i32 s27, s26, 31
	s_lshl_b64 s[28:29], s[26:27], 2
	s_add_u32 s28, s14, s28
	s_addc_u32 s29, s15, s29
	s_load_dword s27, s[28:29], 0x0
	s_lshl_b32 s28, s35, 2
	v_mov_b32_e32 v2, s28
	ds_read_b32 v2, v2 offset:1024
	s_mov_b64 s[28:29], -1
	s_waitcnt lgkmcnt(0)
	s_sub_i32 s39, s27, s17
                                        ; implicit-def: $sgpr27
                                        ; implicit-def: $sgpr38
                                        ; implicit-def: $sgpr37
	v_cmp_ge_i32_e32 vcc, s39, v2
	v_readfirstlane_b32 s36, v2
	s_cbranch_vccz .LBB61_27
; %bb.22:                               ;   in Loop: Header=BB61_21 Depth=2
	s_cmp_le_i32 s39, s36
                                        ; implicit-def: $sgpr27
                                        ; implicit-def: $sgpr38
                                        ; implicit-def: $sgpr37
	s_cbranch_scc0 .LBB61_24
; %bb.23:                               ;   in Loop: Header=BB61_21 Depth=2
	s_add_i32 s27, s35, s31
	s_mul_i32 s27, s27, 9
	s_lshl_b32 s28, s34, 2
	v_mov_b32_e32 v3, s27
	s_mul_i32 s27, s26, 9
	v_mov_b32_e32 v2, s28
	v_mov_b32_e32 v4, s27
	ds_write2_b32 v2, v4, v3 offset0:192 offset1:224
	s_add_i32 s37, s35, 1
	s_add_i32 s38, s26, 1
	s_add_i32 s27, s34, 1
	s_mov_b64 s[28:29], 0
.LBB61_24:                              ;   in Loop: Header=BB61_21 Depth=2
	s_andn2_b64 vcc, exec, s[28:29]
	s_cbranch_vccnz .LBB61_26
; %bb.25:                               ;   in Loop: Header=BB61_21 Depth=2
	s_add_i32 s37, s35, 1
	s_mov_b32 s27, s34
	s_mov_b32 s38, s26
.LBB61_26:                              ;   in Loop: Header=BB61_21 Depth=2
	s_mov_b64 s[28:29], 0
.LBB61_27:                              ;   in Loop: Header=BB61_21 Depth=2
	s_andn2_b64 vcc, exec, s[28:29]
	s_cbranch_vccnz .LBB61_29
; %bb.28:                               ;   in Loop: Header=BB61_21 Depth=2
	s_add_i32 s38, s26, 1
	s_mov_b32 s37, s35
	s_mov_b32 s27, s34
.LBB61_29:                              ;   in Loop: Header=BB61_21 Depth=2
	s_cmp_le_i32 s38, s25
	s_cselect_b64 s[28:29], -1, 0
	s_cmp_le_i32 s36, s24
	s_cselect_b64 s[34:35], -1, 0
	s_and_b64 s[28:29], s[28:29], s[34:35]
	s_and_b64 vcc, exec, s[28:29]
	s_cbranch_vccz .LBB61_31
; %bb.30:                               ;   in Loop: Header=BB61_21 Depth=2
	s_mov_b32 s34, s27
	s_mov_b32 s26, s38
	;; [unrolled: 1-line block ×3, first 2 shown]
	s_branch .LBB61_21
.LBB61_31:                              ;   in Loop: Header=BB61_18 Depth=1
	s_add_u32 s2, s6, s2
	s_addc_u32 s3, s7, s3
	s_waitcnt lgkmcnt(0)
.LBB61_32:                              ;   Parent Loop BB61_18 Depth=1
                                        ; =>  This Inner Loop Header: Depth=2
	global_load_dword v2, v0, s[2:3] sc1
	s_waitcnt vmcnt(0)
	v_cmp_eq_u32_e32 vcc, 0, v2
	s_cbranch_vccnz .LBB61_32
; %bb.33:                               ;   in Loop: Header=BB61_18 Depth=1
	v_mad_u64_u32 v[2:3], s[2:3], s25, 9, v[6:7]
	v_ashrrev_i32_e32 v3, 31, v2
	v_lshl_add_u64 v[2:3], v[2:3], 4, s[18:19]
	buffer_inv sc1
	global_load_dwordx4 v[10:13], v[2:3], off
	v_mov_b64_e32 v[4:5], 0
	s_cmp_lt_i32 s27, 2
	v_mov_b64_e32 v[2:3], 0
	s_waitcnt vmcnt(0)
	ds_write2_b64 v24, v[10:11], v[12:13] offset1:1
	s_waitcnt lgkmcnt(0)
	s_cbranch_scc1 .LBB61_41
; %bb.34:                               ;   in Loop: Header=BB61_18 Depth=1
	s_add_i32 s24, s27, -1
	v_mov_b64_e32 v[12:13], 0
	s_movk_i32 s25, 0x300
	v_mov_b64_e32 v[10:11], 0
.LBB61_35:                              ;   Parent Loop BB61_18 Depth=1
                                        ; =>  This Inner Loop Header: Depth=2
	v_mov_b32_e32 v2, s25
	s_waitcnt lgkmcnt(0)
	ds_read2_b32 v[14:15], v2 offset1:32
	s_mov_b64 s[2:3], -1
	s_and_b64 vcc, exec, s[20:21]
                                        ; implicit-def: $vgpr4_vgpr5
	s_cbranch_vccz .LBB61_38
; %bb.36:                               ;   in Loop: Header=BB61_35 Depth=2
	s_waitcnt lgkmcnt(0)
	v_add_u32_e32 v2, v14, v7
	v_ashrrev_i32_e32 v3, 31, v2
	v_add_u32_e32 v46, v15, v16
	v_lshl_add_u64 v[4:5], v[2:3], 4, s[18:19]
	v_ashrrev_i32_e32 v47, 31, v46
	v_lshl_add_u64 v[38:39], v[46:47], 4, s[18:19]
	global_load_dwordx4 v[30:33], v[4:5], off
	global_load_dwordx4 v[34:37], v[38:39], off
	v_add_u32_e32 v4, 3, v2
	v_ashrrev_i32_e32 v5, 31, v4
	v_add_u32_e32 v38, 3, v46
	v_lshl_add_u64 v[4:5], v[4:5], 4, s[18:19]
	v_ashrrev_i32_e32 v39, 31, v38
	v_add_u32_e32 v2, 6, v2
	v_lshl_add_u64 v[48:49], v[38:39], 4, s[18:19]
	global_load_dwordx4 v[38:41], v[4:5], off
	global_load_dwordx4 v[42:45], v[48:49], off
	v_ashrrev_i32_e32 v3, 31, v2
	v_add_u32_e32 v4, 6, v46
	v_lshl_add_u64 v[2:3], v[2:3], 4, s[18:19]
	v_ashrrev_i32_e32 v5, 31, v4
	v_lshl_add_u64 v[4:5], v[4:5], 4, s[18:19]
	global_load_dwordx4 v[46:49], v[2:3], off
	global_load_dwordx4 v[50:53], v[4:5], off
	s_waitcnt vmcnt(4)
	v_fma_f64 v[2:3], v[30:31], v[34:35], v[10:11]
	v_fma_f64 v[4:5], v[32:33], v[34:35], v[12:13]
	v_fmac_f64_e32 v[2:3], v[32:33], v[36:37]
	v_fma_f64 v[4:5], v[30:31], -v[36:37], v[4:5]
	s_waitcnt vmcnt(2)
	v_fmac_f64_e32 v[2:3], v[38:39], v[42:43]
	v_fmac_f64_e32 v[4:5], v[40:41], v[42:43]
	;; [unrolled: 1-line block ×3, first 2 shown]
	v_fma_f64 v[4:5], v[38:39], -v[44:45], v[4:5]
	s_waitcnt vmcnt(0)
	v_fmac_f64_e32 v[2:3], v[46:47], v[50:51]
	v_fmac_f64_e32 v[4:5], v[48:49], v[50:51]
	;; [unrolled: 1-line block ×3, first 2 shown]
	v_fma_f64 v[4:5], v[46:47], -v[52:53], v[4:5]
	s_cbranch_execz .LBB61_39
.LBB61_37:                              ;   in Loop: Header=BB61_35 Depth=2
	s_add_i32 s24, s24, -1
	s_add_i32 s25, s25, 4
	s_cmp_eq_u32 s24, 0
	s_cbranch_scc0 .LBB61_40
	s_branch .LBB61_41
.LBB61_38:                              ;   in Loop: Header=BB61_35 Depth=2
	s_andn2_b64 vcc, exec, s[2:3]
	s_cbranch_vccnz .LBB61_37
.LBB61_39:                              ;   in Loop: Header=BB61_35 Depth=2
	s_waitcnt lgkmcnt(0)
	v_add_u32_e32 v2, v14, v1
	v_ashrrev_i32_e32 v3, 31, v2
	v_lshl_add_u64 v[50:51], v[2:3], 4, s[18:19]
	v_add_u32_e32 v2, v15, v21
	v_ashrrev_i32_e32 v3, 31, v2
	v_lshl_add_u64 v[14:15], v[2:3], 4, s[18:19]
	global_load_dwordx4 v[2:5], v[14:15], off
	global_load_dwordx4 v[30:33], v[50:51], off
	global_load_dwordx4 v[34:37], v[50:51], off offset:16
	global_load_dwordx4 v[38:41], v[14:15], off offset:16
	;; [unrolled: 1-line block ×4, first 2 shown]
	s_waitcnt vmcnt(4)
	v_fmac_f64_e32 v[10:11], v[30:31], v[2:3]
	v_fmac_f64_e32 v[12:13], v[32:33], v[2:3]
	v_fmac_f64_e32 v[10:11], v[32:33], v[4:5]
	v_fma_f64 v[2:3], v[30:31], -v[4:5], v[12:13]
	s_waitcnt vmcnt(2)
	v_fmac_f64_e32 v[10:11], v[34:35], v[38:39]
	v_fmac_f64_e32 v[2:3], v[36:37], v[38:39]
	v_fmac_f64_e32 v[10:11], v[36:37], v[40:41]
	v_fma_f64 v[2:3], v[34:35], -v[40:41], v[2:3]
	;; [unrolled: 5-line block ×3, first 2 shown]
	v_mov_b64_e32 v[2:3], v[10:11]
	s_add_i32 s24, s24, -1
	s_add_i32 s25, s25, 4
	s_cmp_eq_u32 s24, 0
	s_cbranch_scc1 .LBB61_41
.LBB61_40:                              ;   in Loop: Header=BB61_35 Depth=2
	v_mov_b64_e32 v[12:13], v[4:5]
	v_mov_b64_e32 v[10:11], v[2:3]
	s_branch .LBB61_35
.LBB61_41:                              ;   in Loop: Header=BB61_18 Depth=1
	ds_write_b128 v26, v[2:5]
	s_waitcnt lgkmcnt(0)
	ds_read_b128 v[10:13], v0
	ds_read_b128 v[2:5], v22
	s_waitcnt lgkmcnt(1)
	v_cmp_neq_f64_e32 vcc, 0, v[10:11]
	v_cmp_neq_f64_e64 s[2:3], 0, v[12:13]
	s_or_b64 vcc, vcc, s[2:3]
	v_cndmask_b32_e32 v11, v28, v11, vcc
	s_nor_b64 s[24:25], vcc, s[0:1]
	v_cndmask_b32_e32 v10, 0, v10, vcc
	v_cndmask_b32_e32 v13, 0, v13, vcc
	;; [unrolled: 1-line block ×3, first 2 shown]
	s_and_saveexec_b64 s[2:3], s[24:25]
	s_cbranch_execz .LBB61_45
; %bb.42:                               ;   in Loop: Header=BB61_18 Depth=1
	v_mbcnt_lo_u32_b32 v10, exec_lo, 0
	v_mbcnt_hi_u32_b32 v10, exec_hi, v10
	v_cmp_eq_u32_e32 vcc, 0, v10
	s_and_saveexec_b64 s[24:25], vcc
	s_cbranch_execz .LBB61_44
; %bb.43:                               ;   in Loop: Header=BB61_18 Depth=1
	v_mov_b32_e32 v10, s23
	global_atomic_smin v0, v10, s[10:11]
.LBB61_44:                              ;   in Loop: Header=BB61_18 Depth=1
	s_or_b64 exec, exec, s[24:25]
	v_mov_b64_e32 v[12:13], 0
	v_mov_b64_e32 v[10:11], 1.0
.LBB61_45:                              ;   in Loop: Header=BB61_18 Depth=1
	s_or_b64 exec, exec, s[2:3]
	v_mul_f64 v[14:15], v[12:13], v[12:13]
	v_fmac_f64_e32 v[14:15], v[10:11], v[10:11]
	ds_read_b128 v[30:33], v25
	v_div_scale_f64 v[34:35], s[2:3], v[14:15], v[14:15], 1.0
	v_rcp_f64_e32 v[36:37], v[34:35]
	s_waitcnt lgkmcnt(0)
	v_add_f64 v[30:31], v[2:3], -v[30:31]
	v_add_f64 v[4:5], v[4:5], -v[32:33]
	v_fma_f64 v[2:3], -v[34:35], v[36:37], 1.0
	v_fmac_f64_e32 v[36:37], v[36:37], v[2:3]
	v_fma_f64 v[2:3], -v[34:35], v[36:37], 1.0
	v_fmac_f64_e32 v[36:37], v[36:37], v[2:3]
	v_div_scale_f64 v[2:3], vcc, 1.0, v[14:15], 1.0
	v_mul_f64 v[32:33], v[2:3], v[36:37]
	v_fma_f64 v[2:3], -v[34:35], v[32:33], v[2:3]
	s_nop 1
	v_div_fmas_f64 v[2:3], v[2:3], v[36:37], v[32:33]
	v_div_fixup_f64 v[14:15], v[2:3], v[14:15], 1.0
	v_mul_f64 v[2:3], v[12:13], v[4:5]
	v_mul_f64 v[12:13], v[12:13], -v[30:31]
	v_fmac_f64_e32 v[2:3], v[30:31], v[10:11]
	v_fmac_f64_e32 v[12:13], v[4:5], v[10:11]
	v_mul_f64 v[2:3], v[14:15], v[2:3]
	v_mul_f64 v[4:5], v[14:15], v[12:13]
	ds_write_b128 v22, v[2:5]
	s_waitcnt lgkmcnt(0)
	ds_read_b128 v[10:13], v27
	ds_read_b128 v[30:33], v19
	s_waitcnt lgkmcnt(0)
	v_fmac_f64_e32 v[30:31], v[2:3], v[10:11]
	v_fmac_f64_e32 v[32:33], v[4:5], v[10:11]
	;; [unrolled: 1-line block ×3, first 2 shown]
	v_fma_f64 v[32:33], v[2:3], -v[12:13], v[32:33]
	ds_write_b128 v19, v[30:33]
	s_waitcnt lgkmcnt(0)
	ds_read_b128 v[10:13], v0 offset:80
	ds_read_b128 v[2:5], v22 offset:16
	s_waitcnt lgkmcnt(1)
	v_cmp_neq_f64_e32 vcc, 0, v[10:11]
	v_cmp_neq_f64_e64 s[2:3], 0, v[12:13]
	s_or_b64 vcc, vcc, s[2:3]
	v_cndmask_b32_e32 v11, v28, v11, vcc
	s_nor_b64 s[24:25], vcc, s[0:1]
	v_cndmask_b32_e32 v10, 0, v10, vcc
	v_cndmask_b32_e32 v13, 0, v13, vcc
	;; [unrolled: 1-line block ×3, first 2 shown]
	s_and_saveexec_b64 s[2:3], s[24:25]
	s_cbranch_execz .LBB61_49
; %bb.46:                               ;   in Loop: Header=BB61_18 Depth=1
	v_mbcnt_lo_u32_b32 v10, exec_lo, 0
	v_mbcnt_hi_u32_b32 v10, exec_hi, v10
	v_cmp_eq_u32_e32 vcc, 0, v10
	s_and_saveexec_b64 s[24:25], vcc
	s_cbranch_execz .LBB61_48
; %bb.47:                               ;   in Loop: Header=BB61_18 Depth=1
	v_mov_b32_e32 v10, s23
	global_atomic_smin v0, v10, s[10:11]
.LBB61_48:                              ;   in Loop: Header=BB61_18 Depth=1
	s_or_b64 exec, exec, s[24:25]
	v_mov_b64_e32 v[12:13], 0
	v_mov_b64_e32 v[10:11], 1.0
.LBB61_49:                              ;   in Loop: Header=BB61_18 Depth=1
	s_or_b64 exec, exec, s[2:3]
	ds_read_b128 v[30:33], v0 offset:64
	ds_read_b128 v[34:37], v22
	ds_read_b128 v[38:41], v25 offset:16
	v_mul_f64 v[14:15], v[12:13], v[12:13]
	v_fmac_f64_e32 v[14:15], v[10:11], v[10:11]
	s_waitcnt lgkmcnt(0)
	v_fmac_f64_e32 v[40:41], v[32:33], v[34:35]
	v_fmac_f64_e32 v[38:39], v[30:31], v[34:35]
	v_div_scale_f64 v[34:35], s[2:3], v[14:15], v[14:15], 1.0
	v_fma_f64 v[30:31], v[30:31], -v[36:37], v[40:41]
	v_rcp_f64_e32 v[40:41], v[34:35]
	v_fmac_f64_e32 v[38:39], v[32:33], v[36:37]
	v_add_f64 v[32:33], v[2:3], -v[38:39]
	v_add_f64 v[4:5], v[4:5], -v[30:31]
	v_fma_f64 v[2:3], -v[34:35], v[40:41], 1.0
	v_fmac_f64_e32 v[40:41], v[40:41], v[2:3]
	v_fma_f64 v[2:3], -v[34:35], v[40:41], 1.0
	v_fmac_f64_e32 v[40:41], v[40:41], v[2:3]
	v_div_scale_f64 v[2:3], vcc, 1.0, v[14:15], 1.0
	v_mul_f64 v[30:31], v[2:3], v[40:41]
	v_fma_f64 v[2:3], -v[34:35], v[30:31], v[2:3]
	s_nop 1
	v_div_fmas_f64 v[2:3], v[2:3], v[40:41], v[30:31]
	v_div_fixup_f64 v[14:15], v[2:3], v[14:15], 1.0
	v_mul_f64 v[2:3], v[12:13], v[4:5]
	v_mul_f64 v[12:13], v[12:13], -v[32:33]
	v_fmac_f64_e32 v[2:3], v[32:33], v[10:11]
	v_fmac_f64_e32 v[12:13], v[4:5], v[10:11]
	v_mul_f64 v[2:3], v[14:15], v[2:3]
	v_mul_f64 v[4:5], v[14:15], v[12:13]
	ds_write_b128 v22, v[2:5] offset:16
	s_waitcnt lgkmcnt(0)
	ds_read_b128 v[10:13], v27 offset:16
	ds_read_b128 v[30:33], v19
	s_waitcnt lgkmcnt(0)
	v_fmac_f64_e32 v[30:31], v[2:3], v[10:11]
	v_fmac_f64_e32 v[32:33], v[4:5], v[10:11]
	;; [unrolled: 1-line block ×3, first 2 shown]
	v_fma_f64 v[32:33], v[2:3], -v[12:13], v[32:33]
	ds_write_b128 v19, v[30:33]
	s_waitcnt lgkmcnt(0)
	ds_read_b128 v[10:13], v0 offset:160
	ds_read_b128 v[2:5], v22 offset:32
	s_waitcnt lgkmcnt(1)
	v_cmp_neq_f64_e32 vcc, 0, v[10:11]
	v_cmp_neq_f64_e64 s[2:3], 0, v[12:13]
	s_or_b64 vcc, vcc, s[2:3]
	v_cndmask_b32_e32 v11, v28, v11, vcc
	s_nor_b64 s[24:25], vcc, s[0:1]
	v_cndmask_b32_e32 v10, 0, v10, vcc
	v_cndmask_b32_e32 v13, 0, v13, vcc
	;; [unrolled: 1-line block ×3, first 2 shown]
	s_and_saveexec_b64 s[2:3], s[24:25]
	s_cbranch_execz .LBB61_17
; %bb.50:                               ;   in Loop: Header=BB61_18 Depth=1
	v_mbcnt_lo_u32_b32 v10, exec_lo, 0
	v_mbcnt_hi_u32_b32 v10, exec_hi, v10
	v_cmp_eq_u32_e32 vcc, 0, v10
	s_and_saveexec_b64 s[24:25], vcc
	s_cbranch_execz .LBB61_16
; %bb.51:                               ;   in Loop: Header=BB61_18 Depth=1
	v_mov_b32_e32 v10, s23
	global_atomic_smin v0, v10, s[10:11]
	s_branch .LBB61_16
.LBB61_52:                              ;   in Loop: Header=BB61_18 Depth=1
                                        ; implicit-def: $sgpr22
	s_cbranch_execz .LBB61_18
.LBB61_53:
	s_cmp_lg_u32 s33, 0
	s_cselect_b64 s[12:13], -1, 0
	s_cmp_eq_u32 s33, 0
	v_mov_b32_e32 v0, v17
	s_cbranch_scc1 .LBB61_55
; %bb.54:
	v_mad_u32_u24 v0, v7, 3, v16
.LBB61_55:
	s_mul_i32 s30, s30, 9
	v_add_u32_e32 v0, s30, v0
	v_ashrrev_i32_e32 v1, 31, v0
	v_lshl_add_u64 v[0:1], v[0:1], 4, s[18:19]
	global_load_dwordx4 v[0:3], v[0:1], off
	v_mov_b32_e32 v4, 0x180
	v_lshl_add_u32 v8, v16, 6, v4
	v_cmp_ne_u32_e64 s[2:3], 0, v16
	v_lshl_add_u32 v6, v7, 4, v8
	v_cmp_eq_u32_e32 vcc, 0, v16
	s_waitcnt vmcnt(0)
	ds_write2_b64 v6, v[0:1], v[2:3] offset1:1
	s_waitcnt lgkmcnt(0)
	s_and_saveexec_b64 s[0:1], vcc
	s_cbranch_execz .LBB61_64
; %bb.56:
	v_mov_b32_e32 v4, 0
	ds_read_b128 v[0:3], v4 offset:576
	ds_read_b128 v[10:13], v4 offset:384
	s_waitcnt lgkmcnt(0)
	v_add_f64 v[0:1], v[10:11], -v[0:1]
	v_add_f64 v[4:5], v[12:13], -v[2:3]
	v_xor_b32_e32 v2, 0x80000000, v1
	v_cmp_gt_f64_e32 vcc, 0, v[0:1]
	v_xor_b32_e32 v3, 0x80000000, v5
	s_nop 0
	v_cndmask_b32_e32 v1, v1, v2, vcc
	v_cmp_gt_f64_e32 vcc, 0, v[4:5]
	v_mov_b32_e32 v2, v4
	s_nop 0
	v_cndmask_b32_e32 v3, v5, v3, vcc
	v_cmp_ngt_f64_e32 vcc, v[0:1], v[2:3]
	s_cbranch_vccz .LBB61_61
; %bb.57:
	v_cmp_eq_f64_e32 vcc, 0, v[4:5]
	s_mov_b64 s[4:5], 0
	s_cbranch_vccnz .LBB61_105
; %bb.58:
	v_div_scale_f64 v[4:5], s[14:15], v[2:3], v[2:3], v[0:1]
	v_rcp_f64_e32 v[10:11], v[4:5]
	v_div_scale_f64 v[12:13], vcc, v[0:1], v[2:3], v[0:1]
	s_mov_b32 s14, 0
	v_fma_f64 v[14:15], -v[4:5], v[10:11], 1.0
	v_fmac_f64_e32 v[10:11], v[10:11], v[14:15]
	v_fma_f64 v[14:15], -v[4:5], v[10:11], 1.0
	v_fmac_f64_e32 v[10:11], v[10:11], v[14:15]
	v_mul_f64 v[14:15], v[12:13], v[10:11]
	v_fma_f64 v[4:5], -v[4:5], v[14:15], v[12:13]
	v_div_fmas_f64 v[4:5], v[4:5], v[10:11], v[14:15]
	v_div_fixup_f64 v[4:5], v[4:5], v[2:3], v[0:1]
	v_fma_f64 v[4:5], v[4:5], v[4:5], 1.0
	s_brev_b32 s15, 8
	v_cmp_gt_f64_e32 vcc, s[14:15], v[4:5]
	s_and_b64 s[14:15], vcc, exec
	s_cselect_b32 s14, 0x100, 0
	v_ldexp_f64 v[4:5], v[4:5], s14
	v_rsq_f64_e32 v[10:11], v[4:5]
	s_cselect_b32 s14, 0xffffff80, 0
	v_mov_b32_e32 v9, 0x260
	v_cmp_class_f64_e32 vcc, v[4:5], v9
	v_mul_f64 v[12:13], v[4:5], v[10:11]
	v_mul_f64 v[10:11], v[10:11], 0.5
	v_fma_f64 v[14:15], -v[10:11], v[12:13], 0.5
	v_fmac_f64_e32 v[12:13], v[12:13], v[14:15]
	v_fma_f64 v[22:23], -v[12:13], v[12:13], v[4:5]
	v_fmac_f64_e32 v[10:11], v[10:11], v[14:15]
	v_fmac_f64_e32 v[12:13], v[22:23], v[10:11]
	v_fma_f64 v[14:15], -v[12:13], v[12:13], v[4:5]
	v_fmac_f64_e32 v[12:13], v[14:15], v[10:11]
	v_ldexp_f64 v[10:11], v[12:13], s14
	v_cndmask_b32_e32 v5, v11, v5, vcc
	v_cndmask_b32_e32 v4, v10, v4, vcc
	v_mul_f64 v[4:5], v[2:3], v[4:5]
	s_andn2_b64 vcc, exec, s[4:5]
	s_cbranch_vccz .LBB61_62
	s_branch .LBB61_63
.LBB61_59:
	s_cbranch_execnz .LBB61_99
.LBB61_60:
	s_endpgm
.LBB61_61:
                                        ; implicit-def: $vgpr4_vgpr5
.LBB61_62:
	v_div_scale_f64 v[4:5], s[4:5], v[0:1], v[0:1], v[2:3]
	v_rcp_f64_e32 v[10:11], v[4:5]
	v_div_scale_f64 v[12:13], vcc, v[2:3], v[0:1], v[2:3]
	s_mov_b32 s4, 0
	v_fma_f64 v[14:15], -v[4:5], v[10:11], 1.0
	v_fmac_f64_e32 v[10:11], v[10:11], v[14:15]
	v_fma_f64 v[14:15], -v[4:5], v[10:11], 1.0
	v_fmac_f64_e32 v[10:11], v[10:11], v[14:15]
	v_mul_f64 v[14:15], v[12:13], v[10:11]
	v_fma_f64 v[4:5], -v[4:5], v[14:15], v[12:13]
	v_div_fmas_f64 v[4:5], v[4:5], v[10:11], v[14:15]
	v_div_fixup_f64 v[2:3], v[4:5], v[0:1], v[2:3]
	v_fma_f64 v[2:3], v[2:3], v[2:3], 1.0
	s_brev_b32 s5, 8
	v_cmp_gt_f64_e32 vcc, s[4:5], v[2:3]
	s_and_b64 s[4:5], vcc, exec
	s_cselect_b32 s4, 0x100, 0
	v_ldexp_f64 v[2:3], v[2:3], s4
	v_rsq_f64_e32 v[4:5], v[2:3]
	s_cselect_b32 s4, 0xffffff80, 0
	v_mov_b32_e32 v9, 0x260
	v_cmp_class_f64_e32 vcc, v[2:3], v9
	v_mul_f64 v[10:11], v[2:3], v[4:5]
	v_mul_f64 v[4:5], v[4:5], 0.5
	v_fma_f64 v[12:13], -v[4:5], v[10:11], 0.5
	v_fmac_f64_e32 v[10:11], v[10:11], v[12:13]
	v_fma_f64 v[14:15], -v[10:11], v[10:11], v[2:3]
	v_fmac_f64_e32 v[4:5], v[4:5], v[12:13]
	v_fmac_f64_e32 v[10:11], v[14:15], v[4:5]
	v_fma_f64 v[12:13], -v[10:11], v[10:11], v[2:3]
	v_fmac_f64_e32 v[10:11], v[12:13], v[4:5]
	v_ldexp_f64 v[4:5], v[10:11], s4
	v_cndmask_b32_e32 v3, v5, v3, vcc
	v_cndmask_b32_e32 v2, v4, v2, vcc
	v_mul_f64 v[4:5], v[0:1], v[2:3]
.LBB61_63:
	s_mov_b32 s4, 0
	s_brev_b32 s5, 8
	v_cmp_gt_f64_e32 vcc, s[4:5], v[4:5]
	s_and_b64 s[4:5], vcc, exec
	s_cselect_b32 s4, 0x100, 0
	v_ldexp_f64 v[0:1], v[4:5], s4
	v_rsq_f64_e32 v[2:3], v[0:1]
	s_cselect_b32 s4, 0xffffff80, 0
	v_mul_f64 v[4:5], v[0:1], v[2:3]
	v_mul_f64 v[2:3], v[2:3], 0.5
	v_fma_f64 v[10:11], -v[2:3], v[4:5], 0.5
	v_fmac_f64_e32 v[4:5], v[4:5], v[10:11]
	v_fmac_f64_e32 v[2:3], v[2:3], v[10:11]
	v_fma_f64 v[10:11], -v[4:5], v[4:5], v[0:1]
	v_fmac_f64_e32 v[4:5], v[10:11], v[2:3]
	v_fma_f64 v[10:11], -v[4:5], v[4:5], v[0:1]
	v_fmac_f64_e32 v[4:5], v[10:11], v[2:3]
	v_ldexp_f64 v[2:3], v[4:5], s4
	v_mov_b32_e32 v4, 0x260
	v_cmp_class_f64_e32 vcc, v[0:1], v4
	s_nop 1
	v_cndmask_b32_e32 v0, v2, v0, vcc
	v_mov_b32_e32 v2, 0
	v_cndmask_b32_e32 v1, v3, v1, vcc
	v_mov_b32_e32 v3, v2
	ds_write_b128 v2, v[0:3] offset:384
.LBB61_64:
	s_or_b64 exec, exec, s[0:1]
	v_mov_b32_e32 v0, 0
	s_waitcnt lgkmcnt(0)
	ds_read_b128 v[0:3], v0 offset:384
	v_or_b32_e32 v9, v7, v16
	v_cmp_ne_u32_e64 s[0:1], 0, v9
	v_mov_b32_e32 v4, 0x3ff00000
	s_add_i32 s20, s16, s17
	s_waitcnt lgkmcnt(0)
	v_cmp_neq_f64_e32 vcc, 0, v[0:1]
	v_cmp_neq_f64_e64 s[4:5], 0, v[2:3]
	s_or_b64 vcc, vcc, s[4:5]
	v_cndmask_b32_e32 v1, v4, v1, vcc
	s_nor_b64 s[14:15], vcc, s[0:1]
	v_cndmask_b32_e32 v0, 0, v0, vcc
	v_cndmask_b32_e32 v3, 0, v3, vcc
	;; [unrolled: 1-line block ×3, first 2 shown]
	s_and_saveexec_b64 s[4:5], s[14:15]
	s_cbranch_execz .LBB61_68
; %bb.65:
	v_mbcnt_lo_u32_b32 v0, exec_lo, 0
	v_mbcnt_hi_u32_b32 v0, exec_hi, v0
	v_cmp_eq_u32_e32 vcc, 0, v0
	s_and_saveexec_b64 s[14:15], vcc
	s_cbranch_execz .LBB61_67
; %bb.66:
	v_mov_b32_e32 v0, 0
	v_mov_b32_e32 v1, s20
	global_atomic_smin v0, v1, s[10:11]
.LBB61_67:
	s_or_b64 exec, exec, s[14:15]
	v_mov_b64_e32 v[2:3], 0
	v_mov_b64_e32 v[0:1], 1.0
.LBB61_68:
	s_or_b64 exec, exec, s[4:5]
	v_mov_b32_e32 v4, 0x180
	v_lshl_add_u32 v10, v7, 6, v4
	s_and_saveexec_b64 s[4:5], s[2:3]
	s_cbranch_execz .LBB61_70
; %bb.69:
	v_mul_f64 v[4:5], v[2:3], v[2:3]
	v_fmac_f64_e32 v[4:5], v[0:1], v[0:1]
	ds_read_b128 v[12:15], v8
	ds_read_b128 v[22:25], v20
	v_div_scale_f64 v[26:27], s[2:3], v[4:5], v[4:5], 1.0
	v_rcp_f64_e32 v[28:29], v[26:27]
	s_waitcnt lgkmcnt(0)
	v_add_f64 v[22:23], v[12:13], -v[22:23]
	v_add_f64 v[14:15], v[14:15], -v[24:25]
	v_fma_f64 v[12:13], -v[26:27], v[28:29], 1.0
	v_fmac_f64_e32 v[28:29], v[28:29], v[12:13]
	v_fma_f64 v[12:13], -v[26:27], v[28:29], 1.0
	v_fmac_f64_e32 v[28:29], v[28:29], v[12:13]
	v_div_scale_f64 v[12:13], vcc, 1.0, v[4:5], 1.0
	v_mul_f64 v[24:25], v[12:13], v[28:29]
	v_fma_f64 v[12:13], -v[26:27], v[24:25], v[12:13]
	s_nop 1
	v_div_fmas_f64 v[12:13], v[12:13], v[28:29], v[24:25]
	v_div_fixup_f64 v[4:5], v[12:13], v[4:5], 1.0
	v_mul_f64 v[12:13], v[2:3], v[14:15]
	v_mul_f64 v[2:3], v[2:3], -v[22:23]
	v_fmac_f64_e32 v[12:13], v[22:23], v[0:1]
	v_fmac_f64_e32 v[2:3], v[14:15], v[0:1]
	v_mul_f64 v[12:13], v[4:5], v[12:13]
	v_mul_f64 v[14:15], v[4:5], v[2:3]
	ds_write_b128 v8, v[12:15]
	s_waitcnt lgkmcnt(0)
	ds_read_b128 v[0:3], v10
	ds_read_b128 v[22:25], v19
	s_waitcnt lgkmcnt(0)
	v_fmac_f64_e32 v[22:23], v[12:13], v[0:1]
	v_fmac_f64_e32 v[24:25], v[14:15], v[0:1]
	;; [unrolled: 1-line block ×3, first 2 shown]
	v_fma_f64 v[24:25], v[12:13], -v[2:3], v[24:25]
	ds_write_b128 v19, v[22:25]
.LBB61_70:
	s_or_b64 exec, exec, s[4:5]
	v_cmp_eq_u32_e32 vcc, 1, v16
	s_waitcnt lgkmcnt(0)
	s_and_saveexec_b64 s[2:3], vcc
	s_cbranch_execz .LBB61_77
; %bb.71:
	v_mov_b32_e32 v4, 0
	ds_read_b128 v[0:3], v4 offset:656
	ds_read_b128 v[12:15], v4 offset:464
	s_waitcnt lgkmcnt(0)
	v_add_f64 v[0:1], v[12:13], -v[0:1]
	v_add_f64 v[4:5], v[14:15], -v[2:3]
	v_xor_b32_e32 v2, 0x80000000, v1
	v_cmp_gt_f64_e32 vcc, 0, v[0:1]
	v_xor_b32_e32 v3, 0x80000000, v5
	s_nop 0
	v_cndmask_b32_e32 v1, v1, v2, vcc
	v_cmp_gt_f64_e32 vcc, 0, v[4:5]
	v_mov_b32_e32 v2, v4
	s_nop 0
	v_cndmask_b32_e32 v3, v5, v3, vcc
	v_cmp_gt_f64_e32 vcc, v[0:1], v[2:3]
	s_cbranch_vccnz .LBB61_74
; %bb.72:
	v_cmp_eq_f64_e32 vcc, 0, v[4:5]
	s_mov_b64 s[4:5], 0
	s_cbranch_vccnz .LBB61_106
; %bb.73:
	v_div_scale_f64 v[4:5], s[14:15], v[2:3], v[2:3], v[0:1]
	v_rcp_f64_e32 v[12:13], v[4:5]
	v_div_scale_f64 v[14:15], vcc, v[0:1], v[2:3], v[0:1]
	s_mov_b32 s14, 0
	v_fma_f64 v[22:23], -v[4:5], v[12:13], 1.0
	v_fmac_f64_e32 v[12:13], v[12:13], v[22:23]
	v_fma_f64 v[22:23], -v[4:5], v[12:13], 1.0
	v_fmac_f64_e32 v[12:13], v[12:13], v[22:23]
	v_mul_f64 v[22:23], v[14:15], v[12:13]
	v_fma_f64 v[4:5], -v[4:5], v[22:23], v[14:15]
	v_div_fmas_f64 v[4:5], v[4:5], v[12:13], v[22:23]
	v_div_fixup_f64 v[4:5], v[4:5], v[2:3], v[0:1]
	v_fma_f64 v[4:5], v[4:5], v[4:5], 1.0
	s_brev_b32 s15, 8
	v_cmp_gt_f64_e32 vcc, s[14:15], v[4:5]
	s_and_b64 s[14:15], vcc, exec
	s_cselect_b32 s14, 0x100, 0
	v_ldexp_f64 v[4:5], v[4:5], s14
	v_rsq_f64_e32 v[12:13], v[4:5]
	s_cselect_b32 s14, 0xffffff80, 0
	v_mov_b32_e32 v11, 0x260
	v_cmp_class_f64_e32 vcc, v[4:5], v11
	v_mul_f64 v[14:15], v[4:5], v[12:13]
	v_mul_f64 v[12:13], v[12:13], 0.5
	v_fma_f64 v[22:23], -v[12:13], v[14:15], 0.5
	v_fmac_f64_e32 v[14:15], v[14:15], v[22:23]
	v_fma_f64 v[24:25], -v[14:15], v[14:15], v[4:5]
	v_fmac_f64_e32 v[12:13], v[12:13], v[22:23]
	v_fmac_f64_e32 v[14:15], v[24:25], v[12:13]
	v_fma_f64 v[22:23], -v[14:15], v[14:15], v[4:5]
	v_fmac_f64_e32 v[14:15], v[22:23], v[12:13]
	v_ldexp_f64 v[12:13], v[14:15], s14
	v_cndmask_b32_e32 v5, v13, v5, vcc
	v_cndmask_b32_e32 v4, v12, v4, vcc
	v_mul_f64 v[4:5], v[2:3], v[4:5]
	s_andn2_b64 vcc, exec, s[4:5]
	s_cbranch_vccz .LBB61_75
	s_branch .LBB61_76
.LBB61_74:
                                        ; implicit-def: $vgpr4_vgpr5
.LBB61_75:
	v_div_scale_f64 v[4:5], s[4:5], v[0:1], v[0:1], v[2:3]
	v_rcp_f64_e32 v[12:13], v[4:5]
	v_div_scale_f64 v[14:15], vcc, v[2:3], v[0:1], v[2:3]
	s_mov_b32 s4, 0
	v_fma_f64 v[22:23], -v[4:5], v[12:13], 1.0
	v_fmac_f64_e32 v[12:13], v[12:13], v[22:23]
	v_fma_f64 v[22:23], -v[4:5], v[12:13], 1.0
	v_fmac_f64_e32 v[12:13], v[12:13], v[22:23]
	v_mul_f64 v[22:23], v[14:15], v[12:13]
	v_fma_f64 v[4:5], -v[4:5], v[22:23], v[14:15]
	v_div_fmas_f64 v[4:5], v[4:5], v[12:13], v[22:23]
	v_div_fixup_f64 v[2:3], v[4:5], v[0:1], v[2:3]
	v_fma_f64 v[2:3], v[2:3], v[2:3], 1.0
	s_brev_b32 s5, 8
	v_cmp_gt_f64_e32 vcc, s[4:5], v[2:3]
	s_and_b64 s[4:5], vcc, exec
	s_cselect_b32 s4, 0x100, 0
	v_ldexp_f64 v[2:3], v[2:3], s4
	v_rsq_f64_e32 v[4:5], v[2:3]
	s_cselect_b32 s4, 0xffffff80, 0
	v_mov_b32_e32 v11, 0x260
	v_cmp_class_f64_e32 vcc, v[2:3], v11
	v_mul_f64 v[12:13], v[2:3], v[4:5]
	v_mul_f64 v[4:5], v[4:5], 0.5
	v_fma_f64 v[14:15], -v[4:5], v[12:13], 0.5
	v_fmac_f64_e32 v[12:13], v[12:13], v[14:15]
	v_fma_f64 v[22:23], -v[12:13], v[12:13], v[2:3]
	v_fmac_f64_e32 v[4:5], v[4:5], v[14:15]
	v_fmac_f64_e32 v[12:13], v[22:23], v[4:5]
	v_fma_f64 v[14:15], -v[12:13], v[12:13], v[2:3]
	v_fmac_f64_e32 v[12:13], v[14:15], v[4:5]
	v_ldexp_f64 v[4:5], v[12:13], s4
	v_cndmask_b32_e32 v3, v5, v3, vcc
	v_cndmask_b32_e32 v2, v4, v2, vcc
	v_mul_f64 v[4:5], v[0:1], v[2:3]
.LBB61_76:
	s_mov_b32 s4, 0
	s_brev_b32 s5, 8
	v_cmp_gt_f64_e32 vcc, s[4:5], v[4:5]
	s_and_b64 s[4:5], vcc, exec
	s_cselect_b32 s4, 0x100, 0
	v_ldexp_f64 v[0:1], v[4:5], s4
	v_rsq_f64_e32 v[2:3], v[0:1]
	s_cselect_b32 s4, 0xffffff80, 0
	v_mul_f64 v[4:5], v[0:1], v[2:3]
	v_mul_f64 v[2:3], v[2:3], 0.5
	v_fma_f64 v[12:13], -v[2:3], v[4:5], 0.5
	v_fmac_f64_e32 v[4:5], v[4:5], v[12:13]
	v_fmac_f64_e32 v[2:3], v[2:3], v[12:13]
	v_fma_f64 v[12:13], -v[4:5], v[4:5], v[0:1]
	v_fmac_f64_e32 v[4:5], v[12:13], v[2:3]
	v_fma_f64 v[12:13], -v[4:5], v[4:5], v[0:1]
	v_fmac_f64_e32 v[4:5], v[12:13], v[2:3]
	v_ldexp_f64 v[2:3], v[4:5], s4
	v_mov_b32_e32 v4, 0x260
	v_cmp_class_f64_e32 vcc, v[0:1], v4
	s_nop 1
	v_cndmask_b32_e32 v0, v2, v0, vcc
	v_mov_b32_e32 v2, 0
	v_cndmask_b32_e32 v1, v3, v1, vcc
	v_mov_b32_e32 v3, v2
	ds_write_b128 v2, v[0:3] offset:464
.LBB61_77:
	s_or_b64 exec, exec, s[2:3]
	v_mov_b32_e32 v0, 0
	s_waitcnt lgkmcnt(0)
	ds_read_b128 v[0:3], v0 offset:464
	v_mov_b32_e32 v4, 0x3ff00000
	s_waitcnt lgkmcnt(0)
	v_cmp_neq_f64_e32 vcc, 0, v[0:1]
	v_cmp_neq_f64_e64 s[2:3], 0, v[2:3]
	s_or_b64 vcc, vcc, s[2:3]
	v_cndmask_b32_e32 v1, v4, v1, vcc
	s_nor_b64 s[4:5], vcc, s[0:1]
	v_cndmask_b32_e32 v0, 0, v0, vcc
	v_cndmask_b32_e32 v3, 0, v3, vcc
	;; [unrolled: 1-line block ×3, first 2 shown]
	s_and_saveexec_b64 s[2:3], s[4:5]
	s_cbranch_execz .LBB61_81
; %bb.78:
	v_mbcnt_lo_u32_b32 v0, exec_lo, 0
	v_mbcnt_hi_u32_b32 v0, exec_hi, v0
	v_cmp_eq_u32_e32 vcc, 0, v0
	s_and_saveexec_b64 s[4:5], vcc
	s_cbranch_execz .LBB61_80
; %bb.79:
	v_mov_b32_e32 v0, 0
	v_mov_b32_e32 v1, s20
	global_atomic_smin v0, v1, s[10:11]
.LBB61_80:
	s_or_b64 exec, exec, s[4:5]
	v_mov_b64_e32 v[2:3], 0
	v_mov_b64_e32 v[0:1], 1.0
.LBB61_81:
	s_or_b64 exec, exec, s[2:3]
	v_cmp_lt_u32_e32 vcc, 1, v16
	s_and_saveexec_b64 s[2:3], vcc
	s_cbranch_execz .LBB61_83
; %bb.82:
	v_mul_f64 v[4:5], v[2:3], v[2:3]
	v_fmac_f64_e32 v[4:5], v[0:1], v[0:1]
	ds_read_b128 v[12:15], v8 offset:16
	ds_read_b128 v[22:25], v20 offset:16
	v_div_scale_f64 v[26:27], s[4:5], v[4:5], v[4:5], 1.0
	v_rcp_f64_e32 v[28:29], v[26:27]
	s_waitcnt lgkmcnt(0)
	v_add_f64 v[22:23], v[12:13], -v[22:23]
	v_add_f64 v[14:15], v[14:15], -v[24:25]
	v_fma_f64 v[12:13], -v[26:27], v[28:29], 1.0
	v_fmac_f64_e32 v[28:29], v[28:29], v[12:13]
	v_fma_f64 v[12:13], -v[26:27], v[28:29], 1.0
	v_fmac_f64_e32 v[28:29], v[28:29], v[12:13]
	v_div_scale_f64 v[12:13], vcc, 1.0, v[4:5], 1.0
	v_mul_f64 v[24:25], v[12:13], v[28:29]
	v_fma_f64 v[12:13], -v[26:27], v[24:25], v[12:13]
	s_nop 1
	v_div_fmas_f64 v[12:13], v[12:13], v[28:29], v[24:25]
	v_div_fixup_f64 v[4:5], v[12:13], v[4:5], 1.0
	v_mul_f64 v[12:13], v[2:3], v[14:15]
	v_mul_f64 v[2:3], v[2:3], -v[22:23]
	v_fmac_f64_e32 v[12:13], v[22:23], v[0:1]
	v_fmac_f64_e32 v[2:3], v[14:15], v[0:1]
	v_mul_f64 v[12:13], v[4:5], v[12:13]
	v_mul_f64 v[14:15], v[4:5], v[2:3]
	ds_write_b128 v8, v[12:15] offset:16
	s_waitcnt lgkmcnt(0)
	ds_read_b128 v[0:3], v10 offset:16
	ds_read_b128 v[22:25], v19
	s_waitcnt lgkmcnt(0)
	v_fmac_f64_e32 v[22:23], v[12:13], v[0:1]
	v_fmac_f64_e32 v[24:25], v[14:15], v[0:1]
	;; [unrolled: 1-line block ×3, first 2 shown]
	v_fma_f64 v[24:25], v[12:13], -v[2:3], v[24:25]
	ds_write_b128 v19, v[22:25]
.LBB61_83:
	s_or_b64 exec, exec, s[2:3]
	v_cmp_eq_u32_e32 vcc, 2, v16
	s_waitcnt lgkmcnt(0)
	s_and_saveexec_b64 s[2:3], vcc
	s_cbranch_execz .LBB61_90
; %bb.84:
	v_mov_b32_e32 v4, 0
	ds_read_b128 v[0:3], v4 offset:736
	ds_read_b128 v[12:15], v4 offset:544
	s_waitcnt lgkmcnt(0)
	v_add_f64 v[0:1], v[12:13], -v[0:1]
	v_add_f64 v[4:5], v[14:15], -v[2:3]
	v_xor_b32_e32 v2, 0x80000000, v1
	v_cmp_gt_f64_e32 vcc, 0, v[0:1]
	v_xor_b32_e32 v3, 0x80000000, v5
	s_nop 0
	v_cndmask_b32_e32 v1, v1, v2, vcc
	v_cmp_gt_f64_e32 vcc, 0, v[4:5]
	v_mov_b32_e32 v2, v4
	s_nop 0
	v_cndmask_b32_e32 v3, v5, v3, vcc
	v_cmp_gt_f64_e32 vcc, v[0:1], v[2:3]
	s_cbranch_vccnz .LBB61_87
; %bb.85:
	v_cmp_eq_f64_e32 vcc, 0, v[4:5]
	s_mov_b64 s[4:5], 0
	s_cbranch_vccnz .LBB61_107
; %bb.86:
	v_div_scale_f64 v[4:5], s[14:15], v[2:3], v[2:3], v[0:1]
	v_rcp_f64_e32 v[12:13], v[4:5]
	v_div_scale_f64 v[14:15], vcc, v[0:1], v[2:3], v[0:1]
	s_mov_b32 s14, 0
	v_fma_f64 v[22:23], -v[4:5], v[12:13], 1.0
	v_fmac_f64_e32 v[12:13], v[12:13], v[22:23]
	v_fma_f64 v[22:23], -v[4:5], v[12:13], 1.0
	v_fmac_f64_e32 v[12:13], v[12:13], v[22:23]
	v_mul_f64 v[22:23], v[14:15], v[12:13]
	v_fma_f64 v[4:5], -v[4:5], v[22:23], v[14:15]
	v_div_fmas_f64 v[4:5], v[4:5], v[12:13], v[22:23]
	v_div_fixup_f64 v[4:5], v[4:5], v[2:3], v[0:1]
	v_fma_f64 v[4:5], v[4:5], v[4:5], 1.0
	s_brev_b32 s15, 8
	v_cmp_gt_f64_e32 vcc, s[14:15], v[4:5]
	s_and_b64 s[14:15], vcc, exec
	s_cselect_b32 s14, 0x100, 0
	v_ldexp_f64 v[4:5], v[4:5], s14
	v_rsq_f64_e32 v[12:13], v[4:5]
	s_cselect_b32 s14, 0xffffff80, 0
	v_mov_b32_e32 v11, 0x260
	v_cmp_class_f64_e32 vcc, v[4:5], v11
	v_mul_f64 v[14:15], v[4:5], v[12:13]
	v_mul_f64 v[12:13], v[12:13], 0.5
	v_fma_f64 v[22:23], -v[12:13], v[14:15], 0.5
	v_fmac_f64_e32 v[14:15], v[14:15], v[22:23]
	v_fma_f64 v[24:25], -v[14:15], v[14:15], v[4:5]
	v_fmac_f64_e32 v[12:13], v[12:13], v[22:23]
	v_fmac_f64_e32 v[14:15], v[24:25], v[12:13]
	v_fma_f64 v[22:23], -v[14:15], v[14:15], v[4:5]
	v_fmac_f64_e32 v[14:15], v[22:23], v[12:13]
	v_ldexp_f64 v[12:13], v[14:15], s14
	v_cndmask_b32_e32 v5, v13, v5, vcc
	v_cndmask_b32_e32 v4, v12, v4, vcc
	v_mul_f64 v[4:5], v[2:3], v[4:5]
	s_andn2_b64 vcc, exec, s[4:5]
	s_cbranch_vccz .LBB61_88
	s_branch .LBB61_89
.LBB61_87:
                                        ; implicit-def: $vgpr4_vgpr5
.LBB61_88:
	v_div_scale_f64 v[4:5], s[4:5], v[0:1], v[0:1], v[2:3]
	v_rcp_f64_e32 v[12:13], v[4:5]
	v_div_scale_f64 v[14:15], vcc, v[2:3], v[0:1], v[2:3]
	s_mov_b32 s4, 0
	v_fma_f64 v[22:23], -v[4:5], v[12:13], 1.0
	v_fmac_f64_e32 v[12:13], v[12:13], v[22:23]
	v_fma_f64 v[22:23], -v[4:5], v[12:13], 1.0
	v_fmac_f64_e32 v[12:13], v[12:13], v[22:23]
	v_mul_f64 v[22:23], v[14:15], v[12:13]
	v_fma_f64 v[4:5], -v[4:5], v[22:23], v[14:15]
	v_div_fmas_f64 v[4:5], v[4:5], v[12:13], v[22:23]
	v_div_fixup_f64 v[2:3], v[4:5], v[0:1], v[2:3]
	v_fma_f64 v[2:3], v[2:3], v[2:3], 1.0
	s_brev_b32 s5, 8
	v_cmp_gt_f64_e32 vcc, s[4:5], v[2:3]
	s_and_b64 s[4:5], vcc, exec
	s_cselect_b32 s4, 0x100, 0
	v_ldexp_f64 v[2:3], v[2:3], s4
	v_rsq_f64_e32 v[4:5], v[2:3]
	s_cselect_b32 s4, 0xffffff80, 0
	v_mov_b32_e32 v11, 0x260
	v_cmp_class_f64_e32 vcc, v[2:3], v11
	v_mul_f64 v[12:13], v[2:3], v[4:5]
	v_mul_f64 v[4:5], v[4:5], 0.5
	v_fma_f64 v[14:15], -v[4:5], v[12:13], 0.5
	v_fmac_f64_e32 v[12:13], v[12:13], v[14:15]
	v_fma_f64 v[22:23], -v[12:13], v[12:13], v[2:3]
	v_fmac_f64_e32 v[4:5], v[4:5], v[14:15]
	v_fmac_f64_e32 v[12:13], v[22:23], v[4:5]
	v_fma_f64 v[14:15], -v[12:13], v[12:13], v[2:3]
	v_fmac_f64_e32 v[12:13], v[14:15], v[4:5]
	v_ldexp_f64 v[4:5], v[12:13], s4
	v_cndmask_b32_e32 v3, v5, v3, vcc
	v_cndmask_b32_e32 v2, v4, v2, vcc
	v_mul_f64 v[4:5], v[0:1], v[2:3]
.LBB61_89:
	s_mov_b32 s4, 0
	s_brev_b32 s5, 8
	v_cmp_gt_f64_e32 vcc, s[4:5], v[4:5]
	s_and_b64 s[4:5], vcc, exec
	s_cselect_b32 s4, 0x100, 0
	v_ldexp_f64 v[0:1], v[4:5], s4
	v_rsq_f64_e32 v[2:3], v[0:1]
	s_cselect_b32 s4, 0xffffff80, 0
	v_mul_f64 v[4:5], v[0:1], v[2:3]
	v_mul_f64 v[2:3], v[2:3], 0.5
	v_fma_f64 v[12:13], -v[2:3], v[4:5], 0.5
	v_fmac_f64_e32 v[4:5], v[4:5], v[12:13]
	v_fmac_f64_e32 v[2:3], v[2:3], v[12:13]
	v_fma_f64 v[12:13], -v[4:5], v[4:5], v[0:1]
	v_fmac_f64_e32 v[4:5], v[12:13], v[2:3]
	v_fma_f64 v[12:13], -v[4:5], v[4:5], v[0:1]
	v_fmac_f64_e32 v[4:5], v[12:13], v[2:3]
	v_ldexp_f64 v[2:3], v[4:5], s4
	v_mov_b32_e32 v4, 0x260
	v_cmp_class_f64_e32 vcc, v[0:1], v4
	s_nop 1
	v_cndmask_b32_e32 v0, v2, v0, vcc
	v_mov_b32_e32 v2, 0
	v_cndmask_b32_e32 v1, v3, v1, vcc
	v_mov_b32_e32 v3, v2
	ds_write_b128 v2, v[0:3] offset:544
.LBB61_90:
	s_or_b64 exec, exec, s[2:3]
	v_mov_b32_e32 v0, 0
	s_waitcnt lgkmcnt(0)
	ds_read_b128 v[0:3], v0 offset:544
	v_mov_b32_e32 v4, 0x3ff00000
	s_waitcnt lgkmcnt(0)
	v_cmp_neq_f64_e32 vcc, 0, v[0:1]
	v_cmp_neq_f64_e64 s[2:3], 0, v[2:3]
	s_or_b64 vcc, vcc, s[2:3]
	v_cndmask_b32_e32 v1, v4, v1, vcc
	s_nor_b64 s[2:3], vcc, s[0:1]
	v_cndmask_b32_e32 v0, 0, v0, vcc
	v_cndmask_b32_e32 v3, 0, v3, vcc
	;; [unrolled: 1-line block ×3, first 2 shown]
	s_and_saveexec_b64 s[0:1], s[2:3]
	s_cbranch_execz .LBB61_103
; %bb.91:
	v_mbcnt_lo_u32_b32 v0, exec_lo, 0
	v_mbcnt_hi_u32_b32 v0, exec_hi, v0
	v_cmp_eq_u32_e32 vcc, 0, v0
	s_and_saveexec_b64 s[2:3], vcc
	s_cbranch_execz .LBB61_93
; %bb.92:
	v_mov_b32_e32 v0, 0
	v_mov_b32_e32 v1, s20
	global_atomic_smin v0, v1, s[10:11]
.LBB61_93:
	s_or_b64 exec, exec, s[2:3]
	v_mov_b64_e32 v[2:3], 0
	v_mov_b64_e32 v[0:1], 1.0
	s_or_b64 exec, exec, s[0:1]
	v_cmp_lt_u32_e32 vcc, 2, v16
	s_and_saveexec_b64 s[0:1], vcc
	s_cbranch_execnz .LBB61_104
.LBB61_94:
	s_or_b64 exec, exec, s[0:1]
	s_andn2_b64 vcc, exec, s[12:13]
	s_cbranch_vccnz .LBB61_96
.LBB61_95:
	v_mov_b32_e32 v17, v18
.LBB61_96:
	ds_read2_b64 v[0:3], v6 offset1:1
	v_add_u32_e32 v4, s30, v17
	v_ashrrev_i32_e32 v5, 31, v4
	v_lshl_add_u64 v[4:5], v[4:5], 4, s[18:19]
	v_cmp_eq_u32_e32 vcc, 0, v9
	s_waitcnt lgkmcnt(0)
	global_store_dwordx4 v[4:5], v[0:3], off
	s_and_saveexec_b64 s[0:1], vcc
	s_cbranch_execz .LBB61_98
; %bb.97:
	s_add_u32 s2, s6, s8
	s_addc_u32 s3, s7, s9
	v_mov_b32_e32 v0, 0
	v_mov_b32_e32 v1, 1
	buffer_wbl2 sc1
	s_waitcnt vmcnt(0)
	global_store_dword v0, v1, s[2:3] sc1
.LBB61_98:
	s_or_b64 exec, exec, s[0:1]
	s_branch .LBB61_60
.LBB61_99:
	v_or_b32_e32 v0, v7, v16
	v_cmp_eq_u32_e32 vcc, 0, v0
	s_and_saveexec_b64 s[0:1], vcc
	s_cbranch_execz .LBB61_60
; %bb.100:
	v_mbcnt_lo_u32_b32 v0, exec_lo, 0
	v_mbcnt_hi_u32_b32 v0, exec_hi, v0
	v_cmp_eq_u32_e32 vcc, 0, v0
	s_and_saveexec_b64 s[0:1], vcc
	s_cbranch_execz .LBB61_102
; %bb.101:
	s_add_i32 s2, s16, s17
	v_mov_b32_e32 v0, 0
	v_mov_b32_e32 v1, s2
	global_atomic_smin v0, v1, s[10:11]
.LBB61_102:
	s_or_b64 exec, exec, s[0:1]
	s_add_u32 s0, s6, s8
	s_addc_u32 s1, s7, s9
	v_mov_b32_e32 v0, 0
	v_mov_b32_e32 v1, 1
	buffer_wbl2 sc1
	s_waitcnt vmcnt(0)
	global_store_dword v0, v1, s[0:1] sc1
	s_endpgm
.LBB61_103:
	s_or_b64 exec, exec, s[0:1]
	v_cmp_lt_u32_e32 vcc, 2, v16
	s_and_saveexec_b64 s[0:1], vcc
	s_cbranch_execz .LBB61_94
.LBB61_104:
	v_mul_f64 v[4:5], v[2:3], v[2:3]
	v_fmac_f64_e32 v[4:5], v[0:1], v[0:1]
	ds_read_b128 v[12:15], v8 offset:32
	ds_read_b128 v[20:23], v20 offset:32
	v_div_scale_f64 v[24:25], s[2:3], v[4:5], v[4:5], 1.0
	v_rcp_f64_e32 v[26:27], v[24:25]
	s_waitcnt lgkmcnt(0)
	v_add_f64 v[20:21], v[12:13], -v[20:21]
	v_add_f64 v[14:15], v[14:15], -v[22:23]
	v_fma_f64 v[12:13], -v[24:25], v[26:27], 1.0
	v_fmac_f64_e32 v[26:27], v[26:27], v[12:13]
	v_fma_f64 v[12:13], -v[24:25], v[26:27], 1.0
	v_fmac_f64_e32 v[26:27], v[26:27], v[12:13]
	v_div_scale_f64 v[12:13], vcc, 1.0, v[4:5], 1.0
	v_mul_f64 v[22:23], v[12:13], v[26:27]
	v_fma_f64 v[12:13], -v[24:25], v[22:23], v[12:13]
	s_nop 1
	v_div_fmas_f64 v[12:13], v[12:13], v[26:27], v[22:23]
	v_div_fixup_f64 v[4:5], v[12:13], v[4:5], 1.0
	v_mul_f64 v[12:13], v[2:3], v[14:15]
	v_mul_f64 v[2:3], v[2:3], -v[20:21]
	v_fmac_f64_e32 v[12:13], v[20:21], v[0:1]
	v_fmac_f64_e32 v[2:3], v[14:15], v[0:1]
	v_mul_f64 v[12:13], v[4:5], v[12:13]
	v_mul_f64 v[14:15], v[4:5], v[2:3]
	ds_write_b128 v8, v[12:15] offset:32
	s_waitcnt lgkmcnt(0)
	ds_read_b128 v[0:3], v10 offset:32
	ds_read_b128 v[20:23], v19
	s_waitcnt lgkmcnt(0)
	v_fmac_f64_e32 v[20:21], v[12:13], v[0:1]
	v_fmac_f64_e32 v[22:23], v[14:15], v[0:1]
	;; [unrolled: 1-line block ×3, first 2 shown]
	v_fma_f64 v[22:23], v[12:13], -v[2:3], v[22:23]
	ds_write_b128 v19, v[20:23]
	s_or_b64 exec, exec, s[0:1]
	s_andn2_b64 vcc, exec, s[12:13]
	s_waitcnt lgkmcnt(0)
	s_cbranch_vccz .LBB61_95
	s_branch .LBB61_96
.LBB61_105:
	v_mov_b64_e32 v[4:5], 0
	s_andn2_b64 vcc, exec, s[4:5]
	s_cbranch_vccz .LBB61_62
	s_branch .LBB61_63
.LBB61_106:
	v_mov_b64_e32 v[4:5], 0
	s_andn2_b64 vcc, exec, s[4:5]
	s_cbranch_vccz .LBB61_75
	s_branch .LBB61_76
.LBB61_107:
	v_mov_b64_e32 v[4:5], 0
	s_andn2_b64 vcc, exec, s[4:5]
	s_cbranch_vccz .LBB61_88
	s_branch .LBB61_89
	.section	.rodata,"a",@progbits
	.p2align	6, 0x0
	.amdhsa_kernel _ZN9rocsparseL26bsric0_2_8_unrolled_kernelILi9ELi32ELi3E21rocsparse_complex_numIdEEEv20rocsparse_direction_iiPKiS5_PT2_S5_PiS5_S8_21rocsparse_index_base_
		.amdhsa_group_segment_fixed_size 1152
		.amdhsa_private_segment_fixed_size 0
		.amdhsa_kernarg_size 76
		.amdhsa_user_sgpr_count 2
		.amdhsa_user_sgpr_dispatch_ptr 0
		.amdhsa_user_sgpr_queue_ptr 0
		.amdhsa_user_sgpr_kernarg_segment_ptr 1
		.amdhsa_user_sgpr_dispatch_id 0
		.amdhsa_user_sgpr_kernarg_preload_length 0
		.amdhsa_user_sgpr_kernarg_preload_offset 0
		.amdhsa_user_sgpr_private_segment_size 0
		.amdhsa_uses_dynamic_stack 0
		.amdhsa_enable_private_segment 0
		.amdhsa_system_sgpr_workgroup_id_x 1
		.amdhsa_system_sgpr_workgroup_id_y 0
		.amdhsa_system_sgpr_workgroup_id_z 0
		.amdhsa_system_sgpr_workgroup_info 0
		.amdhsa_system_vgpr_workitem_id 1
		.amdhsa_next_free_vgpr 66
		.amdhsa_next_free_sgpr 40
		.amdhsa_accum_offset 68
		.amdhsa_reserve_vcc 1
		.amdhsa_float_round_mode_32 0
		.amdhsa_float_round_mode_16_64 0
		.amdhsa_float_denorm_mode_32 3
		.amdhsa_float_denorm_mode_16_64 3
		.amdhsa_dx10_clamp 1
		.amdhsa_ieee_mode 1
		.amdhsa_fp16_overflow 0
		.amdhsa_tg_split 0
		.amdhsa_exception_fp_ieee_invalid_op 0
		.amdhsa_exception_fp_denorm_src 0
		.amdhsa_exception_fp_ieee_div_zero 0
		.amdhsa_exception_fp_ieee_overflow 0
		.amdhsa_exception_fp_ieee_underflow 0
		.amdhsa_exception_fp_ieee_inexact 0
		.amdhsa_exception_int_div_zero 0
	.end_amdhsa_kernel
	.section	.text._ZN9rocsparseL26bsric0_2_8_unrolled_kernelILi9ELi32ELi3E21rocsparse_complex_numIdEEEv20rocsparse_direction_iiPKiS5_PT2_S5_PiS5_S8_21rocsparse_index_base_,"axG",@progbits,_ZN9rocsparseL26bsric0_2_8_unrolled_kernelILi9ELi32ELi3E21rocsparse_complex_numIdEEEv20rocsparse_direction_iiPKiS5_PT2_S5_PiS5_S8_21rocsparse_index_base_,comdat
.Lfunc_end61:
	.size	_ZN9rocsparseL26bsric0_2_8_unrolled_kernelILi9ELi32ELi3E21rocsparse_complex_numIdEEEv20rocsparse_direction_iiPKiS5_PT2_S5_PiS5_S8_21rocsparse_index_base_, .Lfunc_end61-_ZN9rocsparseL26bsric0_2_8_unrolled_kernelILi9ELi32ELi3E21rocsparse_complex_numIdEEEv20rocsparse_direction_iiPKiS5_PT2_S5_PiS5_S8_21rocsparse_index_base_
                                        ; -- End function
	.set _ZN9rocsparseL26bsric0_2_8_unrolled_kernelILi9ELi32ELi3E21rocsparse_complex_numIdEEEv20rocsparse_direction_iiPKiS5_PT2_S5_PiS5_S8_21rocsparse_index_base_.num_vgpr, 66
	.set _ZN9rocsparseL26bsric0_2_8_unrolled_kernelILi9ELi32ELi3E21rocsparse_complex_numIdEEEv20rocsparse_direction_iiPKiS5_PT2_S5_PiS5_S8_21rocsparse_index_base_.num_agpr, 0
	.set _ZN9rocsparseL26bsric0_2_8_unrolled_kernelILi9ELi32ELi3E21rocsparse_complex_numIdEEEv20rocsparse_direction_iiPKiS5_PT2_S5_PiS5_S8_21rocsparse_index_base_.numbered_sgpr, 40
	.set _ZN9rocsparseL26bsric0_2_8_unrolled_kernelILi9ELi32ELi3E21rocsparse_complex_numIdEEEv20rocsparse_direction_iiPKiS5_PT2_S5_PiS5_S8_21rocsparse_index_base_.num_named_barrier, 0
	.set _ZN9rocsparseL26bsric0_2_8_unrolled_kernelILi9ELi32ELi3E21rocsparse_complex_numIdEEEv20rocsparse_direction_iiPKiS5_PT2_S5_PiS5_S8_21rocsparse_index_base_.private_seg_size, 0
	.set _ZN9rocsparseL26bsric0_2_8_unrolled_kernelILi9ELi32ELi3E21rocsparse_complex_numIdEEEv20rocsparse_direction_iiPKiS5_PT2_S5_PiS5_S8_21rocsparse_index_base_.uses_vcc, 1
	.set _ZN9rocsparseL26bsric0_2_8_unrolled_kernelILi9ELi32ELi3E21rocsparse_complex_numIdEEEv20rocsparse_direction_iiPKiS5_PT2_S5_PiS5_S8_21rocsparse_index_base_.uses_flat_scratch, 0
	.set _ZN9rocsparseL26bsric0_2_8_unrolled_kernelILi9ELi32ELi3E21rocsparse_complex_numIdEEEv20rocsparse_direction_iiPKiS5_PT2_S5_PiS5_S8_21rocsparse_index_base_.has_dyn_sized_stack, 0
	.set _ZN9rocsparseL26bsric0_2_8_unrolled_kernelILi9ELi32ELi3E21rocsparse_complex_numIdEEEv20rocsparse_direction_iiPKiS5_PT2_S5_PiS5_S8_21rocsparse_index_base_.has_recursion, 0
	.set _ZN9rocsparseL26bsric0_2_8_unrolled_kernelILi9ELi32ELi3E21rocsparse_complex_numIdEEEv20rocsparse_direction_iiPKiS5_PT2_S5_PiS5_S8_21rocsparse_index_base_.has_indirect_call, 0
	.section	.AMDGPU.csdata,"",@progbits
; Kernel info:
; codeLenInByte = 7556
; TotalNumSgprs: 46
; NumVgprs: 66
; NumAgprs: 0
; TotalNumVgprs: 66
; ScratchSize: 0
; MemoryBound: 1
; FloatMode: 240
; IeeeMode: 1
; LDSByteSize: 1152 bytes/workgroup (compile time only)
; SGPRBlocks: 5
; VGPRBlocks: 8
; NumSGPRsForWavesPerEU: 46
; NumVGPRsForWavesPerEU: 66
; AccumOffset: 68
; Occupancy: 7
; WaveLimiterHint : 1
; COMPUTE_PGM_RSRC2:SCRATCH_EN: 0
; COMPUTE_PGM_RSRC2:USER_SGPR: 2
; COMPUTE_PGM_RSRC2:TRAP_HANDLER: 0
; COMPUTE_PGM_RSRC2:TGID_X_EN: 1
; COMPUTE_PGM_RSRC2:TGID_Y_EN: 0
; COMPUTE_PGM_RSRC2:TGID_Z_EN: 0
; COMPUTE_PGM_RSRC2:TIDIG_COMP_CNT: 1
; COMPUTE_PGM_RSRC3_GFX90A:ACCUM_OFFSET: 16
; COMPUTE_PGM_RSRC3_GFX90A:TG_SPLIT: 0
	.section	.text._ZN9rocsparseL26bsric0_2_8_unrolled_kernelILi16ELi32ELi4E21rocsparse_complex_numIdEEEv20rocsparse_direction_iiPKiS5_PT2_S5_PiS5_S8_21rocsparse_index_base_,"axG",@progbits,_ZN9rocsparseL26bsric0_2_8_unrolled_kernelILi16ELi32ELi4E21rocsparse_complex_numIdEEEv20rocsparse_direction_iiPKiS5_PT2_S5_PiS5_S8_21rocsparse_index_base_,comdat
	.globl	_ZN9rocsparseL26bsric0_2_8_unrolled_kernelILi16ELi32ELi4E21rocsparse_complex_numIdEEEv20rocsparse_direction_iiPKiS5_PT2_S5_PiS5_S8_21rocsparse_index_base_ ; -- Begin function _ZN9rocsparseL26bsric0_2_8_unrolled_kernelILi16ELi32ELi4E21rocsparse_complex_numIdEEEv20rocsparse_direction_iiPKiS5_PT2_S5_PiS5_S8_21rocsparse_index_base_
	.p2align	8
	.type	_ZN9rocsparseL26bsric0_2_8_unrolled_kernelILi16ELi32ELi4E21rocsparse_complex_numIdEEEv20rocsparse_direction_iiPKiS5_PT2_S5_PiS5_S8_21rocsparse_index_base_,@function
_ZN9rocsparseL26bsric0_2_8_unrolled_kernelILi16ELi32ELi4E21rocsparse_complex_numIdEEEv20rocsparse_direction_iiPKiS5_PT2_S5_PiS5_S8_21rocsparse_index_base_: ; @_ZN9rocsparseL26bsric0_2_8_unrolled_kernelILi16ELi32ELi4E21rocsparse_complex_numIdEEEv20rocsparse_direction_iiPKiS5_PT2_S5_PiS5_S8_21rocsparse_index_base_
; %bb.0:
	s_load_dwordx8 s[4:11], s[0:1], 0x28
	s_mov_b32 s3, 0
	s_lshl_b64 s[2:3], s[2:3], 2
	v_and_b32_e32 v12, 0x3ff, v0
	v_bfe_u32 v13, v0, 10, 10
	s_waitcnt lgkmcnt(0)
	s_add_u32 s2, s8, s2
	s_addc_u32 s3, s9, s3
	s_load_dword s16, s[2:3], 0x0
	s_waitcnt lgkmcnt(0)
	s_ashr_i32 s17, s16, 31
	s_lshl_b64 s[8:9], s[16:17], 2
	s_add_u32 s2, s4, s8
	s_addc_u32 s3, s5, s9
	s_load_dword s30, s[2:3], 0x0
	s_load_dword s17, s[0:1], 0x48
	s_waitcnt lgkmcnt(0)
	s_cmp_lg_u32 s30, -1
	s_cbranch_scc0 .LBB62_16
; %bb.1:
	s_load_dwordx4 s[12:15], s[0:1], 0x10
	v_lshlrev_b32_e32 v18, 2, v13
	v_add_u32_e32 v17, v18, v12
	s_waitcnt lgkmcnt(0)
	s_add_u32 s2, s12, s8
	s_addc_u32 s3, s13, s9
	s_load_dword s24, s[2:3], 0x0
	s_waitcnt lgkmcnt(0)
	s_sub_i32 s31, s24, s17
	v_add_u32_e32 v0, s31, v17
	v_cmp_ge_i32_e32 vcc, s30, v0
	s_and_saveexec_b64 s[2:3], vcc
	s_cbranch_execz .LBB62_14
; %bb.2:
	v_add_u32_e32 v1, s24, v17
	v_subrev_u32_e32 v1, s17, v1
	v_add_u32_e32 v1, 16, v1
	s_add_i32 s18, s30, 1
	v_max_i32_e32 v1, s18, v1
	v_not_b32_e32 v2, v12
	v_add3_u32 v1, s17, v1, v2
	v_add_u32_e32 v2, s24, v18
	v_sub_u32_e32 v1, v1, v2
	v_cmp_lt_u32_e32 vcc, 15, v1
	s_mov_b64 s[20:21], -1
	s_and_saveexec_b64 s[18:19], vcc
	s_cbranch_execz .LBB62_11
; %bb.3:
	v_lshrrev_b32_e32 v4, 4, v1
	v_add_u32_e32 v2, -1, v4
	v_add_u32_e32 v1, 16, v0
	v_lshrrev_b32_e32 v3, 1, v2
	v_add_u32_e32 v5, 1, v3
	v_cmp_lt_u32_e32 vcc, 13, v2
	v_mov_b64_e32 v[2:3], v[0:1]
	s_and_saveexec_b64 s[20:21], vcc
	s_cbranch_execz .LBB62_7
; %bb.4:
	v_and_b32_e32 v6, -8, v5
	s_mov_b64 s[22:23], 0
	v_mov_b64_e32 v[2:3], v[0:1]
.LBB62_5:                               ; =>This Inner Loop Header: Depth=1
	v_ashrrev_i32_e32 v11, 31, v2
	v_mov_b32_e32 v10, v2
	v_ashrrev_i32_e32 v9, 31, v3
	v_mov_b32_e32 v8, v3
	v_add_u32_e32 v14, 32, v2
	v_add_u32_e32 v20, 32, v3
	v_lshl_add_u64 v[10:11], v[10:11], 2, s[14:15]
	v_add_u32_e32 v22, 64, v2
	v_add_u32_e32 v24, 64, v3
	;; [unrolled: 1-line block ×12, first 2 shown]
	v_lshl_add_u64 v[8:9], v[8:9], 2, s[14:15]
	v_ashrrev_i32_e32 v21, 31, v20
	v_ashrrev_i32_e32 v15, 31, v14
	global_load_dword v1, v[10:11], off
	global_load_dword v7, v[8:9], off
	v_ashrrev_i32_e32 v25, 31, v24
	v_ashrrev_i32_e32 v23, 31, v22
	;; [unrolled: 1-line block ×12, first 2 shown]
	v_lshl_add_u64 v[8:9], v[14:15], 2, s[14:15]
	v_lshl_add_u64 v[10:11], v[20:21], 2, s[14:15]
	;; [unrolled: 1-line block ×13, first 2 shown]
	global_load_dword v15, v[10:11], off
	v_lshl_add_u64 v[10:11], v[44:45], 2, s[14:15]
	global_load_dword v16, v[8:9], off
	global_load_dword v19, v[48:49], off
	;; [unrolled: 1-line block ×13, first 2 shown]
	v_subrev_u32_e32 v9, s31, v2
	v_add_u32_e32 v6, -8, v6
	v_subrev_u32_e32 v8, s31, v3
	v_lshlrev_b32_e32 v9, 2, v9
	v_subrev_u32_e32 v11, s31, v14
	v_cmp_eq_u32_e32 vcc, 0, v6
	v_add_u32_e32 v3, 0x100, v3
	v_add_u32_e32 v2, 0x100, v2
	v_lshlrev_b32_e32 v8, 2, v8
	v_subrev_u32_e32 v10, s31, v20
	v_subrev_u32_e32 v14, s31, v24
	;; [unrolled: 1-line block ×13, first 2 shown]
	v_lshlrev_b32_e32 v11, 2, v11
	s_or_b64 s[22:23], vcc, s[22:23]
	v_lshlrev_b32_e32 v10, 2, v10
	v_lshlrev_b32_e32 v20, 2, v20
	;; [unrolled: 1-line block ×13, first 2 shown]
	s_waitcnt vmcnt(15)
	v_subrev_u32_e32 v1, s17, v1
	s_waitcnt vmcnt(14)
	v_subrev_u32_e32 v7, s17, v7
	ds_write_b32 v9, v1 offset:1536
	ds_write_b32 v8, v7 offset:1536
	s_waitcnt vmcnt(12)
	v_subrev_u32_e32 v7, s17, v16
	s_waitcnt vmcnt(11)
	v_subrev_u32_e32 v8, s17, v19
	;; [unrolled: 2-line block ×8, first 2 shown]
	v_subrev_u32_e32 v1, s17, v15
	v_subrev_u32_e32 v15, s17, v23
	;; [unrolled: 1-line block ×3, first 2 shown]
	s_waitcnt vmcnt(2)
	v_subrev_u32_e32 v29, s17, v37
	s_waitcnt vmcnt(1)
	v_subrev_u32_e32 v31, s17, v39
	;; [unrolled: 2-line block ×3, first 2 shown]
	ds_write_b32 v11, v7 offset:1536
	ds_write_b32 v10, v1 offset:1536
	;; [unrolled: 1-line block ×14, first 2 shown]
	s_andn2_b64 exec, exec, s[22:23]
	s_cbranch_execnz .LBB62_5
; %bb.6:
	s_or_b64 exec, exec, s[22:23]
.LBB62_7:
	s_or_b64 exec, exec, s[20:21]
	v_and_b32_e32 v1, 7, v5
	v_cmp_ne_u32_e32 vcc, 0, v1
	s_and_saveexec_b64 s[20:21], vcc
	s_cbranch_execz .LBB62_10
; %bb.8:
	s_mov_b64 s[22:23], 0
.LBB62_9:                               ; =>This Inner Loop Header: Depth=1
	v_ashrrev_i32_e32 v7, 31, v3
	v_mov_b32_e32 v6, v3
	v_ashrrev_i32_e32 v9, 31, v2
	v_mov_b32_e32 v8, v2
	v_lshl_add_u64 v[6:7], v[6:7], 2, s[14:15]
	v_lshl_add_u64 v[8:9], v[8:9], 2, s[14:15]
	global_load_dword v5, v[6:7], off
	global_load_dword v10, v[8:9], off
	v_add_u32_e32 v1, -1, v1
	v_subrev_u32_e32 v7, s31, v2
	v_cmp_eq_u32_e32 vcc, 0, v1
	v_subrev_u32_e32 v6, s31, v3
	v_add_u32_e32 v3, 32, v3
	v_add_u32_e32 v2, 32, v2
	v_lshlrev_b32_e32 v7, 2, v7
	s_or_b64 s[22:23], vcc, s[22:23]
	v_lshlrev_b32_e32 v6, 2, v6
	s_waitcnt vmcnt(1)
	v_subrev_u32_e32 v5, s17, v5
	s_waitcnt vmcnt(0)
	v_subrev_u32_e32 v8, s17, v10
	ds_write_b32 v7, v8 offset:1536
	ds_write_b32 v6, v5 offset:1536
	s_andn2_b64 exec, exec, s[22:23]
	s_cbranch_execnz .LBB62_9
.LBB62_10:
	s_or_b64 exec, exec, s[20:21]
	v_add_u32_e32 v1, 1, v4
	v_and_b32_e32 v2, 0x1ffffffe, v1
	v_cmp_ne_u32_e32 vcc, v1, v2
	v_lshl_add_u32 v0, v2, 4, v0
	s_orn2_b64 s[20:21], vcc, exec
.LBB62_11:
	s_or_b64 exec, exec, s[18:19]
	s_and_b64 exec, exec, s[20:21]
	s_cbranch_execz .LBB62_14
; %bb.12:
	v_add_u32_e32 v1, s17, v0
	v_subrev_u32_e32 v1, s24, v1
	v_mov_b32_e32 v2, 0x600
	v_lshl_add_u32 v4, v1, 2, v2
	v_ashrrev_i32_e32 v1, 31, v0
	v_lshl_add_u64 v[2:3], v[0:1], 2, s[14:15]
	s_mov_b64 s[18:19], 0
.LBB62_13:                              ; =>This Inner Loop Header: Depth=1
	global_load_dword v1, v[2:3], off
	v_add_u32_e32 v0, 16, v0
	v_cmp_lt_i32_e32 vcc, s30, v0
	v_lshl_add_u64 v[2:3], v[2:3], 0, 64
	s_or_b64 s[18:19], vcc, s[18:19]
	s_waitcnt vmcnt(0)
	v_subrev_u32_e32 v1, s17, v1
	ds_write_b32 v4, v1
	v_add_u32_e32 v4, 64, v4
	s_andn2_b64 exec, exec, s[18:19]
	s_cbranch_execnz .LBB62_13
.LBB62_14:
	s_or_b64 exec, exec, s[2:3]
	s_load_dwordx2 s[18:19], s[0:1], 0x20
	s_movk_i32 s2, 0x50
	v_mov_b32_e32 v0, 0x3c0
	v_mad_u32_u24 v16, v13, s2, v0
	v_mov_b32_e32 v0, 0
	v_lshl_add_u32 v14, v12, 4, v16
	v_mov_b32_e32 v1, v0
	v_mov_b32_e32 v2, v0
	;; [unrolled: 1-line block ×3, first 2 shown]
	s_cmp_lt_i32 s31, s30
	ds_write_b128 v14, v[0:3]
	s_waitcnt lgkmcnt(0)
	s_cbranch_scc1 .LBB62_18
; %bb.15:
	v_lshl_add_u32 v19, v12, 2, v13
	v_or_b32_e32 v15, v12, v13
	s_load_dword s33, s[0:1], 0x0
	s_cbranch_execz .LBB62_19
	s_branch .LBB62_61
.LBB62_16:
	s_cbranch_execnz .LBB62_116
.LBB62_17:
	s_endpgm
.LBB62_18:
                                        ; implicit-def: $vgpr19
                                        ; implicit-def: $vgpr15
	s_load_dword s33, s[0:1], 0x0
.LBB62_19:
	s_waitcnt lgkmcnt(0)
	s_cmp_lg_u32 s33, 0
	s_cselect_b64 s[20:21], -1, 0
	s_cmp_eq_u32 s33, 0
	v_lshlrev_b32_e32 v20, 2, v12
	s_movk_i32 s0, 0x50
	v_mov_b32_e32 v0, 0x280
	v_mov_b32_e32 v2, 0x140
	v_add_u32_e32 v19, v20, v13
	v_mad_u32_u24 v21, v13, s0, v0
	v_lshlrev_b32_e32 v1, 4, v12
	v_mad_u32_u24 v24, v13, s0, v2
	v_or_b32_e32 v15, v12, v13
	s_cselect_b64 vcc, -1, 0
	v_add_u32_e32 v22, v21, v1
	v_mad_u32_u24 v23, v13, s0, v1
	v_add_u32_e32 v25, v24, v1
	v_mad_u32_u24 v26, v12, s0, v0
	v_cmp_ne_u32_e64 s[0:1], 0, v15
	v_cndmask_b32_e32 v27, v19, v17, vcc
	v_mov_b32_e32 v28, 0
	v_mov_b32_e32 v29, 0x3ff00000
	s_mov_b32 s22, s31
	s_branch .LBB62_22
.LBB62_20:                              ;   in Loop: Header=BB62_22 Depth=1
	s_or_b64 exec, exec, s[24:25]
	v_mov_b64_e32 v[8:9], 0
	v_mov_b64_e32 v[6:7], 1.0
.LBB62_21:                              ;   in Loop: Header=BB62_22 Depth=1
	s_or_b64 exec, exec, s[2:3]
	ds_read_b128 v[30:33], v21
	ds_read_b128 v[34:37], v24 offset:48
	ds_read_b128 v[38:41], v28 offset:240
	;; [unrolled: 1-line block ×6, first 2 shown]
	s_waitcnt lgkmcnt(4)
	v_fmac_f64_e32 v[36:37], v[40:41], v[30:31]
	v_fmac_f64_e32 v[34:35], v[38:39], v[30:31]
	v_mul_f64 v[30:31], v[8:9], v[8:9]
	v_fmac_f64_e32 v[30:31], v[6:7], v[6:7]
	v_fma_f64 v[10:11], v[38:39], -v[32:33], v[36:37]
	v_fmac_f64_e32 v[34:35], v[40:41], v[32:33]
	v_div_scale_f64 v[32:33], s[2:3], v[30:31], v[30:31], 1.0
	s_waitcnt lgkmcnt(2)
	v_fmac_f64_e32 v[34:35], v[42:43], v[46:47]
	v_rcp_f64_e32 v[36:37], v[32:33]
	v_fmac_f64_e32 v[34:35], v[44:45], v[48:49]
	s_waitcnt lgkmcnt(0)
	v_fmac_f64_e32 v[34:35], v[54:55], v[50:51]
	v_fmac_f64_e32 v[34:35], v[56:57], v[52:53]
	;; [unrolled: 1-line block ×3, first 2 shown]
	v_add_f64 v[34:35], v[0:1], -v[34:35]
	v_fma_f64 v[0:1], -v[32:33], v[36:37], 1.0
	v_fma_f64 v[10:11], v[42:43], -v[48:49], v[10:11]
	v_fmac_f64_e32 v[36:37], v[36:37], v[0:1]
	v_fmac_f64_e32 v[10:11], v[56:57], v[50:51]
	v_fma_f64 v[0:1], -v[32:33], v[36:37], 1.0
	v_fma_f64 v[10:11], v[54:55], -v[52:53], v[10:11]
	v_fmac_f64_e32 v[36:37], v[36:37], v[0:1]
	v_div_scale_f64 v[0:1], vcc, 1.0, v[30:31], 1.0
	v_add_f64 v[2:3], v[2:3], -v[10:11]
	v_mul_f64 v[10:11], v[0:1], v[36:37]
	v_fma_f64 v[0:1], -v[32:33], v[10:11], v[0:1]
	s_nop 0
	v_div_fmas_f64 v[0:1], v[0:1], v[36:37], v[10:11]
	v_div_fixup_f64 v[10:11], v[0:1], v[30:31], 1.0
	v_mul_f64 v[0:1], v[8:9], v[2:3]
	v_mul_f64 v[8:9], v[8:9], -v[34:35]
	v_fmac_f64_e32 v[0:1], v[34:35], v[6:7]
	v_fmac_f64_e32 v[8:9], v[2:3], v[6:7]
	v_mul_f64 v[0:1], v[10:11], v[0:1]
	v_mul_f64 v[2:3], v[10:11], v[8:9]
	ds_write_b128 v21, v[0:3] offset:48
	s_waitcnt lgkmcnt(0)
	ds_read_b128 v[6:9], v26 offset:48
	ds_read_b128 v[30:33], v14
	s_add_i32 s22, s22, 1
	s_cmp_ge_i32 s22, s30
	s_cselect_b64 s[2:3], -1, 0
	s_waitcnt lgkmcnt(0)
	v_fmac_f64_e32 v[30:31], v[0:1], v[6:7]
	v_fmac_f64_e32 v[32:33], v[2:3], v[6:7]
	;; [unrolled: 1-line block ×3, first 2 shown]
	v_fma_f64 v[32:33], v[0:1], -v[8:9], v[32:33]
	ds_write_b128 v14, v[30:33]
	s_waitcnt lgkmcnt(0)
	ds_read2_b64 v[0:3], v22 offset1:1
	s_waitcnt lgkmcnt(0)
	global_store_dwordx4 v[4:5], v[0:3], off
	buffer_wbl2 sc1
	s_waitcnt vmcnt(0)
	buffer_inv sc1
	s_and_b64 vcc, exec, s[2:3]
	s_cbranch_vccnz .LBB62_61
.LBB62_22:                              ; =>This Loop Header: Depth=1
                                        ;     Child Loop BB62_25 Depth 2
                                        ;     Child Loop BB62_36 Depth 2
	;; [unrolled: 1-line block ×3, first 2 shown]
	s_ashr_i32 s23, s22, 31
	s_lshl_b64 s[2:3], s[22:23], 2
	s_add_u32 s2, s14, s2
	s_addc_u32 s3, s15, s3
	s_load_dword s23, s[2:3], 0x0
	s_waitcnt lgkmcnt(0)
	s_sub_i32 s24, s23, s17
	s_ashr_i32 s25, s24, 31
	s_lshl_b64 s[2:3], s[24:25], 2
	s_add_u32 s26, s4, s2
	s_addc_u32 s27, s5, s3
	s_load_dword s25, s[26:27], 0x0
	s_waitcnt lgkmcnt(0)
	s_cmp_eq_u32 s25, -1
	s_cbranch_scc1 .LBB62_60
; %bb.23:                               ;   in Loop: Header=BB62_22 Depth=1
	v_lshl_add_u32 v0, s22, 4, v27
	v_ashrrev_i32_e32 v1, 31, v0
	v_lshl_add_u64 v[4:5], v[0:1], 4, s[18:19]
	global_load_dwordx4 v[0:3], v[4:5], off
	s_add_u32 s26, s12, s2
	s_addc_u32 s27, s13, s3
	s_load_dword s26, s[26:27], 0x0
	ds_read_b32 v6, v28 offset:1536
	s_mov_b32 s27, 0
	s_waitcnt lgkmcnt(0)
	s_sub_i32 s26, s26, s17
	s_cmp_le_i32 s26, s25
	v_cmp_ge_i32_e32 vcc, s24, v6
	s_cselect_b64 s[28:29], -1, 0
	s_and_b64 s[28:29], s[28:29], vcc
	s_andn2_b64 vcc, exec, s[28:29]
	s_waitcnt vmcnt(0)
	ds_write2_b64 v22, v[0:1], v[2:3] offset1:1
	s_cbranch_vccnz .LBB62_35
; %bb.24:                               ;   in Loop: Header=BB62_22 Depth=1
	s_mov_b32 s34, 0
	s_mov_b32 s35, 0
.LBB62_25:                              ;   Parent Loop BB62_22 Depth=1
                                        ; =>  This Inner Loop Header: Depth=2
	s_ashr_i32 s27, s26, 31
	s_lshl_b64 s[28:29], s[26:27], 2
	s_add_u32 s28, s14, s28
	s_addc_u32 s29, s15, s29
	s_load_dword s27, s[28:29], 0x0
	s_lshl_b32 s28, s35, 2
	v_mov_b32_e32 v0, s28
	ds_read_b32 v0, v0 offset:1536
	s_mov_b64 s[28:29], -1
	s_waitcnt lgkmcnt(0)
	s_sub_i32 s39, s27, s17
                                        ; implicit-def: $sgpr27
                                        ; implicit-def: $sgpr38
                                        ; implicit-def: $sgpr37
	v_cmp_ge_i32_e32 vcc, s39, v0
	v_readfirstlane_b32 s36, v0
	s_cbranch_vccz .LBB62_31
; %bb.26:                               ;   in Loop: Header=BB62_25 Depth=2
	s_cmp_le_i32 s39, s36
                                        ; implicit-def: $sgpr27
                                        ; implicit-def: $sgpr38
                                        ; implicit-def: $sgpr37
	s_cbranch_scc0 .LBB62_28
; %bb.27:                               ;   in Loop: Header=BB62_25 Depth=2
	s_add_i32 s27, s35, s31
	s_lshl_b32 s27, s27, 4
	s_lshl_b32 s28, s34, 2
	v_mov_b32_e32 v0, s28
	v_mov_b32_e32 v1, s27
	s_lshl_b32 s27, s26, 4
	v_mov_b32_e32 v2, s27
	v_add_u32_e32 v0, 0x400, v0
	ds_write2_b32 v0, v2, v1 offset0:64 offset1:96
	s_add_i32 s37, s35, 1
	s_add_i32 s38, s26, 1
	;; [unrolled: 1-line block ×3, first 2 shown]
	s_mov_b64 s[28:29], 0
.LBB62_28:                              ;   in Loop: Header=BB62_25 Depth=2
	s_andn2_b64 vcc, exec, s[28:29]
	s_cbranch_vccnz .LBB62_30
; %bb.29:                               ;   in Loop: Header=BB62_25 Depth=2
	s_add_i32 s37, s35, 1
	s_mov_b32 s27, s34
	s_mov_b32 s38, s26
.LBB62_30:                              ;   in Loop: Header=BB62_25 Depth=2
	s_mov_b64 s[28:29], 0
.LBB62_31:                              ;   in Loop: Header=BB62_25 Depth=2
	s_andn2_b64 vcc, exec, s[28:29]
	s_cbranch_vccnz .LBB62_33
; %bb.32:                               ;   in Loop: Header=BB62_25 Depth=2
	s_add_i32 s38, s26, 1
	s_mov_b32 s37, s35
	s_mov_b32 s27, s34
.LBB62_33:                              ;   in Loop: Header=BB62_25 Depth=2
	s_cmp_le_i32 s38, s25
	s_cselect_b64 s[28:29], -1, 0
	s_cmp_le_i32 s36, s24
	s_cselect_b64 s[34:35], -1, 0
	s_and_b64 s[28:29], s[28:29], s[34:35]
	s_and_b64 vcc, exec, s[28:29]
	s_cbranch_vccz .LBB62_35
; %bb.34:                               ;   in Loop: Header=BB62_25 Depth=2
	s_mov_b32 s34, s27
	s_mov_b32 s26, s38
	;; [unrolled: 1-line block ×3, first 2 shown]
	s_branch .LBB62_25
.LBB62_35:                              ;   in Loop: Header=BB62_22 Depth=1
	s_add_u32 s2, s6, s2
	s_addc_u32 s3, s7, s3
	s_waitcnt lgkmcnt(0)
.LBB62_36:                              ;   Parent Loop BB62_22 Depth=1
                                        ; =>  This Inner Loop Header: Depth=2
	global_load_dword v0, v28, s[2:3] sc1
	s_waitcnt vmcnt(0)
	v_cmp_eq_u32_e32 vcc, 0, v0
	s_cbranch_vccnz .LBB62_36
; %bb.37:                               ;   in Loop: Header=BB62_22 Depth=1
	v_lshl_add_u32 v0, s25, 4, v27
	v_ashrrev_i32_e32 v1, 31, v0
	v_lshl_add_u64 v[0:1], v[0:1], 4, s[18:19]
	buffer_inv sc1
	global_load_dwordx4 v[6:9], v[0:1], off
	v_mov_b64_e32 v[2:3], 0
	s_cmp_lt_i32 s27, 2
	v_mov_b64_e32 v[0:1], 0
	s_waitcnt vmcnt(0)
	ds_write2_b64 v23, v[6:7], v[8:9] offset1:1
	s_waitcnt lgkmcnt(0)
	s_cbranch_scc1 .LBB62_45
; %bb.38:                               ;   in Loop: Header=BB62_22 Depth=1
	s_add_i32 s24, s27, -1
	v_mov_b64_e32 v[8:9], 0
	s_movk_i32 s25, 0x500
	v_mov_b64_e32 v[6:7], 0
.LBB62_39:                              ;   Parent Loop BB62_22 Depth=1
                                        ; =>  This Inner Loop Header: Depth=2
	v_mov_b32_e32 v0, s25
	s_waitcnt lgkmcnt(0)
	ds_read2_b32 v[10:11], v0 offset1:32
	s_mov_b64 s[2:3], -1
	s_and_b64 vcc, exec, s[20:21]
                                        ; implicit-def: $vgpr2_vgpr3
	s_cbranch_vccz .LBB62_42
; %bb.40:                               ;   in Loop: Header=BB62_39 Depth=2
	s_waitcnt lgkmcnt(0)
	v_add_u32_e32 v0, v10, v12
	v_ashrrev_i32_e32 v1, 31, v0
	v_add_u32_e32 v54, v11, v13
	v_lshl_add_u64 v[2:3], v[0:1], 4, s[18:19]
	v_ashrrev_i32_e32 v55, 31, v54
	v_lshl_add_u64 v[38:39], v[54:55], 4, s[18:19]
	global_load_dwordx4 v[30:33], v[2:3], off
	global_load_dwordx4 v[34:37], v[38:39], off
	v_add_u32_e32 v2, 4, v0
	v_ashrrev_i32_e32 v3, 31, v2
	v_add_u32_e32 v38, 4, v54
	v_lshl_add_u64 v[2:3], v[2:3], 4, s[18:19]
	v_ashrrev_i32_e32 v39, 31, v38
	v_lshl_add_u64 v[46:47], v[38:39], 4, s[18:19]
	global_load_dwordx4 v[38:41], v[2:3], off
	global_load_dwordx4 v[42:45], v[46:47], off
	v_add_u32_e32 v2, 8, v0
	v_ashrrev_i32_e32 v3, 31, v2
	v_add_u32_e32 v46, 8, v54
	v_lshl_add_u64 v[2:3], v[2:3], 4, s[18:19]
	v_ashrrev_i32_e32 v47, 31, v46
	v_add_u32_e32 v0, 12, v0
	v_lshl_add_u64 v[56:57], v[46:47], 4, s[18:19]
	global_load_dwordx4 v[46:49], v[2:3], off
	global_load_dwordx4 v[50:53], v[56:57], off
	v_ashrrev_i32_e32 v1, 31, v0
	v_add_u32_e32 v2, 12, v54
	v_lshl_add_u64 v[0:1], v[0:1], 4, s[18:19]
	v_ashrrev_i32_e32 v3, 31, v2
	v_lshl_add_u64 v[2:3], v[2:3], 4, s[18:19]
	global_load_dwordx4 v[54:57], v[0:1], off
	global_load_dwordx4 v[58:61], v[2:3], off
	s_waitcnt vmcnt(6)
	v_fma_f64 v[0:1], v[30:31], v[34:35], v[6:7]
	v_fma_f64 v[2:3], v[32:33], v[34:35], v[8:9]
	v_fmac_f64_e32 v[0:1], v[32:33], v[36:37]
	v_fma_f64 v[2:3], v[30:31], -v[36:37], v[2:3]
	s_waitcnt vmcnt(4)
	v_fmac_f64_e32 v[0:1], v[38:39], v[42:43]
	v_fmac_f64_e32 v[2:3], v[40:41], v[42:43]
	v_fmac_f64_e32 v[0:1], v[40:41], v[44:45]
	v_fma_f64 v[2:3], v[38:39], -v[44:45], v[2:3]
	s_waitcnt vmcnt(2)
	v_fmac_f64_e32 v[0:1], v[46:47], v[50:51]
	v_fmac_f64_e32 v[2:3], v[48:49], v[50:51]
	;; [unrolled: 5-line block ×3, first 2 shown]
	v_fmac_f64_e32 v[0:1], v[56:57], v[60:61]
	v_fma_f64 v[2:3], v[54:55], -v[60:61], v[2:3]
	s_cbranch_execz .LBB62_43
.LBB62_41:                              ;   in Loop: Header=BB62_39 Depth=2
	s_add_i32 s24, s24, -1
	s_add_i32 s25, s25, 4
	s_cmp_eq_u32 s24, 0
	s_cbranch_scc0 .LBB62_44
	s_branch .LBB62_45
.LBB62_42:                              ;   in Loop: Header=BB62_39 Depth=2
	s_andn2_b64 vcc, exec, s[2:3]
	s_cbranch_vccnz .LBB62_41
.LBB62_43:                              ;   in Loop: Header=BB62_39 Depth=2
	s_waitcnt lgkmcnt(0)
	v_add_u32_e32 v0, v10, v20
	v_ashrrev_i32_e32 v1, 31, v0
	v_lshl_add_u64 v[58:59], v[0:1], 4, s[18:19]
	v_add_u32_e32 v0, v11, v18
	v_ashrrev_i32_e32 v1, 31, v0
	v_lshl_add_u64 v[10:11], v[0:1], 4, s[18:19]
	global_load_dwordx4 v[0:3], v[10:11], off
	global_load_dwordx4 v[30:33], v[58:59], off
	global_load_dwordx4 v[34:37], v[58:59], off offset:16
	global_load_dwordx4 v[38:41], v[10:11], off offset:16
	global_load_dwordx4 v[42:45], v[10:11], off offset:32
	global_load_dwordx4 v[46:49], v[58:59], off offset:32
	global_load_dwordx4 v[50:53], v[58:59], off offset:48
	global_load_dwordx4 v[54:57], v[10:11], off offset:48
	s_waitcnt vmcnt(6)
	v_fmac_f64_e32 v[6:7], v[30:31], v[0:1]
	v_fmac_f64_e32 v[8:9], v[32:33], v[0:1]
	v_fmac_f64_e32 v[6:7], v[32:33], v[2:3]
	v_fma_f64 v[0:1], v[30:31], -v[2:3], v[8:9]
	s_waitcnt vmcnt(4)
	v_fmac_f64_e32 v[6:7], v[34:35], v[38:39]
	v_fmac_f64_e32 v[0:1], v[36:37], v[38:39]
	v_fmac_f64_e32 v[6:7], v[36:37], v[40:41]
	v_fma_f64 v[0:1], v[34:35], -v[40:41], v[0:1]
	;; [unrolled: 5-line block ×4, first 2 shown]
	v_mov_b64_e32 v[0:1], v[6:7]
	s_add_i32 s24, s24, -1
	s_add_i32 s25, s25, 4
	s_cmp_eq_u32 s24, 0
	s_cbranch_scc1 .LBB62_45
.LBB62_44:                              ;   in Loop: Header=BB62_39 Depth=2
	v_mov_b64_e32 v[8:9], v[2:3]
	v_mov_b64_e32 v[6:7], v[0:1]
	s_branch .LBB62_39
.LBB62_45:                              ;   in Loop: Header=BB62_22 Depth=1
	ds_write_b128 v25, v[0:3]
	s_waitcnt lgkmcnt(0)
	ds_read_b128 v[6:9], v28
	ds_read_b128 v[0:3], v21
	s_waitcnt lgkmcnt(1)
	v_cmp_neq_f64_e32 vcc, 0, v[6:7]
	v_cmp_neq_f64_e64 s[2:3], 0, v[8:9]
	s_or_b64 vcc, vcc, s[2:3]
	v_cndmask_b32_e32 v7, v29, v7, vcc
	s_nor_b64 s[24:25], vcc, s[0:1]
	v_cndmask_b32_e32 v6, 0, v6, vcc
	v_cndmask_b32_e32 v9, 0, v9, vcc
	;; [unrolled: 1-line block ×3, first 2 shown]
	s_and_saveexec_b64 s[2:3], s[24:25]
	s_cbranch_execz .LBB62_49
; %bb.46:                               ;   in Loop: Header=BB62_22 Depth=1
	v_mbcnt_lo_u32_b32 v6, exec_lo, 0
	v_mbcnt_hi_u32_b32 v6, exec_hi, v6
	v_cmp_eq_u32_e32 vcc, 0, v6
	s_and_saveexec_b64 s[24:25], vcc
	s_cbranch_execz .LBB62_48
; %bb.47:                               ;   in Loop: Header=BB62_22 Depth=1
	v_mov_b32_e32 v6, s23
	global_atomic_smin v28, v6, s[10:11]
.LBB62_48:                              ;   in Loop: Header=BB62_22 Depth=1
	s_or_b64 exec, exec, s[24:25]
	v_mov_b64_e32 v[8:9], 0
	v_mov_b64_e32 v[6:7], 1.0
.LBB62_49:                              ;   in Loop: Header=BB62_22 Depth=1
	s_or_b64 exec, exec, s[2:3]
	v_mul_f64 v[10:11], v[8:9], v[8:9]
	v_fmac_f64_e32 v[10:11], v[6:7], v[6:7]
	ds_read_b128 v[30:33], v24
	v_div_scale_f64 v[34:35], s[2:3], v[10:11], v[10:11], 1.0
	v_rcp_f64_e32 v[36:37], v[34:35]
	s_waitcnt lgkmcnt(0)
	v_add_f64 v[30:31], v[0:1], -v[30:31]
	v_add_f64 v[2:3], v[2:3], -v[32:33]
	v_fma_f64 v[0:1], -v[34:35], v[36:37], 1.0
	v_fmac_f64_e32 v[36:37], v[36:37], v[0:1]
	v_fma_f64 v[0:1], -v[34:35], v[36:37], 1.0
	v_fmac_f64_e32 v[36:37], v[36:37], v[0:1]
	v_div_scale_f64 v[0:1], vcc, 1.0, v[10:11], 1.0
	v_mul_f64 v[32:33], v[0:1], v[36:37]
	v_fma_f64 v[0:1], -v[34:35], v[32:33], v[0:1]
	s_nop 1
	v_div_fmas_f64 v[0:1], v[0:1], v[36:37], v[32:33]
	v_div_fixup_f64 v[10:11], v[0:1], v[10:11], 1.0
	v_mul_f64 v[0:1], v[8:9], v[2:3]
	v_mul_f64 v[8:9], v[8:9], -v[30:31]
	v_fmac_f64_e32 v[0:1], v[30:31], v[6:7]
	v_fmac_f64_e32 v[8:9], v[2:3], v[6:7]
	v_mul_f64 v[0:1], v[10:11], v[0:1]
	v_mul_f64 v[2:3], v[10:11], v[8:9]
	ds_write_b128 v21, v[0:3]
	s_waitcnt lgkmcnt(0)
	ds_read_b128 v[6:9], v26
	ds_read_b128 v[30:33], v14
	s_waitcnt lgkmcnt(0)
	v_fmac_f64_e32 v[30:31], v[0:1], v[6:7]
	v_fmac_f64_e32 v[32:33], v[2:3], v[6:7]
	;; [unrolled: 1-line block ×3, first 2 shown]
	v_fma_f64 v[32:33], v[0:1], -v[8:9], v[32:33]
	ds_write_b128 v14, v[30:33]
	s_waitcnt lgkmcnt(0)
	ds_read_b128 v[6:9], v28 offset:96
	ds_read_b128 v[0:3], v21 offset:16
	s_waitcnt lgkmcnt(1)
	v_cmp_neq_f64_e32 vcc, 0, v[6:7]
	v_cmp_neq_f64_e64 s[2:3], 0, v[8:9]
	s_or_b64 vcc, vcc, s[2:3]
	v_cndmask_b32_e32 v7, v29, v7, vcc
	s_nor_b64 s[24:25], vcc, s[0:1]
	v_cndmask_b32_e32 v6, 0, v6, vcc
	v_cndmask_b32_e32 v9, 0, v9, vcc
	;; [unrolled: 1-line block ×3, first 2 shown]
	s_and_saveexec_b64 s[2:3], s[24:25]
	s_cbranch_execz .LBB62_53
; %bb.50:                               ;   in Loop: Header=BB62_22 Depth=1
	v_mbcnt_lo_u32_b32 v6, exec_lo, 0
	v_mbcnt_hi_u32_b32 v6, exec_hi, v6
	v_cmp_eq_u32_e32 vcc, 0, v6
	s_and_saveexec_b64 s[24:25], vcc
	s_cbranch_execz .LBB62_52
; %bb.51:                               ;   in Loop: Header=BB62_22 Depth=1
	v_mov_b32_e32 v6, s23
	global_atomic_smin v28, v6, s[10:11]
.LBB62_52:                              ;   in Loop: Header=BB62_22 Depth=1
	s_or_b64 exec, exec, s[24:25]
	v_mov_b64_e32 v[8:9], 0
	v_mov_b64_e32 v[6:7], 1.0
.LBB62_53:                              ;   in Loop: Header=BB62_22 Depth=1
	s_or_b64 exec, exec, s[2:3]
	ds_read_b128 v[30:33], v28 offset:80
	ds_read_b128 v[34:37], v21
	ds_read_b128 v[38:41], v24 offset:16
	v_mul_f64 v[10:11], v[8:9], v[8:9]
	v_fmac_f64_e32 v[10:11], v[6:7], v[6:7]
	s_waitcnt lgkmcnt(0)
	v_fmac_f64_e32 v[40:41], v[32:33], v[34:35]
	v_fmac_f64_e32 v[38:39], v[30:31], v[34:35]
	v_div_scale_f64 v[34:35], s[2:3], v[10:11], v[10:11], 1.0
	v_fma_f64 v[30:31], v[30:31], -v[36:37], v[40:41]
	v_rcp_f64_e32 v[40:41], v[34:35]
	v_fmac_f64_e32 v[38:39], v[32:33], v[36:37]
	v_add_f64 v[32:33], v[0:1], -v[38:39]
	v_add_f64 v[2:3], v[2:3], -v[30:31]
	v_fma_f64 v[0:1], -v[34:35], v[40:41], 1.0
	v_fmac_f64_e32 v[40:41], v[40:41], v[0:1]
	v_fma_f64 v[0:1], -v[34:35], v[40:41], 1.0
	v_fmac_f64_e32 v[40:41], v[40:41], v[0:1]
	v_div_scale_f64 v[0:1], vcc, 1.0, v[10:11], 1.0
	v_mul_f64 v[30:31], v[0:1], v[40:41]
	v_fma_f64 v[0:1], -v[34:35], v[30:31], v[0:1]
	s_nop 1
	v_div_fmas_f64 v[0:1], v[0:1], v[40:41], v[30:31]
	v_div_fixup_f64 v[10:11], v[0:1], v[10:11], 1.0
	v_mul_f64 v[0:1], v[8:9], v[2:3]
	v_mul_f64 v[8:9], v[8:9], -v[32:33]
	v_fmac_f64_e32 v[0:1], v[32:33], v[6:7]
	v_fmac_f64_e32 v[8:9], v[2:3], v[6:7]
	v_mul_f64 v[0:1], v[10:11], v[0:1]
	v_mul_f64 v[2:3], v[10:11], v[8:9]
	ds_write_b128 v21, v[0:3] offset:16
	s_waitcnt lgkmcnt(0)
	ds_read_b128 v[6:9], v26 offset:16
	ds_read_b128 v[30:33], v14
	s_waitcnt lgkmcnt(0)
	v_fmac_f64_e32 v[30:31], v[0:1], v[6:7]
	v_fmac_f64_e32 v[32:33], v[2:3], v[6:7]
	;; [unrolled: 1-line block ×3, first 2 shown]
	v_fma_f64 v[32:33], v[0:1], -v[8:9], v[32:33]
	ds_write_b128 v14, v[30:33]
	s_waitcnt lgkmcnt(0)
	ds_read_b128 v[6:9], v28 offset:192
	ds_read_b128 v[0:3], v21 offset:32
	s_waitcnt lgkmcnt(1)
	v_cmp_neq_f64_e32 vcc, 0, v[6:7]
	v_cmp_neq_f64_e64 s[2:3], 0, v[8:9]
	s_or_b64 vcc, vcc, s[2:3]
	v_cndmask_b32_e32 v7, v29, v7, vcc
	s_nor_b64 s[24:25], vcc, s[0:1]
	v_cndmask_b32_e32 v6, 0, v6, vcc
	v_cndmask_b32_e32 v9, 0, v9, vcc
	;; [unrolled: 1-line block ×3, first 2 shown]
	s_and_saveexec_b64 s[2:3], s[24:25]
	s_cbranch_execz .LBB62_57
; %bb.54:                               ;   in Loop: Header=BB62_22 Depth=1
	v_mbcnt_lo_u32_b32 v6, exec_lo, 0
	v_mbcnt_hi_u32_b32 v6, exec_hi, v6
	v_cmp_eq_u32_e32 vcc, 0, v6
	s_and_saveexec_b64 s[24:25], vcc
	s_cbranch_execz .LBB62_56
; %bb.55:                               ;   in Loop: Header=BB62_22 Depth=1
	v_mov_b32_e32 v6, s23
	global_atomic_smin v28, v6, s[10:11]
.LBB62_56:                              ;   in Loop: Header=BB62_22 Depth=1
	s_or_b64 exec, exec, s[24:25]
	v_mov_b64_e32 v[8:9], 0
	v_mov_b64_e32 v[6:7], 1.0
.LBB62_57:                              ;   in Loop: Header=BB62_22 Depth=1
	s_or_b64 exec, exec, s[2:3]
	ds_read_b128 v[30:33], v21
	ds_read_b128 v[34:37], v28 offset:160
	ds_read_b128 v[38:41], v24 offset:32
	;; [unrolled: 1-line block ×4, first 2 shown]
	s_waitcnt lgkmcnt(2)
	v_fmac_f64_e32 v[40:41], v[36:37], v[30:31]
	v_fmac_f64_e32 v[38:39], v[34:35], v[30:31]
	v_mul_f64 v[30:31], v[8:9], v[8:9]
	v_fmac_f64_e32 v[30:31], v[6:7], v[6:7]
	v_fma_f64 v[10:11], v[34:35], -v[32:33], v[40:41]
	v_fmac_f64_e32 v[38:39], v[36:37], v[32:33]
	v_div_scale_f64 v[32:33], s[2:3], v[30:31], v[30:31], 1.0
	v_rcp_f64_e32 v[34:35], v[32:33]
	s_waitcnt lgkmcnt(0)
	v_fmac_f64_e32 v[38:39], v[42:43], v[46:47]
	v_fmac_f64_e32 v[38:39], v[44:45], v[48:49]
	v_add_f64 v[36:37], v[0:1], -v[38:39]
	v_fma_f64 v[0:1], -v[32:33], v[34:35], 1.0
	v_fmac_f64_e32 v[34:35], v[34:35], v[0:1]
	v_fmac_f64_e32 v[10:11], v[44:45], v[46:47]
	v_fma_f64 v[0:1], -v[32:33], v[34:35], 1.0
	v_fma_f64 v[10:11], v[42:43], -v[48:49], v[10:11]
	v_fmac_f64_e32 v[34:35], v[34:35], v[0:1]
	v_div_scale_f64 v[0:1], vcc, 1.0, v[30:31], 1.0
	v_add_f64 v[2:3], v[2:3], -v[10:11]
	v_mul_f64 v[10:11], v[0:1], v[34:35]
	v_fma_f64 v[0:1], -v[32:33], v[10:11], v[0:1]
	s_nop 0
	v_div_fmas_f64 v[0:1], v[0:1], v[34:35], v[10:11]
	v_div_fixup_f64 v[10:11], v[0:1], v[30:31], 1.0
	v_mul_f64 v[0:1], v[8:9], v[2:3]
	v_mul_f64 v[8:9], v[8:9], -v[36:37]
	v_fmac_f64_e32 v[0:1], v[36:37], v[6:7]
	v_fmac_f64_e32 v[8:9], v[2:3], v[6:7]
	v_mul_f64 v[0:1], v[10:11], v[0:1]
	v_mul_f64 v[2:3], v[10:11], v[8:9]
	ds_write_b128 v21, v[0:3] offset:32
	s_waitcnt lgkmcnt(0)
	ds_read_b128 v[6:9], v26 offset:32
	ds_read_b128 v[30:33], v14
	s_waitcnt lgkmcnt(0)
	v_fmac_f64_e32 v[30:31], v[0:1], v[6:7]
	v_fmac_f64_e32 v[32:33], v[2:3], v[6:7]
	;; [unrolled: 1-line block ×3, first 2 shown]
	v_fma_f64 v[32:33], v[0:1], -v[8:9], v[32:33]
	ds_write_b128 v14, v[30:33]
	s_waitcnt lgkmcnt(0)
	ds_read_b128 v[6:9], v28 offset:288
	ds_read_b128 v[0:3], v21 offset:48
	s_waitcnt lgkmcnt(1)
	v_cmp_neq_f64_e32 vcc, 0, v[6:7]
	v_cmp_neq_f64_e64 s[2:3], 0, v[8:9]
	s_or_b64 vcc, vcc, s[2:3]
	v_cndmask_b32_e32 v7, v29, v7, vcc
	s_nor_b64 s[24:25], vcc, s[0:1]
	v_cndmask_b32_e32 v6, 0, v6, vcc
	v_cndmask_b32_e32 v9, 0, v9, vcc
	;; [unrolled: 1-line block ×3, first 2 shown]
	s_and_saveexec_b64 s[2:3], s[24:25]
	s_cbranch_execz .LBB62_21
; %bb.58:                               ;   in Loop: Header=BB62_22 Depth=1
	v_mbcnt_lo_u32_b32 v6, exec_lo, 0
	v_mbcnt_hi_u32_b32 v6, exec_hi, v6
	v_cmp_eq_u32_e32 vcc, 0, v6
	s_and_saveexec_b64 s[24:25], vcc
	s_cbranch_execz .LBB62_20
; %bb.59:                               ;   in Loop: Header=BB62_22 Depth=1
	v_mov_b32_e32 v6, s23
	global_atomic_smin v28, v6, s[10:11]
	s_branch .LBB62_20
.LBB62_60:                              ;   in Loop: Header=BB62_22 Depth=1
                                        ; implicit-def: $sgpr22
	s_cbranch_execz .LBB62_22
.LBB62_61:
	s_waitcnt lgkmcnt(0)
	s_cmp_eq_u32 s33, 0
	s_cselect_b64 vcc, -1, 0
	v_cndmask_b32_e32 v0, v19, v17, vcc
	v_lshl_add_u32 v0, s30, 4, v0
	v_ashrrev_i32_e32 v1, 31, v0
	v_lshl_add_u64 v[0:1], v[0:1], 4, s[18:19]
	global_load_dwordx4 v[2:5], v[0:1], off
	s_movk_i32 s0, 0x50
	v_mov_b32_e32 v6, 0x280
	v_mad_u32_u24 v9, v13, s0, v6
	v_cmp_ne_u32_e64 s[2:3], 0, v13
	v_lshl_add_u32 v8, v12, 4, v9
	v_cmp_eq_u32_e32 vcc, 0, v13
	s_waitcnt vmcnt(0)
	ds_write2_b64 v8, v[2:3], v[4:5] offset1:1
	s_waitcnt lgkmcnt(0)
	s_and_saveexec_b64 s[0:1], vcc
	s_cbranch_execz .LBB62_68
; %bb.62:
	v_mov_b32_e32 v6, 0
	ds_read_b128 v[2:5], v6 offset:960
	ds_read_b128 v[18:21], v6 offset:640
	s_waitcnt lgkmcnt(0)
	v_add_f64 v[2:3], v[18:19], -v[2:3]
	v_add_f64 v[6:7], v[20:21], -v[4:5]
	v_xor_b32_e32 v4, 0x80000000, v3
	v_cmp_gt_f64_e32 vcc, 0, v[2:3]
	v_xor_b32_e32 v5, 0x80000000, v7
	s_nop 0
	v_cndmask_b32_e32 v3, v3, v4, vcc
	v_cmp_gt_f64_e32 vcc, 0, v[6:7]
	v_mov_b32_e32 v4, v6
	s_nop 0
	v_cndmask_b32_e32 v5, v7, v5, vcc
	v_cmp_ngt_f64_e32 vcc, v[2:3], v[4:5]
	s_cbranch_vccz .LBB62_65
; %bb.63:
	v_cmp_eq_f64_e32 vcc, 0, v[6:7]
	s_mov_b64 s[4:5], 0
	s_cbranch_vccnz .LBB62_120
; %bb.64:
	v_div_scale_f64 v[6:7], s[12:13], v[4:5], v[4:5], v[2:3]
	v_rcp_f64_e32 v[10:11], v[6:7]
	v_div_scale_f64 v[18:19], vcc, v[2:3], v[4:5], v[2:3]
	s_mov_b32 s12, 0
	v_fma_f64 v[20:21], -v[6:7], v[10:11], 1.0
	v_fmac_f64_e32 v[10:11], v[10:11], v[20:21]
	v_fma_f64 v[20:21], -v[6:7], v[10:11], 1.0
	v_fmac_f64_e32 v[10:11], v[10:11], v[20:21]
	v_mul_f64 v[20:21], v[18:19], v[10:11]
	v_fma_f64 v[6:7], -v[6:7], v[20:21], v[18:19]
	v_div_fmas_f64 v[6:7], v[6:7], v[10:11], v[20:21]
	v_div_fixup_f64 v[6:7], v[6:7], v[4:5], v[2:3]
	v_fma_f64 v[6:7], v[6:7], v[6:7], 1.0
	s_brev_b32 s13, 8
	v_cmp_gt_f64_e32 vcc, s[12:13], v[6:7]
	s_and_b64 s[12:13], vcc, exec
	s_cselect_b32 s12, 0x100, 0
	v_ldexp_f64 v[6:7], v[6:7], s12
	v_rsq_f64_e32 v[10:11], v[6:7]
	s_cselect_b32 s12, 0xffffff80, 0
	v_mov_b32_e32 v17, 0x260
	v_cmp_class_f64_e32 vcc, v[6:7], v17
	v_mul_f64 v[18:19], v[6:7], v[10:11]
	v_mul_f64 v[10:11], v[10:11], 0.5
	v_fma_f64 v[20:21], -v[10:11], v[18:19], 0.5
	v_fmac_f64_e32 v[18:19], v[18:19], v[20:21]
	v_fma_f64 v[22:23], -v[18:19], v[18:19], v[6:7]
	v_fmac_f64_e32 v[10:11], v[10:11], v[20:21]
	v_fmac_f64_e32 v[18:19], v[22:23], v[10:11]
	v_fma_f64 v[20:21], -v[18:19], v[18:19], v[6:7]
	v_fmac_f64_e32 v[18:19], v[20:21], v[10:11]
	v_ldexp_f64 v[10:11], v[18:19], s12
	v_cndmask_b32_e32 v7, v11, v7, vcc
	v_cndmask_b32_e32 v6, v10, v6, vcc
	v_mul_f64 v[6:7], v[4:5], v[6:7]
	s_andn2_b64 vcc, exec, s[4:5]
	s_cbranch_vccz .LBB62_66
	s_branch .LBB62_67
.LBB62_65:
                                        ; implicit-def: $vgpr6_vgpr7
.LBB62_66:
	v_div_scale_f64 v[6:7], s[4:5], v[2:3], v[2:3], v[4:5]
	v_rcp_f64_e32 v[10:11], v[6:7]
	v_div_scale_f64 v[18:19], vcc, v[4:5], v[2:3], v[4:5]
	s_mov_b32 s4, 0
	v_fma_f64 v[20:21], -v[6:7], v[10:11], 1.0
	v_fmac_f64_e32 v[10:11], v[10:11], v[20:21]
	v_fma_f64 v[20:21], -v[6:7], v[10:11], 1.0
	v_fmac_f64_e32 v[10:11], v[10:11], v[20:21]
	v_mul_f64 v[20:21], v[18:19], v[10:11]
	v_fma_f64 v[6:7], -v[6:7], v[20:21], v[18:19]
	v_div_fmas_f64 v[6:7], v[6:7], v[10:11], v[20:21]
	v_div_fixup_f64 v[4:5], v[6:7], v[2:3], v[4:5]
	v_fma_f64 v[4:5], v[4:5], v[4:5], 1.0
	s_brev_b32 s5, 8
	v_cmp_gt_f64_e32 vcc, s[4:5], v[4:5]
	s_and_b64 s[4:5], vcc, exec
	s_cselect_b32 s4, 0x100, 0
	v_ldexp_f64 v[4:5], v[4:5], s4
	v_rsq_f64_e32 v[6:7], v[4:5]
	s_cselect_b32 s4, 0xffffff80, 0
	v_mul_f64 v[10:11], v[4:5], v[6:7]
	v_mul_f64 v[6:7], v[6:7], 0.5
	v_fma_f64 v[18:19], -v[6:7], v[10:11], 0.5
	v_fmac_f64_e32 v[10:11], v[10:11], v[18:19]
	v_fma_f64 v[20:21], -v[10:11], v[10:11], v[4:5]
	v_fmac_f64_e32 v[6:7], v[6:7], v[18:19]
	v_fmac_f64_e32 v[10:11], v[20:21], v[6:7]
	v_fma_f64 v[18:19], -v[10:11], v[10:11], v[4:5]
	v_fmac_f64_e32 v[10:11], v[18:19], v[6:7]
	v_ldexp_f64 v[6:7], v[10:11], s4
	v_mov_b32_e32 v10, 0x260
	v_cmp_class_f64_e32 vcc, v[4:5], v10
	s_nop 1
	v_cndmask_b32_e32 v5, v7, v5, vcc
	v_cndmask_b32_e32 v4, v6, v4, vcc
	v_mul_f64 v[6:7], v[2:3], v[4:5]
.LBB62_67:
	s_mov_b32 s4, 0
	s_brev_b32 s5, 8
	v_cmp_gt_f64_e32 vcc, s[4:5], v[6:7]
	s_and_b64 s[4:5], vcc, exec
	s_cselect_b32 s4, 0x100, 0
	v_ldexp_f64 v[2:3], v[6:7], s4
	v_rsq_f64_e32 v[4:5], v[2:3]
	s_cselect_b32 s4, 0xffffff80, 0
	v_mul_f64 v[6:7], v[2:3], v[4:5]
	v_mul_f64 v[4:5], v[4:5], 0.5
	v_fma_f64 v[10:11], -v[4:5], v[6:7], 0.5
	v_fmac_f64_e32 v[6:7], v[6:7], v[10:11]
	v_fmac_f64_e32 v[4:5], v[4:5], v[10:11]
	v_fma_f64 v[10:11], -v[6:7], v[6:7], v[2:3]
	v_fmac_f64_e32 v[6:7], v[10:11], v[4:5]
	v_fma_f64 v[10:11], -v[6:7], v[6:7], v[2:3]
	v_fmac_f64_e32 v[6:7], v[10:11], v[4:5]
	v_ldexp_f64 v[4:5], v[6:7], s4
	v_mov_b32_e32 v6, 0x260
	v_cmp_class_f64_e32 vcc, v[2:3], v6
	s_nop 1
	v_cndmask_b32_e32 v2, v4, v2, vcc
	v_mov_b32_e32 v4, 0
	v_cndmask_b32_e32 v3, v5, v3, vcc
	v_mov_b32_e32 v5, v4
	ds_write_b128 v4, v[2:5] offset:640
.LBB62_68:
	s_or_b64 exec, exec, s[0:1]
	v_mov_b32_e32 v2, 0
	s_waitcnt lgkmcnt(0)
	ds_read_b128 v[2:5], v2 offset:640
	v_cmp_ne_u32_e64 s[0:1], 0, v15
	v_mov_b32_e32 v6, 0x3ff00000
	s_add_i32 s14, s16, s17
	s_waitcnt lgkmcnt(0)
	v_cmp_neq_f64_e32 vcc, 0, v[2:3]
	v_cmp_neq_f64_e64 s[4:5], 0, v[4:5]
	s_or_b64 vcc, vcc, s[4:5]
	v_cndmask_b32_e32 v3, v6, v3, vcc
	s_nor_b64 s[12:13], vcc, s[0:1]
	v_cndmask_b32_e32 v2, 0, v2, vcc
	v_cndmask_b32_e32 v5, 0, v5, vcc
	;; [unrolled: 1-line block ×3, first 2 shown]
	s_and_saveexec_b64 s[4:5], s[12:13]
	s_cbranch_execz .LBB62_72
; %bb.69:
	v_mbcnt_lo_u32_b32 v2, exec_lo, 0
	v_mbcnt_hi_u32_b32 v2, exec_hi, v2
	v_cmp_eq_u32_e32 vcc, 0, v2
	s_and_saveexec_b64 s[12:13], vcc
	s_cbranch_execz .LBB62_71
; %bb.70:
	v_mov_b32_e32 v2, 0
	v_mov_b32_e32 v3, s14
	global_atomic_smin v2, v3, s[10:11]
.LBB62_71:
	s_or_b64 exec, exec, s[12:13]
	v_mov_b64_e32 v[4:5], 0
	v_mov_b64_e32 v[2:3], 1.0
.LBB62_72:
	s_or_b64 exec, exec, s[4:5]
	s_movk_i32 s4, 0x50
	v_mov_b32_e32 v6, 0x280
	v_mad_u32_u24 v10, v12, s4, v6
	s_and_saveexec_b64 s[4:5], s[2:3]
	s_cbranch_execz .LBB62_74
; %bb.73:
	v_mul_f64 v[6:7], v[4:5], v[4:5]
	v_fmac_f64_e32 v[6:7], v[2:3], v[2:3]
	ds_read_b128 v[18:21], v9
	ds_read_b128 v[22:25], v16
	v_div_scale_f64 v[26:27], s[2:3], v[6:7], v[6:7], 1.0
	v_rcp_f64_e32 v[28:29], v[26:27]
	s_waitcnt lgkmcnt(0)
	v_add_f64 v[22:23], v[18:19], -v[22:23]
	v_add_f64 v[20:21], v[20:21], -v[24:25]
	v_fma_f64 v[18:19], -v[26:27], v[28:29], 1.0
	v_fmac_f64_e32 v[28:29], v[28:29], v[18:19]
	v_fma_f64 v[18:19], -v[26:27], v[28:29], 1.0
	v_fmac_f64_e32 v[28:29], v[28:29], v[18:19]
	v_div_scale_f64 v[18:19], vcc, 1.0, v[6:7], 1.0
	v_mul_f64 v[24:25], v[18:19], v[28:29]
	v_fma_f64 v[18:19], -v[26:27], v[24:25], v[18:19]
	s_nop 1
	v_div_fmas_f64 v[18:19], v[18:19], v[28:29], v[24:25]
	v_div_fixup_f64 v[6:7], v[18:19], v[6:7], 1.0
	v_mul_f64 v[18:19], v[4:5], v[20:21]
	v_mul_f64 v[4:5], v[4:5], -v[22:23]
	v_fmac_f64_e32 v[18:19], v[22:23], v[2:3]
	v_fmac_f64_e32 v[4:5], v[20:21], v[2:3]
	v_mul_f64 v[18:19], v[6:7], v[18:19]
	v_mul_f64 v[20:21], v[6:7], v[4:5]
	ds_write_b128 v9, v[18:21]
	s_waitcnt lgkmcnt(0)
	ds_read_b128 v[2:5], v10
	ds_read_b128 v[22:25], v14
	s_waitcnt lgkmcnt(0)
	v_fmac_f64_e32 v[22:23], v[18:19], v[2:3]
	v_fmac_f64_e32 v[24:25], v[20:21], v[2:3]
	;; [unrolled: 1-line block ×3, first 2 shown]
	v_fma_f64 v[24:25], v[18:19], -v[4:5], v[24:25]
	ds_write_b128 v14, v[22:25]
.LBB62_74:
	s_or_b64 exec, exec, s[4:5]
	v_cmp_eq_u32_e32 vcc, 1, v13
	s_waitcnt lgkmcnt(0)
	s_and_saveexec_b64 s[2:3], vcc
	s_cbranch_execz .LBB62_81
; %bb.75:
	v_mov_b32_e32 v6, 0
	ds_read_b128 v[2:5], v6 offset:1056
	ds_read_b128 v[18:21], v6 offset:736
	s_waitcnt lgkmcnt(0)
	v_add_f64 v[2:3], v[18:19], -v[2:3]
	v_add_f64 v[6:7], v[20:21], -v[4:5]
	v_xor_b32_e32 v4, 0x80000000, v3
	v_cmp_gt_f64_e32 vcc, 0, v[2:3]
	v_xor_b32_e32 v5, 0x80000000, v7
	s_nop 0
	v_cndmask_b32_e32 v3, v3, v4, vcc
	v_cmp_gt_f64_e32 vcc, 0, v[6:7]
	v_mov_b32_e32 v4, v6
	s_nop 0
	v_cndmask_b32_e32 v5, v7, v5, vcc
	v_cmp_gt_f64_e32 vcc, v[2:3], v[4:5]
	s_cbranch_vccnz .LBB62_78
; %bb.76:
	v_cmp_eq_f64_e32 vcc, 0, v[6:7]
	s_mov_b64 s[4:5], 0
	s_cbranch_vccnz .LBB62_121
; %bb.77:
	v_div_scale_f64 v[6:7], s[12:13], v[4:5], v[4:5], v[2:3]
	v_rcp_f64_e32 v[18:19], v[6:7]
	v_div_scale_f64 v[20:21], vcc, v[2:3], v[4:5], v[2:3]
	s_mov_b32 s12, 0
	v_fma_f64 v[22:23], -v[6:7], v[18:19], 1.0
	v_fmac_f64_e32 v[18:19], v[18:19], v[22:23]
	v_fma_f64 v[22:23], -v[6:7], v[18:19], 1.0
	v_fmac_f64_e32 v[18:19], v[18:19], v[22:23]
	v_mul_f64 v[22:23], v[20:21], v[18:19]
	v_fma_f64 v[6:7], -v[6:7], v[22:23], v[20:21]
	v_div_fmas_f64 v[6:7], v[6:7], v[18:19], v[22:23]
	v_div_fixup_f64 v[6:7], v[6:7], v[4:5], v[2:3]
	v_fma_f64 v[6:7], v[6:7], v[6:7], 1.0
	s_brev_b32 s13, 8
	v_cmp_gt_f64_e32 vcc, s[12:13], v[6:7]
	s_and_b64 s[12:13], vcc, exec
	s_cselect_b32 s12, 0x100, 0
	v_ldexp_f64 v[6:7], v[6:7], s12
	v_rsq_f64_e32 v[18:19], v[6:7]
	s_cselect_b32 s12, 0xffffff80, 0
	v_mov_b32_e32 v11, 0x260
	v_cmp_class_f64_e32 vcc, v[6:7], v11
	v_mul_f64 v[20:21], v[6:7], v[18:19]
	v_mul_f64 v[18:19], v[18:19], 0.5
	v_fma_f64 v[22:23], -v[18:19], v[20:21], 0.5
	v_fmac_f64_e32 v[20:21], v[20:21], v[22:23]
	v_fma_f64 v[24:25], -v[20:21], v[20:21], v[6:7]
	v_fmac_f64_e32 v[18:19], v[18:19], v[22:23]
	v_fmac_f64_e32 v[20:21], v[24:25], v[18:19]
	v_fma_f64 v[22:23], -v[20:21], v[20:21], v[6:7]
	v_fmac_f64_e32 v[20:21], v[22:23], v[18:19]
	v_ldexp_f64 v[18:19], v[20:21], s12
	v_cndmask_b32_e32 v7, v19, v7, vcc
	v_cndmask_b32_e32 v6, v18, v6, vcc
	v_mul_f64 v[6:7], v[4:5], v[6:7]
	s_andn2_b64 vcc, exec, s[4:5]
	s_cbranch_vccz .LBB62_79
	s_branch .LBB62_80
.LBB62_78:
                                        ; implicit-def: $vgpr6_vgpr7
.LBB62_79:
	v_div_scale_f64 v[6:7], s[4:5], v[2:3], v[2:3], v[4:5]
	v_rcp_f64_e32 v[18:19], v[6:7]
	v_div_scale_f64 v[20:21], vcc, v[4:5], v[2:3], v[4:5]
	s_mov_b32 s4, 0
	v_fma_f64 v[22:23], -v[6:7], v[18:19], 1.0
	v_fmac_f64_e32 v[18:19], v[18:19], v[22:23]
	v_fma_f64 v[22:23], -v[6:7], v[18:19], 1.0
	v_fmac_f64_e32 v[18:19], v[18:19], v[22:23]
	v_mul_f64 v[22:23], v[20:21], v[18:19]
	v_fma_f64 v[6:7], -v[6:7], v[22:23], v[20:21]
	v_div_fmas_f64 v[6:7], v[6:7], v[18:19], v[22:23]
	v_div_fixup_f64 v[4:5], v[6:7], v[2:3], v[4:5]
	v_fma_f64 v[4:5], v[4:5], v[4:5], 1.0
	s_brev_b32 s5, 8
	v_cmp_gt_f64_e32 vcc, s[4:5], v[4:5]
	s_and_b64 s[4:5], vcc, exec
	s_cselect_b32 s4, 0x100, 0
	v_ldexp_f64 v[4:5], v[4:5], s4
	v_rsq_f64_e32 v[6:7], v[4:5]
	s_cselect_b32 s4, 0xffffff80, 0
	v_mov_b32_e32 v11, 0x260
	v_cmp_class_f64_e32 vcc, v[4:5], v11
	v_mul_f64 v[18:19], v[4:5], v[6:7]
	v_mul_f64 v[6:7], v[6:7], 0.5
	v_fma_f64 v[20:21], -v[6:7], v[18:19], 0.5
	v_fmac_f64_e32 v[18:19], v[18:19], v[20:21]
	v_fma_f64 v[22:23], -v[18:19], v[18:19], v[4:5]
	v_fmac_f64_e32 v[6:7], v[6:7], v[20:21]
	v_fmac_f64_e32 v[18:19], v[22:23], v[6:7]
	v_fma_f64 v[20:21], -v[18:19], v[18:19], v[4:5]
	v_fmac_f64_e32 v[18:19], v[20:21], v[6:7]
	v_ldexp_f64 v[6:7], v[18:19], s4
	v_cndmask_b32_e32 v5, v7, v5, vcc
	v_cndmask_b32_e32 v4, v6, v4, vcc
	v_mul_f64 v[6:7], v[2:3], v[4:5]
.LBB62_80:
	s_mov_b32 s4, 0
	s_brev_b32 s5, 8
	v_cmp_gt_f64_e32 vcc, s[4:5], v[6:7]
	s_and_b64 s[4:5], vcc, exec
	s_cselect_b32 s4, 0x100, 0
	v_ldexp_f64 v[2:3], v[6:7], s4
	v_rsq_f64_e32 v[4:5], v[2:3]
	s_cselect_b32 s4, 0xffffff80, 0
	v_mul_f64 v[6:7], v[2:3], v[4:5]
	v_mul_f64 v[4:5], v[4:5], 0.5
	v_fma_f64 v[18:19], -v[4:5], v[6:7], 0.5
	v_fmac_f64_e32 v[6:7], v[6:7], v[18:19]
	v_fmac_f64_e32 v[4:5], v[4:5], v[18:19]
	v_fma_f64 v[18:19], -v[6:7], v[6:7], v[2:3]
	v_fmac_f64_e32 v[6:7], v[18:19], v[4:5]
	v_fma_f64 v[18:19], -v[6:7], v[6:7], v[2:3]
	v_fmac_f64_e32 v[6:7], v[18:19], v[4:5]
	v_ldexp_f64 v[4:5], v[6:7], s4
	v_mov_b32_e32 v6, 0x260
	v_cmp_class_f64_e32 vcc, v[2:3], v6
	s_nop 1
	v_cndmask_b32_e32 v2, v4, v2, vcc
	v_mov_b32_e32 v4, 0
	v_cndmask_b32_e32 v3, v5, v3, vcc
	v_mov_b32_e32 v5, v4
	ds_write_b128 v4, v[2:5] offset:736
.LBB62_81:
	s_or_b64 exec, exec, s[2:3]
	v_mov_b32_e32 v2, 0
	s_waitcnt lgkmcnt(0)
	ds_read_b128 v[2:5], v2 offset:736
	v_mov_b32_e32 v6, 0x3ff00000
	s_waitcnt lgkmcnt(0)
	v_cmp_neq_f64_e32 vcc, 0, v[2:3]
	v_cmp_neq_f64_e64 s[2:3], 0, v[4:5]
	s_or_b64 vcc, vcc, s[2:3]
	v_cndmask_b32_e32 v3, v6, v3, vcc
	s_nor_b64 s[4:5], vcc, s[0:1]
	v_cndmask_b32_e32 v2, 0, v2, vcc
	v_cndmask_b32_e32 v5, 0, v5, vcc
	;; [unrolled: 1-line block ×3, first 2 shown]
	s_and_saveexec_b64 s[2:3], s[4:5]
	s_cbranch_execz .LBB62_85
; %bb.82:
	v_mbcnt_lo_u32_b32 v2, exec_lo, 0
	v_mbcnt_hi_u32_b32 v2, exec_hi, v2
	v_cmp_eq_u32_e32 vcc, 0, v2
	s_and_saveexec_b64 s[4:5], vcc
	s_cbranch_execz .LBB62_84
; %bb.83:
	v_mov_b32_e32 v2, 0
	v_mov_b32_e32 v3, s14
	global_atomic_smin v2, v3, s[10:11]
.LBB62_84:
	s_or_b64 exec, exec, s[4:5]
	v_mov_b64_e32 v[4:5], 0
	v_mov_b64_e32 v[2:3], 1.0
.LBB62_85:
	s_or_b64 exec, exec, s[2:3]
	v_cmp_lt_u32_e32 vcc, 1, v13
	s_and_saveexec_b64 s[2:3], vcc
	s_cbranch_execz .LBB62_87
; %bb.86:
	v_mul_f64 v[6:7], v[4:5], v[4:5]
	v_fmac_f64_e32 v[6:7], v[2:3], v[2:3]
	ds_read_b128 v[18:21], v9 offset:16
	ds_read_b128 v[22:25], v16 offset:16
	v_div_scale_f64 v[26:27], s[4:5], v[6:7], v[6:7], 1.0
	v_rcp_f64_e32 v[28:29], v[26:27]
	s_waitcnt lgkmcnt(0)
	v_add_f64 v[22:23], v[18:19], -v[22:23]
	v_add_f64 v[20:21], v[20:21], -v[24:25]
	v_fma_f64 v[18:19], -v[26:27], v[28:29], 1.0
	v_fmac_f64_e32 v[28:29], v[28:29], v[18:19]
	v_fma_f64 v[18:19], -v[26:27], v[28:29], 1.0
	v_fmac_f64_e32 v[28:29], v[28:29], v[18:19]
	v_div_scale_f64 v[18:19], vcc, 1.0, v[6:7], 1.0
	v_mul_f64 v[24:25], v[18:19], v[28:29]
	v_fma_f64 v[18:19], -v[26:27], v[24:25], v[18:19]
	s_nop 1
	v_div_fmas_f64 v[18:19], v[18:19], v[28:29], v[24:25]
	v_div_fixup_f64 v[6:7], v[18:19], v[6:7], 1.0
	v_mul_f64 v[18:19], v[4:5], v[20:21]
	v_mul_f64 v[4:5], v[4:5], -v[22:23]
	v_fmac_f64_e32 v[18:19], v[22:23], v[2:3]
	v_fmac_f64_e32 v[4:5], v[20:21], v[2:3]
	v_mul_f64 v[18:19], v[6:7], v[18:19]
	v_mul_f64 v[20:21], v[6:7], v[4:5]
	ds_write_b128 v9, v[18:21] offset:16
	s_waitcnt lgkmcnt(0)
	ds_read_b128 v[2:5], v10 offset:16
	ds_read_b128 v[22:25], v14
	s_waitcnt lgkmcnt(0)
	v_fmac_f64_e32 v[22:23], v[18:19], v[2:3]
	v_fmac_f64_e32 v[24:25], v[20:21], v[2:3]
	;; [unrolled: 1-line block ×3, first 2 shown]
	v_fma_f64 v[24:25], v[18:19], -v[4:5], v[24:25]
	ds_write_b128 v14, v[22:25]
.LBB62_87:
	s_or_b64 exec, exec, s[2:3]
	v_cmp_eq_u32_e32 vcc, 2, v13
	s_waitcnt lgkmcnt(0)
	s_and_saveexec_b64 s[2:3], vcc
	s_cbranch_execz .LBB62_94
; %bb.88:
	v_mov_b32_e32 v6, 0
	ds_read_b128 v[2:5], v6 offset:1152
	ds_read_b128 v[18:21], v6 offset:832
	s_waitcnt lgkmcnt(0)
	v_add_f64 v[2:3], v[18:19], -v[2:3]
	v_add_f64 v[6:7], v[20:21], -v[4:5]
	v_xor_b32_e32 v4, 0x80000000, v3
	v_cmp_gt_f64_e32 vcc, 0, v[2:3]
	v_xor_b32_e32 v5, 0x80000000, v7
	s_nop 0
	v_cndmask_b32_e32 v3, v3, v4, vcc
	v_cmp_gt_f64_e32 vcc, 0, v[6:7]
	v_mov_b32_e32 v4, v6
	s_nop 0
	v_cndmask_b32_e32 v5, v7, v5, vcc
	v_cmp_gt_f64_e32 vcc, v[2:3], v[4:5]
	s_cbranch_vccnz .LBB62_91
; %bb.89:
	v_cmp_eq_f64_e32 vcc, 0, v[6:7]
	s_mov_b64 s[4:5], 0
	s_cbranch_vccnz .LBB62_122
; %bb.90:
	v_div_scale_f64 v[6:7], s[12:13], v[4:5], v[4:5], v[2:3]
	v_rcp_f64_e32 v[18:19], v[6:7]
	v_div_scale_f64 v[20:21], vcc, v[2:3], v[4:5], v[2:3]
	s_mov_b32 s12, 0
	v_fma_f64 v[22:23], -v[6:7], v[18:19], 1.0
	v_fmac_f64_e32 v[18:19], v[18:19], v[22:23]
	v_fma_f64 v[22:23], -v[6:7], v[18:19], 1.0
	v_fmac_f64_e32 v[18:19], v[18:19], v[22:23]
	v_mul_f64 v[22:23], v[20:21], v[18:19]
	v_fma_f64 v[6:7], -v[6:7], v[22:23], v[20:21]
	v_div_fmas_f64 v[6:7], v[6:7], v[18:19], v[22:23]
	v_div_fixup_f64 v[6:7], v[6:7], v[4:5], v[2:3]
	v_fma_f64 v[6:7], v[6:7], v[6:7], 1.0
	s_brev_b32 s13, 8
	v_cmp_gt_f64_e32 vcc, s[12:13], v[6:7]
	s_and_b64 s[12:13], vcc, exec
	s_cselect_b32 s12, 0x100, 0
	v_ldexp_f64 v[6:7], v[6:7], s12
	v_rsq_f64_e32 v[18:19], v[6:7]
	s_cselect_b32 s12, 0xffffff80, 0
	v_mov_b32_e32 v11, 0x260
	v_cmp_class_f64_e32 vcc, v[6:7], v11
	v_mul_f64 v[20:21], v[6:7], v[18:19]
	v_mul_f64 v[18:19], v[18:19], 0.5
	v_fma_f64 v[22:23], -v[18:19], v[20:21], 0.5
	v_fmac_f64_e32 v[20:21], v[20:21], v[22:23]
	v_fma_f64 v[24:25], -v[20:21], v[20:21], v[6:7]
	v_fmac_f64_e32 v[18:19], v[18:19], v[22:23]
	v_fmac_f64_e32 v[20:21], v[24:25], v[18:19]
	v_fma_f64 v[22:23], -v[20:21], v[20:21], v[6:7]
	v_fmac_f64_e32 v[20:21], v[22:23], v[18:19]
	v_ldexp_f64 v[18:19], v[20:21], s12
	v_cndmask_b32_e32 v7, v19, v7, vcc
	v_cndmask_b32_e32 v6, v18, v6, vcc
	v_mul_f64 v[6:7], v[4:5], v[6:7]
	s_andn2_b64 vcc, exec, s[4:5]
	s_cbranch_vccz .LBB62_92
	s_branch .LBB62_93
.LBB62_91:
                                        ; implicit-def: $vgpr6_vgpr7
.LBB62_92:
	v_div_scale_f64 v[6:7], s[4:5], v[2:3], v[2:3], v[4:5]
	v_rcp_f64_e32 v[18:19], v[6:7]
	v_div_scale_f64 v[20:21], vcc, v[4:5], v[2:3], v[4:5]
	s_mov_b32 s4, 0
	v_fma_f64 v[22:23], -v[6:7], v[18:19], 1.0
	v_fmac_f64_e32 v[18:19], v[18:19], v[22:23]
	v_fma_f64 v[22:23], -v[6:7], v[18:19], 1.0
	v_fmac_f64_e32 v[18:19], v[18:19], v[22:23]
	v_mul_f64 v[22:23], v[20:21], v[18:19]
	v_fma_f64 v[6:7], -v[6:7], v[22:23], v[20:21]
	v_div_fmas_f64 v[6:7], v[6:7], v[18:19], v[22:23]
	v_div_fixup_f64 v[4:5], v[6:7], v[2:3], v[4:5]
	v_fma_f64 v[4:5], v[4:5], v[4:5], 1.0
	s_brev_b32 s5, 8
	v_cmp_gt_f64_e32 vcc, s[4:5], v[4:5]
	s_and_b64 s[4:5], vcc, exec
	s_cselect_b32 s4, 0x100, 0
	v_ldexp_f64 v[4:5], v[4:5], s4
	v_rsq_f64_e32 v[6:7], v[4:5]
	s_cselect_b32 s4, 0xffffff80, 0
	v_mov_b32_e32 v11, 0x260
	v_cmp_class_f64_e32 vcc, v[4:5], v11
	v_mul_f64 v[18:19], v[4:5], v[6:7]
	v_mul_f64 v[6:7], v[6:7], 0.5
	v_fma_f64 v[20:21], -v[6:7], v[18:19], 0.5
	v_fmac_f64_e32 v[18:19], v[18:19], v[20:21]
	v_fma_f64 v[22:23], -v[18:19], v[18:19], v[4:5]
	v_fmac_f64_e32 v[6:7], v[6:7], v[20:21]
	v_fmac_f64_e32 v[18:19], v[22:23], v[6:7]
	v_fma_f64 v[20:21], -v[18:19], v[18:19], v[4:5]
	v_fmac_f64_e32 v[18:19], v[20:21], v[6:7]
	v_ldexp_f64 v[6:7], v[18:19], s4
	v_cndmask_b32_e32 v5, v7, v5, vcc
	v_cndmask_b32_e32 v4, v6, v4, vcc
	v_mul_f64 v[6:7], v[2:3], v[4:5]
.LBB62_93:
	s_mov_b32 s4, 0
	s_brev_b32 s5, 8
	v_cmp_gt_f64_e32 vcc, s[4:5], v[6:7]
	s_and_b64 s[4:5], vcc, exec
	s_cselect_b32 s4, 0x100, 0
	v_ldexp_f64 v[2:3], v[6:7], s4
	v_rsq_f64_e32 v[4:5], v[2:3]
	s_cselect_b32 s4, 0xffffff80, 0
	v_mul_f64 v[6:7], v[2:3], v[4:5]
	v_mul_f64 v[4:5], v[4:5], 0.5
	v_fma_f64 v[18:19], -v[4:5], v[6:7], 0.5
	v_fmac_f64_e32 v[6:7], v[6:7], v[18:19]
	v_fmac_f64_e32 v[4:5], v[4:5], v[18:19]
	v_fma_f64 v[18:19], -v[6:7], v[6:7], v[2:3]
	v_fmac_f64_e32 v[6:7], v[18:19], v[4:5]
	v_fma_f64 v[18:19], -v[6:7], v[6:7], v[2:3]
	v_fmac_f64_e32 v[6:7], v[18:19], v[4:5]
	v_ldexp_f64 v[4:5], v[6:7], s4
	v_mov_b32_e32 v6, 0x260
	v_cmp_class_f64_e32 vcc, v[2:3], v6
	s_nop 1
	v_cndmask_b32_e32 v2, v4, v2, vcc
	v_mov_b32_e32 v4, 0
	v_cndmask_b32_e32 v3, v5, v3, vcc
	v_mov_b32_e32 v5, v4
	ds_write_b128 v4, v[2:5] offset:832
.LBB62_94:
	s_or_b64 exec, exec, s[2:3]
	v_mov_b32_e32 v2, 0
	s_waitcnt lgkmcnt(0)
	ds_read_b128 v[2:5], v2 offset:832
	v_mov_b32_e32 v6, 0x3ff00000
	s_waitcnt lgkmcnt(0)
	v_cmp_neq_f64_e32 vcc, 0, v[2:3]
	v_cmp_neq_f64_e64 s[2:3], 0, v[4:5]
	s_or_b64 vcc, vcc, s[2:3]
	v_cndmask_b32_e32 v3, v6, v3, vcc
	s_nor_b64 s[4:5], vcc, s[0:1]
	v_cndmask_b32_e32 v2, 0, v2, vcc
	v_cndmask_b32_e32 v5, 0, v5, vcc
	v_cndmask_b32_e32 v4, 0, v4, vcc
	s_and_saveexec_b64 s[2:3], s[4:5]
	s_cbranch_execz .LBB62_98
; %bb.95:
	v_mbcnt_lo_u32_b32 v2, exec_lo, 0
	v_mbcnt_hi_u32_b32 v2, exec_hi, v2
	v_cmp_eq_u32_e32 vcc, 0, v2
	s_and_saveexec_b64 s[4:5], vcc
	s_cbranch_execz .LBB62_97
; %bb.96:
	v_mov_b32_e32 v2, 0
	v_mov_b32_e32 v3, s14
	global_atomic_smin v2, v3, s[10:11]
.LBB62_97:
	s_or_b64 exec, exec, s[4:5]
	v_mov_b64_e32 v[4:5], 0
	v_mov_b64_e32 v[2:3], 1.0
.LBB62_98:
	s_or_b64 exec, exec, s[2:3]
	v_cmp_lt_u32_e32 vcc, 2, v13
	s_and_saveexec_b64 s[2:3], vcc
	s_cbranch_execz .LBB62_100
; %bb.99:
	v_mul_f64 v[6:7], v[4:5], v[4:5]
	v_fmac_f64_e32 v[6:7], v[2:3], v[2:3]
	ds_read_b128 v[18:21], v9 offset:32
	ds_read_b128 v[22:25], v16 offset:32
	v_div_scale_f64 v[26:27], s[4:5], v[6:7], v[6:7], 1.0
	v_rcp_f64_e32 v[28:29], v[26:27]
	s_waitcnt lgkmcnt(0)
	v_add_f64 v[22:23], v[18:19], -v[22:23]
	v_add_f64 v[20:21], v[20:21], -v[24:25]
	v_fma_f64 v[18:19], -v[26:27], v[28:29], 1.0
	v_fmac_f64_e32 v[28:29], v[28:29], v[18:19]
	v_fma_f64 v[18:19], -v[26:27], v[28:29], 1.0
	v_fmac_f64_e32 v[28:29], v[28:29], v[18:19]
	v_div_scale_f64 v[18:19], vcc, 1.0, v[6:7], 1.0
	v_mul_f64 v[24:25], v[18:19], v[28:29]
	v_fma_f64 v[18:19], -v[26:27], v[24:25], v[18:19]
	s_nop 1
	v_div_fmas_f64 v[18:19], v[18:19], v[28:29], v[24:25]
	v_div_fixup_f64 v[6:7], v[18:19], v[6:7], 1.0
	v_mul_f64 v[18:19], v[4:5], v[20:21]
	v_mul_f64 v[4:5], v[4:5], -v[22:23]
	v_fmac_f64_e32 v[18:19], v[22:23], v[2:3]
	v_fmac_f64_e32 v[4:5], v[20:21], v[2:3]
	v_mul_f64 v[18:19], v[6:7], v[18:19]
	v_mul_f64 v[20:21], v[6:7], v[4:5]
	ds_write_b128 v9, v[18:21] offset:32
	s_waitcnt lgkmcnt(0)
	ds_read_b128 v[2:5], v10 offset:32
	ds_read_b128 v[22:25], v14
	s_waitcnt lgkmcnt(0)
	v_fmac_f64_e32 v[22:23], v[18:19], v[2:3]
	v_fmac_f64_e32 v[24:25], v[20:21], v[2:3]
	v_fmac_f64_e32 v[22:23], v[20:21], v[4:5]
	v_fma_f64 v[24:25], v[18:19], -v[4:5], v[24:25]
	ds_write_b128 v14, v[22:25]
.LBB62_100:
	s_or_b64 exec, exec, s[2:3]
	v_cmp_eq_u32_e32 vcc, 3, v13
	s_waitcnt lgkmcnt(0)
	s_and_saveexec_b64 s[2:3], vcc
	s_cbranch_execz .LBB62_107
; %bb.101:
	v_mov_b32_e32 v6, 0
	ds_read_b128 v[2:5], v6 offset:1248
	ds_read_b128 v[18:21], v6 offset:928
	s_waitcnt lgkmcnt(0)
	v_add_f64 v[2:3], v[18:19], -v[2:3]
	v_add_f64 v[6:7], v[20:21], -v[4:5]
	v_xor_b32_e32 v4, 0x80000000, v3
	v_cmp_gt_f64_e32 vcc, 0, v[2:3]
	v_xor_b32_e32 v5, 0x80000000, v7
	s_nop 0
	v_cndmask_b32_e32 v3, v3, v4, vcc
	v_cmp_gt_f64_e32 vcc, 0, v[6:7]
	v_mov_b32_e32 v4, v6
	s_nop 0
	v_cndmask_b32_e32 v5, v7, v5, vcc
	v_cmp_gt_f64_e32 vcc, v[2:3], v[4:5]
	s_cbranch_vccnz .LBB62_104
; %bb.102:
	v_cmp_eq_f64_e32 vcc, 0, v[6:7]
	s_mov_b64 s[4:5], 0
	s_cbranch_vccnz .LBB62_123
; %bb.103:
	v_div_scale_f64 v[6:7], s[12:13], v[4:5], v[4:5], v[2:3]
	v_rcp_f64_e32 v[18:19], v[6:7]
	v_div_scale_f64 v[20:21], vcc, v[2:3], v[4:5], v[2:3]
	s_mov_b32 s12, 0
	v_fma_f64 v[22:23], -v[6:7], v[18:19], 1.0
	v_fmac_f64_e32 v[18:19], v[18:19], v[22:23]
	v_fma_f64 v[22:23], -v[6:7], v[18:19], 1.0
	v_fmac_f64_e32 v[18:19], v[18:19], v[22:23]
	v_mul_f64 v[22:23], v[20:21], v[18:19]
	v_fma_f64 v[6:7], -v[6:7], v[22:23], v[20:21]
	v_div_fmas_f64 v[6:7], v[6:7], v[18:19], v[22:23]
	v_div_fixup_f64 v[6:7], v[6:7], v[4:5], v[2:3]
	v_fma_f64 v[6:7], v[6:7], v[6:7], 1.0
	s_brev_b32 s13, 8
	v_cmp_gt_f64_e32 vcc, s[12:13], v[6:7]
	s_and_b64 s[12:13], vcc, exec
	s_cselect_b32 s12, 0x100, 0
	v_ldexp_f64 v[6:7], v[6:7], s12
	v_rsq_f64_e32 v[18:19], v[6:7]
	s_cselect_b32 s12, 0xffffff80, 0
	v_mov_b32_e32 v11, 0x260
	v_cmp_class_f64_e32 vcc, v[6:7], v11
	v_mul_f64 v[20:21], v[6:7], v[18:19]
	v_mul_f64 v[18:19], v[18:19], 0.5
	v_fma_f64 v[22:23], -v[18:19], v[20:21], 0.5
	v_fmac_f64_e32 v[20:21], v[20:21], v[22:23]
	v_fma_f64 v[24:25], -v[20:21], v[20:21], v[6:7]
	v_fmac_f64_e32 v[18:19], v[18:19], v[22:23]
	v_fmac_f64_e32 v[20:21], v[24:25], v[18:19]
	v_fma_f64 v[22:23], -v[20:21], v[20:21], v[6:7]
	v_fmac_f64_e32 v[20:21], v[22:23], v[18:19]
	v_ldexp_f64 v[18:19], v[20:21], s12
	v_cndmask_b32_e32 v7, v19, v7, vcc
	v_cndmask_b32_e32 v6, v18, v6, vcc
	v_mul_f64 v[6:7], v[4:5], v[6:7]
	s_andn2_b64 vcc, exec, s[4:5]
	s_cbranch_vccz .LBB62_105
	s_branch .LBB62_106
.LBB62_104:
                                        ; implicit-def: $vgpr6_vgpr7
.LBB62_105:
	v_div_scale_f64 v[6:7], s[4:5], v[2:3], v[2:3], v[4:5]
	v_rcp_f64_e32 v[18:19], v[6:7]
	v_div_scale_f64 v[20:21], vcc, v[4:5], v[2:3], v[4:5]
	s_mov_b32 s4, 0
	v_fma_f64 v[22:23], -v[6:7], v[18:19], 1.0
	v_fmac_f64_e32 v[18:19], v[18:19], v[22:23]
	v_fma_f64 v[22:23], -v[6:7], v[18:19], 1.0
	v_fmac_f64_e32 v[18:19], v[18:19], v[22:23]
	v_mul_f64 v[22:23], v[20:21], v[18:19]
	v_fma_f64 v[6:7], -v[6:7], v[22:23], v[20:21]
	v_div_fmas_f64 v[6:7], v[6:7], v[18:19], v[22:23]
	v_div_fixup_f64 v[4:5], v[6:7], v[2:3], v[4:5]
	v_fma_f64 v[4:5], v[4:5], v[4:5], 1.0
	s_brev_b32 s5, 8
	v_cmp_gt_f64_e32 vcc, s[4:5], v[4:5]
	s_and_b64 s[4:5], vcc, exec
	s_cselect_b32 s4, 0x100, 0
	v_ldexp_f64 v[4:5], v[4:5], s4
	v_rsq_f64_e32 v[6:7], v[4:5]
	s_cselect_b32 s4, 0xffffff80, 0
	v_mov_b32_e32 v11, 0x260
	v_cmp_class_f64_e32 vcc, v[4:5], v11
	v_mul_f64 v[18:19], v[4:5], v[6:7]
	v_mul_f64 v[6:7], v[6:7], 0.5
	v_fma_f64 v[20:21], -v[6:7], v[18:19], 0.5
	v_fmac_f64_e32 v[18:19], v[18:19], v[20:21]
	v_fma_f64 v[22:23], -v[18:19], v[18:19], v[4:5]
	v_fmac_f64_e32 v[6:7], v[6:7], v[20:21]
	v_fmac_f64_e32 v[18:19], v[22:23], v[6:7]
	v_fma_f64 v[20:21], -v[18:19], v[18:19], v[4:5]
	v_fmac_f64_e32 v[18:19], v[20:21], v[6:7]
	v_ldexp_f64 v[6:7], v[18:19], s4
	v_cndmask_b32_e32 v5, v7, v5, vcc
	v_cndmask_b32_e32 v4, v6, v4, vcc
	v_mul_f64 v[6:7], v[2:3], v[4:5]
.LBB62_106:
	s_mov_b32 s4, 0
	s_brev_b32 s5, 8
	v_cmp_gt_f64_e32 vcc, s[4:5], v[6:7]
	s_and_b64 s[4:5], vcc, exec
	s_cselect_b32 s4, 0x100, 0
	v_ldexp_f64 v[2:3], v[6:7], s4
	v_rsq_f64_e32 v[4:5], v[2:3]
	s_cselect_b32 s4, 0xffffff80, 0
	v_mul_f64 v[6:7], v[2:3], v[4:5]
	v_mul_f64 v[4:5], v[4:5], 0.5
	v_fma_f64 v[18:19], -v[4:5], v[6:7], 0.5
	v_fmac_f64_e32 v[6:7], v[6:7], v[18:19]
	v_fmac_f64_e32 v[4:5], v[4:5], v[18:19]
	v_fma_f64 v[18:19], -v[6:7], v[6:7], v[2:3]
	v_fmac_f64_e32 v[6:7], v[18:19], v[4:5]
	v_fma_f64 v[18:19], -v[6:7], v[6:7], v[2:3]
	v_fmac_f64_e32 v[6:7], v[18:19], v[4:5]
	v_ldexp_f64 v[4:5], v[6:7], s4
	v_mov_b32_e32 v6, 0x260
	v_cmp_class_f64_e32 vcc, v[2:3], v6
	s_nop 1
	v_cndmask_b32_e32 v2, v4, v2, vcc
	v_mov_b32_e32 v4, 0
	v_cndmask_b32_e32 v3, v5, v3, vcc
	v_mov_b32_e32 v5, v4
	ds_write_b128 v4, v[2:5] offset:928
.LBB62_107:
	s_or_b64 exec, exec, s[2:3]
	v_mov_b32_e32 v2, 0
	s_waitcnt lgkmcnt(0)
	ds_read_b128 v[2:5], v2 offset:928
	v_mov_b32_e32 v6, 0x3ff00000
	s_waitcnt lgkmcnt(0)
	v_cmp_neq_f64_e32 vcc, 0, v[2:3]
	v_cmp_neq_f64_e64 s[2:3], 0, v[4:5]
	s_or_b64 vcc, vcc, s[2:3]
	v_cndmask_b32_e32 v3, v6, v3, vcc
	s_nor_b64 s[2:3], vcc, s[0:1]
	v_cndmask_b32_e32 v2, 0, v2, vcc
	v_cndmask_b32_e32 v5, 0, v5, vcc
	;; [unrolled: 1-line block ×3, first 2 shown]
	s_and_saveexec_b64 s[0:1], s[2:3]
	s_cbranch_execz .LBB62_111
; %bb.108:
	v_mbcnt_lo_u32_b32 v2, exec_lo, 0
	v_mbcnt_hi_u32_b32 v2, exec_hi, v2
	v_cmp_eq_u32_e32 vcc, 0, v2
	s_and_saveexec_b64 s[2:3], vcc
	s_cbranch_execz .LBB62_110
; %bb.109:
	v_mov_b32_e32 v2, 0
	v_mov_b32_e32 v3, s14
	global_atomic_smin v2, v3, s[10:11]
.LBB62_110:
	s_or_b64 exec, exec, s[2:3]
	v_mov_b64_e32 v[4:5], 0
	v_mov_b64_e32 v[2:3], 1.0
.LBB62_111:
	s_or_b64 exec, exec, s[0:1]
	v_cmp_lt_u32_e32 vcc, 3, v13
	s_and_saveexec_b64 s[0:1], vcc
	s_cbranch_execz .LBB62_113
; %bb.112:
	v_mul_f64 v[6:7], v[4:5], v[4:5]
	v_fmac_f64_e32 v[6:7], v[2:3], v[2:3]
	ds_read_b128 v[18:21], v9 offset:48
	ds_read_b128 v[22:25], v16 offset:48
	v_div_scale_f64 v[16:17], s[2:3], v[6:7], v[6:7], 1.0
	v_rcp_f64_e32 v[26:27], v[16:17]
	s_waitcnt lgkmcnt(0)
	v_add_f64 v[18:19], v[18:19], -v[22:23]
	v_add_f64 v[20:21], v[20:21], -v[24:25]
	v_fma_f64 v[22:23], -v[16:17], v[26:27], 1.0
	v_fmac_f64_e32 v[26:27], v[26:27], v[22:23]
	v_fma_f64 v[22:23], -v[16:17], v[26:27], 1.0
	v_fmac_f64_e32 v[26:27], v[26:27], v[22:23]
	v_div_scale_f64 v[22:23], vcc, 1.0, v[6:7], 1.0
	v_mul_f64 v[24:25], v[22:23], v[26:27]
	v_fma_f64 v[16:17], -v[16:17], v[24:25], v[22:23]
	s_nop 1
	v_div_fmas_f64 v[16:17], v[16:17], v[26:27], v[24:25]
	v_div_fixup_f64 v[6:7], v[16:17], v[6:7], 1.0
	v_mul_f64 v[16:17], v[4:5], v[20:21]
	v_mul_f64 v[4:5], v[4:5], -v[18:19]
	v_fmac_f64_e32 v[16:17], v[18:19], v[2:3]
	v_fmac_f64_e32 v[4:5], v[20:21], v[2:3]
	v_mul_f64 v[16:17], v[6:7], v[16:17]
	v_mul_f64 v[18:19], v[6:7], v[4:5]
	ds_write_b128 v9, v[16:19] offset:48
	s_waitcnt lgkmcnt(0)
	ds_read_b128 v[2:5], v10 offset:48
	ds_read_b128 v[20:23], v14
	s_waitcnt lgkmcnt(0)
	v_fmac_f64_e32 v[20:21], v[16:17], v[2:3]
	v_fmac_f64_e32 v[22:23], v[18:19], v[2:3]
	;; [unrolled: 1-line block ×3, first 2 shown]
	v_fma_f64 v[22:23], v[16:17], -v[4:5], v[22:23]
	ds_write_b128 v14, v[20:23]
.LBB62_113:
	s_or_b64 exec, exec, s[0:1]
	s_waitcnt lgkmcnt(0)
	ds_read2_b64 v[2:5], v8 offset1:1
	v_cmp_eq_u32_e32 vcc, 0, v15
	s_waitcnt lgkmcnt(0)
	global_store_dwordx4 v[0:1], v[2:5], off
	s_and_saveexec_b64 s[0:1], vcc
	s_cbranch_execz .LBB62_115
; %bb.114:
	s_add_u32 s2, s6, s8
	s_addc_u32 s3, s7, s9
	v_mov_b32_e32 v0, 0
	v_mov_b32_e32 v1, 1
	buffer_wbl2 sc1
	s_waitcnt vmcnt(0)
	global_store_dword v0, v1, s[2:3] sc1
.LBB62_115:
	s_or_b64 exec, exec, s[0:1]
	s_branch .LBB62_17
.LBB62_116:
	v_or_b32_e32 v0, v12, v13
	v_cmp_eq_u32_e32 vcc, 0, v0
	s_and_saveexec_b64 s[0:1], vcc
	s_cbranch_execz .LBB62_17
; %bb.117:
	v_mbcnt_lo_u32_b32 v0, exec_lo, 0
	v_mbcnt_hi_u32_b32 v0, exec_hi, v0
	v_cmp_eq_u32_e32 vcc, 0, v0
	s_and_saveexec_b64 s[0:1], vcc
	s_cbranch_execz .LBB62_119
; %bb.118:
	s_add_i32 s2, s16, s17
	v_mov_b32_e32 v0, 0
	v_mov_b32_e32 v1, s2
	global_atomic_smin v0, v1, s[10:11]
.LBB62_119:
	s_or_b64 exec, exec, s[0:1]
	s_add_u32 s0, s6, s8
	s_addc_u32 s1, s7, s9
	v_mov_b32_e32 v0, 0
	v_mov_b32_e32 v1, 1
	buffer_wbl2 sc1
	s_waitcnt vmcnt(0)
	global_store_dword v0, v1, s[0:1] sc1
	s_endpgm
.LBB62_120:
	v_mov_b64_e32 v[6:7], 0
	s_andn2_b64 vcc, exec, s[4:5]
	s_cbranch_vccz .LBB62_66
	s_branch .LBB62_67
.LBB62_121:
	v_mov_b64_e32 v[6:7], 0
	s_andn2_b64 vcc, exec, s[4:5]
	s_cbranch_vccz .LBB62_79
	s_branch .LBB62_80
.LBB62_122:
	v_mov_b64_e32 v[6:7], 0
	s_andn2_b64 vcc, exec, s[4:5]
	s_cbranch_vccz .LBB62_92
	s_branch .LBB62_93
.LBB62_123:
	v_mov_b64_e32 v[6:7], 0
	s_andn2_b64 vcc, exec, s[4:5]
	s_cbranch_vccz .LBB62_105
	s_branch .LBB62_106
	.section	.rodata,"a",@progbits
	.p2align	6, 0x0
	.amdhsa_kernel _ZN9rocsparseL26bsric0_2_8_unrolled_kernelILi16ELi32ELi4E21rocsparse_complex_numIdEEEv20rocsparse_direction_iiPKiS5_PT2_S5_PiS5_S8_21rocsparse_index_base_
		.amdhsa_group_segment_fixed_size 1664
		.amdhsa_private_segment_fixed_size 0
		.amdhsa_kernarg_size 76
		.amdhsa_user_sgpr_count 2
		.amdhsa_user_sgpr_dispatch_ptr 0
		.amdhsa_user_sgpr_queue_ptr 0
		.amdhsa_user_sgpr_kernarg_segment_ptr 1
		.amdhsa_user_sgpr_dispatch_id 0
		.amdhsa_user_sgpr_kernarg_preload_length 0
		.amdhsa_user_sgpr_kernarg_preload_offset 0
		.amdhsa_user_sgpr_private_segment_size 0
		.amdhsa_uses_dynamic_stack 0
		.amdhsa_enable_private_segment 0
		.amdhsa_system_sgpr_workgroup_id_x 1
		.amdhsa_system_sgpr_workgroup_id_y 0
		.amdhsa_system_sgpr_workgroup_id_z 0
		.amdhsa_system_sgpr_workgroup_info 0
		.amdhsa_system_vgpr_workitem_id 1
		.amdhsa_next_free_vgpr 68
		.amdhsa_next_free_sgpr 40
		.amdhsa_accum_offset 68
		.amdhsa_reserve_vcc 1
		.amdhsa_float_round_mode_32 0
		.amdhsa_float_round_mode_16_64 0
		.amdhsa_float_denorm_mode_32 3
		.amdhsa_float_denorm_mode_16_64 3
		.amdhsa_dx10_clamp 1
		.amdhsa_ieee_mode 1
		.amdhsa_fp16_overflow 0
		.amdhsa_tg_split 0
		.amdhsa_exception_fp_ieee_invalid_op 0
		.amdhsa_exception_fp_denorm_src 0
		.amdhsa_exception_fp_ieee_div_zero 0
		.amdhsa_exception_fp_ieee_overflow 0
		.amdhsa_exception_fp_ieee_underflow 0
		.amdhsa_exception_fp_ieee_inexact 0
		.amdhsa_exception_int_div_zero 0
	.end_amdhsa_kernel
	.section	.text._ZN9rocsparseL26bsric0_2_8_unrolled_kernelILi16ELi32ELi4E21rocsparse_complex_numIdEEEv20rocsparse_direction_iiPKiS5_PT2_S5_PiS5_S8_21rocsparse_index_base_,"axG",@progbits,_ZN9rocsparseL26bsric0_2_8_unrolled_kernelILi16ELi32ELi4E21rocsparse_complex_numIdEEEv20rocsparse_direction_iiPKiS5_PT2_S5_PiS5_S8_21rocsparse_index_base_,comdat
.Lfunc_end62:
	.size	_ZN9rocsparseL26bsric0_2_8_unrolled_kernelILi16ELi32ELi4E21rocsparse_complex_numIdEEEv20rocsparse_direction_iiPKiS5_PT2_S5_PiS5_S8_21rocsparse_index_base_, .Lfunc_end62-_ZN9rocsparseL26bsric0_2_8_unrolled_kernelILi16ELi32ELi4E21rocsparse_complex_numIdEEEv20rocsparse_direction_iiPKiS5_PT2_S5_PiS5_S8_21rocsparse_index_base_
                                        ; -- End function
	.set _ZN9rocsparseL26bsric0_2_8_unrolled_kernelILi16ELi32ELi4E21rocsparse_complex_numIdEEEv20rocsparse_direction_iiPKiS5_PT2_S5_PiS5_S8_21rocsparse_index_base_.num_vgpr, 68
	.set _ZN9rocsparseL26bsric0_2_8_unrolled_kernelILi16ELi32ELi4E21rocsparse_complex_numIdEEEv20rocsparse_direction_iiPKiS5_PT2_S5_PiS5_S8_21rocsparse_index_base_.num_agpr, 0
	.set _ZN9rocsparseL26bsric0_2_8_unrolled_kernelILi16ELi32ELi4E21rocsparse_complex_numIdEEEv20rocsparse_direction_iiPKiS5_PT2_S5_PiS5_S8_21rocsparse_index_base_.numbered_sgpr, 40
	.set _ZN9rocsparseL26bsric0_2_8_unrolled_kernelILi16ELi32ELi4E21rocsparse_complex_numIdEEEv20rocsparse_direction_iiPKiS5_PT2_S5_PiS5_S8_21rocsparse_index_base_.num_named_barrier, 0
	.set _ZN9rocsparseL26bsric0_2_8_unrolled_kernelILi16ELi32ELi4E21rocsparse_complex_numIdEEEv20rocsparse_direction_iiPKiS5_PT2_S5_PiS5_S8_21rocsparse_index_base_.private_seg_size, 0
	.set _ZN9rocsparseL26bsric0_2_8_unrolled_kernelILi16ELi32ELi4E21rocsparse_complex_numIdEEEv20rocsparse_direction_iiPKiS5_PT2_S5_PiS5_S8_21rocsparse_index_base_.uses_vcc, 1
	.set _ZN9rocsparseL26bsric0_2_8_unrolled_kernelILi16ELi32ELi4E21rocsparse_complex_numIdEEEv20rocsparse_direction_iiPKiS5_PT2_S5_PiS5_S8_21rocsparse_index_base_.uses_flat_scratch, 0
	.set _ZN9rocsparseL26bsric0_2_8_unrolled_kernelILi16ELi32ELi4E21rocsparse_complex_numIdEEEv20rocsparse_direction_iiPKiS5_PT2_S5_PiS5_S8_21rocsparse_index_base_.has_dyn_sized_stack, 0
	.set _ZN9rocsparseL26bsric0_2_8_unrolled_kernelILi16ELi32ELi4E21rocsparse_complex_numIdEEEv20rocsparse_direction_iiPKiS5_PT2_S5_PiS5_S8_21rocsparse_index_base_.has_recursion, 0
	.set _ZN9rocsparseL26bsric0_2_8_unrolled_kernelILi16ELi32ELi4E21rocsparse_complex_numIdEEEv20rocsparse_direction_iiPKiS5_PT2_S5_PiS5_S8_21rocsparse_index_base_.has_indirect_call, 0
	.section	.AMDGPU.csdata,"",@progbits
; Kernel info:
; codeLenInByte = 9196
; TotalNumSgprs: 46
; NumVgprs: 68
; NumAgprs: 0
; TotalNumVgprs: 68
; ScratchSize: 0
; MemoryBound: 1
; FloatMode: 240
; IeeeMode: 1
; LDSByteSize: 1664 bytes/workgroup (compile time only)
; SGPRBlocks: 5
; VGPRBlocks: 8
; NumSGPRsForWavesPerEU: 46
; NumVGPRsForWavesPerEU: 68
; AccumOffset: 68
; Occupancy: 7
; WaveLimiterHint : 1
; COMPUTE_PGM_RSRC2:SCRATCH_EN: 0
; COMPUTE_PGM_RSRC2:USER_SGPR: 2
; COMPUTE_PGM_RSRC2:TRAP_HANDLER: 0
; COMPUTE_PGM_RSRC2:TGID_X_EN: 1
; COMPUTE_PGM_RSRC2:TGID_Y_EN: 0
; COMPUTE_PGM_RSRC2:TGID_Z_EN: 0
; COMPUTE_PGM_RSRC2:TIDIG_COMP_CNT: 1
; COMPUTE_PGM_RSRC3_GFX90A:ACCUM_OFFSET: 16
; COMPUTE_PGM_RSRC3_GFX90A:TG_SPLIT: 0
	.section	.text._ZN9rocsparseL26bsric0_2_8_unrolled_kernelILi25ELi32ELi5E21rocsparse_complex_numIdEEEv20rocsparse_direction_iiPKiS5_PT2_S5_PiS5_S8_21rocsparse_index_base_,"axG",@progbits,_ZN9rocsparseL26bsric0_2_8_unrolled_kernelILi25ELi32ELi5E21rocsparse_complex_numIdEEEv20rocsparse_direction_iiPKiS5_PT2_S5_PiS5_S8_21rocsparse_index_base_,comdat
	.globl	_ZN9rocsparseL26bsric0_2_8_unrolled_kernelILi25ELi32ELi5E21rocsparse_complex_numIdEEEv20rocsparse_direction_iiPKiS5_PT2_S5_PiS5_S8_21rocsparse_index_base_ ; -- Begin function _ZN9rocsparseL26bsric0_2_8_unrolled_kernelILi25ELi32ELi5E21rocsparse_complex_numIdEEEv20rocsparse_direction_iiPKiS5_PT2_S5_PiS5_S8_21rocsparse_index_base_
	.p2align	8
	.type	_ZN9rocsparseL26bsric0_2_8_unrolled_kernelILi25ELi32ELi5E21rocsparse_complex_numIdEEEv20rocsparse_direction_iiPKiS5_PT2_S5_PiS5_S8_21rocsparse_index_base_,@function
_ZN9rocsparseL26bsric0_2_8_unrolled_kernelILi25ELi32ELi5E21rocsparse_complex_numIdEEEv20rocsparse_direction_iiPKiS5_PT2_S5_PiS5_S8_21rocsparse_index_base_: ; @_ZN9rocsparseL26bsric0_2_8_unrolled_kernelILi25ELi32ELi5E21rocsparse_complex_numIdEEEv20rocsparse_direction_iiPKiS5_PT2_S5_PiS5_S8_21rocsparse_index_base_
; %bb.0:
	s_load_dwordx8 s[4:11], s[0:1], 0x28
	s_mov_b32 s3, 0
	s_lshl_b64 s[2:3], s[2:3], 2
	v_and_b32_e32 v7, 0x3ff, v0
	v_bfe_u32 v16, v0, 10, 10
	s_waitcnt lgkmcnt(0)
	s_add_u32 s2, s8, s2
	s_addc_u32 s3, s9, s3
	s_load_dword s16, s[2:3], 0x0
	s_waitcnt lgkmcnt(0)
	s_ashr_i32 s17, s16, 31
	s_lshl_b64 s[8:9], s[16:17], 2
	s_add_u32 s2, s4, s8
	s_addc_u32 s3, s5, s9
	s_load_dword s30, s[2:3], 0x0
	s_load_dword s17, s[0:1], 0x48
	s_waitcnt lgkmcnt(0)
	s_cmp_lg_u32 s30, -1
	s_cbranch_scc0 .LBB63_67
; %bb.1:
	s_load_dwordx4 s[12:15], s[0:1], 0x10
	s_load_dwordx2 s[18:19], s[0:1], 0x20
	v_mad_u32_u24 v17, v16, 5, v7
	v_mul_u32_u24_e32 v21, 5, v16
	s_waitcnt lgkmcnt(0)
	s_add_u32 s2, s12, s8
	s_addc_u32 s3, s13, s9
	s_load_dword s26, s[2:3], 0x0
	s_waitcnt lgkmcnt(0)
	s_sub_i32 s31, s26, s17
	v_add_u32_e32 v0, s31, v17
	v_cmp_ge_i32_e32 vcc, s30, v0
	s_and_saveexec_b64 s[20:21], vcc
	s_cbranch_execz .LBB63_14
; %bb.2:
	v_add_u32_e32 v1, s26, v7
	v_add_u32_e32 v2, v1, v21
	v_subrev_u32_e32 v2, s17, v2
	v_add_u32_e32 v2, 25, v2
	s_add_i32 s2, s30, 1
	v_max_i32_e32 v2, s2, v2
	v_add_u32_e32 v2, s17, v2
	v_sub_u32_e32 v1, v2, v1
	v_subrev_u32_e32 v1, 25, v1
	v_cmp_ne_u32_e32 vcc, v1, v21
	s_mov_b64 s[22:23], -1
	s_nop 0
	v_addc_co_u32_e64 v2, s[2:3], 0, v21, vcc
	v_sub_u32_e32 v1, v1, v2
	s_mov_b32 s2, 0x51eb851f
	v_mul_hi_u32 v1, v1, s2
	v_lshrrev_b32_e32 v1, 3, v1
	v_addc_co_u32_e32 v4, vcc, 0, v1, vcc
	v_cmp_ne_u32_e32 vcc, 0, v4
	s_and_saveexec_b64 s[2:3], vcc
	s_cbranch_execz .LBB63_11
; %bb.3:
	v_add_u32_e32 v2, -1, v4
	v_add_u32_e32 v1, 25, v0
	v_lshrrev_b32_e32 v2, 1, v2
	v_add_u32_e32 v5, 1, v2
	v_cmp_lt_u32_e32 vcc, 14, v4
	v_mov_b64_e32 v[2:3], v[0:1]
	s_and_saveexec_b64 s[22:23], vcc
	s_cbranch_execz .LBB63_7
; %bb.4:
	v_and_b32_e32 v6, -8, v5
	s_mov_b64 s[24:25], 0
	v_mov_b64_e32 v[2:3], v[0:1]
.LBB63_5:                               ; =>This Inner Loop Header: Depth=1
	v_ashrrev_i32_e32 v9, 31, v3
	v_mov_b32_e32 v8, v3
	v_ashrrev_i32_e32 v11, 31, v2
	v_mov_b32_e32 v10, v2
	v_add_u32_e32 v12, 50, v2
	v_add_u32_e32 v14, 50, v3
	;; [unrolled: 1-line block ×14, first 2 shown]
	v_lshl_add_u64 v[10:11], v[10:11], 2, s[14:15]
	v_lshl_add_u64 v[8:9], v[8:9], 2, s[14:15]
	v_ashrrev_i32_e32 v15, 31, v14
	v_ashrrev_i32_e32 v13, 31, v12
	;; [unrolled: 1-line block ×14, first 2 shown]
	v_lshl_add_u64 v[44:45], v[12:13], 2, s[14:15]
	v_lshl_add_u64 v[46:47], v[14:15], 2, s[14:15]
	v_lshl_add_u64 v[48:49], v[18:19], 2, s[14:15]
	v_lshl_add_u64 v[50:51], v[22:23], 2, s[14:15]
	v_lshl_add_u64 v[52:53], v[24:25], 2, s[14:15]
	v_lshl_add_u64 v[54:55], v[26:27], 2, s[14:15]
	v_lshl_add_u64 v[56:57], v[28:29], 2, s[14:15]
	v_lshl_add_u64 v[58:59], v[30:31], 2, s[14:15]
	v_lshl_add_u64 v[60:61], v[32:33], 2, s[14:15]
	v_lshl_add_u64 v[62:63], v[34:35], 2, s[14:15]
	v_lshl_add_u64 v[64:65], v[36:37], 2, s[14:15]
	v_lshl_add_u64 v[66:67], v[38:39], 2, s[14:15]
	v_lshl_add_u64 v[68:69], v[40:41], 2, s[14:15]
	v_lshl_add_u64 v[70:71], v[42:43], 2, s[14:15]
	global_load_dword v1, v[10:11], off
	global_load_dword v13, v[8:9], off
	;; [unrolled: 1-line block ×15, first 2 shown]
                                        ; kill: killed $vgpr46_vgpr47
                                        ; kill: killed $vgpr48_vgpr49
                                        ; kill: killed $vgpr44_vgpr45
                                        ; kill: killed $vgpr66_vgpr67
                                        ; kill: killed $vgpr68_vgpr69
                                        ; kill: killed $vgpr62_vgpr63
                                        ; kill: killed $vgpr64_vgpr65
                                        ; kill: killed $vgpr8_vgpr9
                                        ; kill: killed $vgpr58_vgpr59
                                        ; kill: killed $vgpr60_vgpr61
                                        ; kill: killed $vgpr10_vgpr11
                                        ; kill: killed $vgpr54_vgpr55
                                        ; kill: killed $vgpr56_vgpr57
                                        ; kill: killed $vgpr50_vgpr51
                                        ; kill: killed $vgpr52_vgpr53
	global_load_dword v8, v[70:71], off
	v_subrev_u32_e32 v9, s31, v3
	v_subrev_u32_e32 v10, s31, v2
	v_add_u32_e32 v6, -8, v6
	v_lshlrev_b32_e32 v10, 2, v10
	v_lshlrev_b32_e32 v9, 2, v9
	v_subrev_u32_e32 v12, s31, v12
	v_cmp_eq_u32_e32 vcc, 0, v6
	v_add_u32_e32 v3, 0x190, v3
	v_add_u32_e32 v2, 0x190, v2
	v_subrev_u32_e32 v11, s31, v14
	v_subrev_u32_e32 v14, s31, v22
	;; [unrolled: 1-line block ×13, first 2 shown]
	v_lshlrev_b32_e32 v12, 2, v12
	s_or_b64 s[24:25], vcc, s[24:25]
	v_lshlrev_b32_e32 v11, 2, v11
	v_lshlrev_b32_e32 v18, 2, v18
	;; [unrolled: 1-line block ×13, first 2 shown]
	s_waitcnt vmcnt(15)
	v_subrev_u32_e32 v1, s17, v1
	s_waitcnt vmcnt(14)
	v_subrev_u32_e32 v13, s17, v13
	ds_write_b32 v10, v1 offset:2176
	ds_write_b32 v9, v13 offset:2176
	s_waitcnt vmcnt(13)
	v_subrev_u32_e32 v1, s17, v15
	s_waitcnt vmcnt(12)
	v_subrev_u32_e32 v10, s17, v19
	;; [unrolled: 2-line block ×5, first 2 shown]
	v_subrev_u32_e32 v19, s17, v20
	s_waitcnt vmcnt(7)
	v_subrev_u32_e32 v20, s17, v29
	s_waitcnt vmcnt(5)
	;; [unrolled: 2-line block ×6, first 2 shown]
	v_subrev_u32_e32 v29, s17, v41
	v_subrev_u32_e32 v31, s17, v31
	s_waitcnt vmcnt(0)
	v_subrev_u32_e32 v8, s17, v8
	ds_write_b32 v12, v9 offset:2176
	ds_write_b32 v11, v1 offset:2176
	ds_write_b32 v18, v13 offset:2176
	ds_write_b32 v14, v10 offset:2176
	ds_write_b32 v24, v19 offset:2176
	ds_write_b32 v22, v15 offset:2176
	ds_write_b32 v28, v23 offset:2176
	ds_write_b32 v26, v20 offset:2176
	ds_write_b32 v32, v27 offset:2176
	ds_write_b32 v30, v25 offset:2176
	ds_write_b32 v36, v33 offset:2176
	ds_write_b32 v34, v29 offset:2176
	ds_write_b32 v40, v31 offset:2176
	ds_write_b32 v38, v8 offset:2176
	s_andn2_b64 exec, exec, s[24:25]
	s_cbranch_execnz .LBB63_5
; %bb.6:
	s_or_b64 exec, exec, s[24:25]
.LBB63_7:
	s_or_b64 exec, exec, s[22:23]
	v_and_b32_e32 v1, 7, v5
	v_cmp_ne_u32_e32 vcc, 0, v1
	s_and_saveexec_b64 s[22:23], vcc
	s_cbranch_execz .LBB63_10
; %bb.8:
	v_sub_u32_e32 v1, 0, v1
	s_mov_b64 s[24:25], 0
.LBB63_9:                               ; =>This Inner Loop Header: Depth=1
	v_ashrrev_i32_e32 v9, 31, v3
	v_mov_b32_e32 v8, v3
	v_ashrrev_i32_e32 v11, 31, v2
	v_mov_b32_e32 v10, v2
	v_lshl_add_u64 v[8:9], v[8:9], 2, s[14:15]
	v_lshl_add_u64 v[10:11], v[10:11], 2, s[14:15]
	global_load_dword v5, v[8:9], off
	global_load_dword v6, v[10:11], off
	v_subrev_u32_e32 v9, s31, v2
	v_add_co_u32_e32 v1, vcc, 1, v1
	v_subrev_u32_e32 v8, s31, v3
	v_add_u32_e32 v3, 50, v3
	v_add_u32_e32 v2, 50, v2
	v_lshlrev_b32_e32 v9, 2, v9
	s_or_b64 s[24:25], vcc, s[24:25]
	v_lshlrev_b32_e32 v8, 2, v8
	s_waitcnt vmcnt(1)
	v_subrev_u32_e32 v5, s17, v5
	s_waitcnt vmcnt(0)
	v_subrev_u32_e32 v6, s17, v6
	ds_write_b32 v9, v6 offset:2176
	ds_write_b32 v8, v5 offset:2176
	s_andn2_b64 exec, exec, s[24:25]
	s_cbranch_execnz .LBB63_9
.LBB63_10:
	s_or_b64 exec, exec, s[22:23]
	v_add_u32_e32 v2, 1, v4
	v_and_b32_e32 v3, 0x3ffffffe, v2
	v_mad_u64_u32 v[0:1], s[22:23], v3, 25, v[0:1]
	v_cmp_ne_u32_e32 vcc, v2, v3
	s_orn2_b64 s[22:23], vcc, exec
.LBB63_11:
	s_or_b64 exec, exec, s[2:3]
	s_and_b64 exec, exec, s[22:23]
	s_cbranch_execz .LBB63_14
; %bb.12:
	v_add_u32_e32 v1, s17, v0
	v_subrev_u32_e32 v1, s26, v1
	v_mov_b32_e32 v2, 0x880
	v_lshl_add_u32 v4, v1, 2, v2
	v_ashrrev_i32_e32 v1, 31, v0
	v_lshl_add_u64 v[2:3], v[0:1], 2, s[14:15]
	s_mov_b64 s[2:3], 0
	s_mov_b64 s[22:23], 0x64
.LBB63_13:                              ; =>This Inner Loop Header: Depth=1
	global_load_dword v1, v[2:3], off
	v_add_u32_e32 v0, 25, v0
	v_cmp_lt_i32_e32 vcc, s30, v0
	v_lshl_add_u64 v[2:3], v[2:3], 0, s[22:23]
	s_or_b64 s[2:3], vcc, s[2:3]
	s_waitcnt vmcnt(0)
	v_subrev_u32_e32 v1, s17, v1
	ds_write_b32 v4, v1
	v_add_u32_e32 v4, 0x64, v4
	s_andn2_b64 exec, exec, s[2:3]
	s_cbranch_execnz .LBB63_13
.LBB63_14:
	s_or_b64 exec, exec, s[20:21]
	s_load_dword s33, s[0:1], 0x0
	s_movk_i32 s0, 0x60
	v_mov_b32_e32 v0, 0x5a0
	v_mad_u32_u24 v20, v16, s0, v0
	v_mov_b32_e32 v0, 0
	v_lshl_add_u32 v19, v7, 4, v20
	v_mov_b32_e32 v1, v0
	v_mov_b32_e32 v2, v0
	;; [unrolled: 1-line block ×3, first 2 shown]
	s_cmp_ge_i32 s31, s30
	v_mad_u32_u24 v18, v7, 5, v16
	ds_write_b128 v19, v[0:3]
	s_waitcnt lgkmcnt(0)
	s_cbranch_scc1 .LBB63_61
; %bb.15:
	s_cmp_lg_u32 s33, 0
	s_cselect_b64 s[20:21], -1, 0
	s_cmp_eq_u32 s33, 0
	v_mov_b32_e32 v3, 0x3c0
	v_mov_b32_e32 v5, 0x1e0
	v_mad_u32_u24 v2, v7, 5, v16
	v_mad_u32_u24 v22, v16, s0, v3
	v_lshlrev_b32_e32 v4, 4, v7
	v_mad_u32_u24 v25, v16, s0, v5
	v_mad_u32_u24 v27, v7, s0, v3
	v_or_b32_e32 v3, v7, v16
	s_cselect_b64 vcc, -1, 0
	v_mul_u32_u24_e32 v1, 5, v7
	v_add_u32_e32 v23, v22, v4
	v_mad_u32_u24 v24, v16, s0, v4
	v_add_u32_e32 v26, v25, v4
	v_cmp_ne_u32_e64 s[0:1], 0, v3
	v_cndmask_b32_e32 v6, v2, v17, vcc
	v_mov_b32_e32 v28, 0x3ff00000
	s_mov_b32 s22, s31
	s_branch .LBB63_18
.LBB63_16:                              ;   in Loop: Header=BB63_18 Depth=1
	s_or_b64 exec, exec, s[24:25]
	v_mov_b64_e32 v[12:13], 0
	v_mov_b64_e32 v[10:11], 1.0
.LBB63_17:                              ;   in Loop: Header=BB63_18 Depth=1
	s_or_b64 exec, exec, s[2:3]
	ds_read_b128 v[30:33], v0 offset:400
	ds_read_b128 v[34:37], v0 offset:416
	ds_read_b128 v[38:41], v22
	ds_read_b128 v[42:45], v0 offset:384
	ds_read_b128 v[46:49], v25 offset:64
	;; [unrolled: 1-line block ×6, first 2 shown]
	s_waitcnt lgkmcnt(4)
	v_fmac_f64_e32 v[48:49], v[44:45], v[38:39]
	v_fma_f64 v[14:15], v[42:43], -v[40:41], v[48:49]
	v_fmac_f64_e32 v[46:47], v[42:43], v[38:39]
	s_waitcnt lgkmcnt(2)
	v_fmac_f64_e32 v[14:15], v[32:33], v[54:55]
	v_fmac_f64_e32 v[46:47], v[44:45], v[40:41]
	v_fma_f64 v[14:15], v[30:31], -v[56:57], v[14:15]
	v_fmac_f64_e32 v[46:47], v[30:31], v[54:55]
	v_mul_f64 v[30:31], v[12:13], v[12:13]
	v_fmac_f64_e32 v[30:31], v[10:11], v[10:11]
	s_waitcnt lgkmcnt(1)
	v_fmac_f64_e32 v[14:15], v[36:37], v[58:59]
	v_fmac_f64_e32 v[46:47], v[32:33], v[56:57]
	v_div_scale_f64 v[32:33], s[2:3], v[30:31], v[30:31], 1.0
	v_fma_f64 v[14:15], v[34:35], -v[60:61], v[14:15]
	v_fmac_f64_e32 v[46:47], v[34:35], v[58:59]
	v_rcp_f64_e32 v[34:35], v[32:33]
	v_fmac_f64_e32 v[46:47], v[36:37], v[60:61]
	s_waitcnt lgkmcnt(0)
	v_fmac_f64_e32 v[46:47], v[50:51], v[62:63]
	v_fmac_f64_e32 v[46:47], v[52:53], v[64:65]
	v_add_f64 v[36:37], v[2:3], -v[46:47]
	v_fma_f64 v[2:3], -v[32:33], v[34:35], 1.0
	v_fmac_f64_e32 v[34:35], v[34:35], v[2:3]
	v_fmac_f64_e32 v[14:15], v[52:53], v[62:63]
	v_fma_f64 v[2:3], -v[32:33], v[34:35], 1.0
	v_fma_f64 v[14:15], v[50:51], -v[64:65], v[14:15]
	v_fmac_f64_e32 v[34:35], v[34:35], v[2:3]
	v_div_scale_f64 v[2:3], vcc, 1.0, v[30:31], 1.0
	v_add_f64 v[4:5], v[4:5], -v[14:15]
	v_mul_f64 v[14:15], v[2:3], v[34:35]
	v_fma_f64 v[2:3], -v[32:33], v[14:15], v[2:3]
	s_nop 0
	v_div_fmas_f64 v[2:3], v[2:3], v[34:35], v[14:15]
	v_div_fixup_f64 v[14:15], v[2:3], v[30:31], 1.0
	v_mul_f64 v[2:3], v[12:13], v[4:5]
	v_mul_f64 v[12:13], v[12:13], -v[36:37]
	v_fmac_f64_e32 v[2:3], v[36:37], v[10:11]
	v_fmac_f64_e32 v[12:13], v[4:5], v[10:11]
	v_mul_f64 v[2:3], v[14:15], v[2:3]
	v_mul_f64 v[4:5], v[14:15], v[12:13]
	ds_write_b128 v22, v[2:5] offset:64
	s_waitcnt lgkmcnt(0)
	ds_read_b128 v[10:13], v27 offset:64
	ds_read_b128 v[30:33], v19
	s_add_i32 s22, s22, 1
	s_cmp_ge_i32 s22, s30
	s_cselect_b64 s[2:3], -1, 0
	s_waitcnt lgkmcnt(0)
	v_fmac_f64_e32 v[30:31], v[2:3], v[10:11]
	v_fmac_f64_e32 v[32:33], v[4:5], v[10:11]
	;; [unrolled: 1-line block ×3, first 2 shown]
	v_fma_f64 v[32:33], v[2:3], -v[12:13], v[32:33]
	ds_write_b128 v19, v[30:33]
	s_waitcnt lgkmcnt(0)
	ds_read2_b64 v[2:5], v23 offset1:1
	s_waitcnt lgkmcnt(0)
	global_store_dwordx4 v[8:9], v[2:5], off
	buffer_wbl2 sc1
	s_waitcnt vmcnt(0)
	buffer_inv sc1
	s_and_b64 vcc, exec, s[2:3]
	s_cbranch_vccnz .LBB63_61
.LBB63_18:                              ; =>This Loop Header: Depth=1
                                        ;     Child Loop BB63_21 Depth 2
                                        ;     Child Loop BB63_32 Depth 2
	;; [unrolled: 1-line block ×3, first 2 shown]
	s_ashr_i32 s23, s22, 31
	s_lshl_b64 s[2:3], s[22:23], 2
	s_add_u32 s2, s14, s2
	s_addc_u32 s3, s15, s3
	s_load_dword s23, s[2:3], 0x0
	s_waitcnt lgkmcnt(0)
	s_sub_i32 s24, s23, s17
	s_ashr_i32 s25, s24, 31
	s_lshl_b64 s[2:3], s[24:25], 2
	s_add_u32 s26, s4, s2
	s_addc_u32 s27, s5, s3
	s_load_dword s25, s[26:27], 0x0
	s_waitcnt lgkmcnt(0)
	s_cmp_eq_u32 s25, -1
	s_cbranch_scc1 .LBB63_60
; %bb.19:                               ;   in Loop: Header=BB63_18 Depth=1
	v_mad_u64_u32 v[2:3], s[26:27], s22, 25, v[6:7]
	v_ashrrev_i32_e32 v3, 31, v2
	v_lshl_add_u64 v[8:9], v[2:3], 4, s[18:19]
	global_load_dwordx4 v[2:5], v[8:9], off
	s_add_u32 s26, s12, s2
	s_addc_u32 s27, s13, s3
	s_load_dword s26, s[26:27], 0x0
	ds_read_b32 v10, v0 offset:2176
	s_mov_b32 s27, 0
	s_waitcnt lgkmcnt(0)
	s_sub_i32 s26, s26, s17
	s_cmp_le_i32 s26, s25
	v_cmp_ge_i32_e32 vcc, s24, v10
	s_cselect_b64 s[28:29], -1, 0
	s_and_b64 s[28:29], s[28:29], vcc
	s_andn2_b64 vcc, exec, s[28:29]
	s_waitcnt vmcnt(0)
	ds_write2_b64 v23, v[2:3], v[4:5] offset1:1
	s_cbranch_vccnz .LBB63_31
; %bb.20:                               ;   in Loop: Header=BB63_18 Depth=1
	s_mov_b32 s34, 0
	s_mov_b32 s35, 0
.LBB63_21:                              ;   Parent Loop BB63_18 Depth=1
                                        ; =>  This Inner Loop Header: Depth=2
	s_ashr_i32 s27, s26, 31
	s_lshl_b64 s[28:29], s[26:27], 2
	s_add_u32 s28, s14, s28
	s_addc_u32 s29, s15, s29
	s_load_dword s27, s[28:29], 0x0
	s_lshl_b32 s28, s35, 2
	v_mov_b32_e32 v2, s28
	ds_read_b32 v2, v2 offset:2176
	s_mov_b64 s[28:29], -1
	s_waitcnt lgkmcnt(0)
	s_sub_i32 s39, s27, s17
                                        ; implicit-def: $sgpr27
                                        ; implicit-def: $sgpr38
                                        ; implicit-def: $sgpr37
	v_cmp_ge_i32_e32 vcc, s39, v2
	v_readfirstlane_b32 s36, v2
	s_cbranch_vccz .LBB63_27
; %bb.22:                               ;   in Loop: Header=BB63_21 Depth=2
	s_cmp_le_i32 s39, s36
                                        ; implicit-def: $sgpr27
                                        ; implicit-def: $sgpr38
                                        ; implicit-def: $sgpr37
	s_cbranch_scc0 .LBB63_24
; %bb.23:                               ;   in Loop: Header=BB63_21 Depth=2
	s_add_i32 s27, s35, s31
	s_mul_i32 s27, s27, 25
	s_lshl_b32 s28, s34, 2
	v_mov_b32_e32 v2, s28
	v_mov_b32_e32 v3, s27
	s_mul_i32 s27, s26, 25
	v_mov_b32_e32 v4, s27
	v_add_u32_e32 v2, 0x600, v2
	ds_write2_b32 v2, v4, v3 offset0:96 offset1:128
	s_add_i32 s37, s35, 1
	s_add_i32 s38, s26, 1
	;; [unrolled: 1-line block ×3, first 2 shown]
	s_mov_b64 s[28:29], 0
.LBB63_24:                              ;   in Loop: Header=BB63_21 Depth=2
	s_andn2_b64 vcc, exec, s[28:29]
	s_cbranch_vccnz .LBB63_26
; %bb.25:                               ;   in Loop: Header=BB63_21 Depth=2
	s_add_i32 s37, s35, 1
	s_mov_b32 s27, s34
	s_mov_b32 s38, s26
.LBB63_26:                              ;   in Loop: Header=BB63_21 Depth=2
	s_mov_b64 s[28:29], 0
.LBB63_27:                              ;   in Loop: Header=BB63_21 Depth=2
	s_andn2_b64 vcc, exec, s[28:29]
	s_cbranch_vccnz .LBB63_29
; %bb.28:                               ;   in Loop: Header=BB63_21 Depth=2
	s_add_i32 s38, s26, 1
	s_mov_b32 s37, s35
	s_mov_b32 s27, s34
.LBB63_29:                              ;   in Loop: Header=BB63_21 Depth=2
	s_cmp_le_i32 s38, s25
	s_cselect_b64 s[28:29], -1, 0
	s_cmp_le_i32 s36, s24
	s_cselect_b64 s[34:35], -1, 0
	s_and_b64 s[28:29], s[28:29], s[34:35]
	s_and_b64 vcc, exec, s[28:29]
	s_cbranch_vccz .LBB63_31
; %bb.30:                               ;   in Loop: Header=BB63_21 Depth=2
	s_mov_b32 s34, s27
	s_mov_b32 s26, s38
	;; [unrolled: 1-line block ×3, first 2 shown]
	s_branch .LBB63_21
.LBB63_31:                              ;   in Loop: Header=BB63_18 Depth=1
	s_add_u32 s2, s6, s2
	s_addc_u32 s3, s7, s3
	s_waitcnt lgkmcnt(0)
.LBB63_32:                              ;   Parent Loop BB63_18 Depth=1
                                        ; =>  This Inner Loop Header: Depth=2
	global_load_dword v2, v0, s[2:3] sc1
	s_waitcnt vmcnt(0)
	v_cmp_eq_u32_e32 vcc, 0, v2
	s_cbranch_vccnz .LBB63_32
; %bb.33:                               ;   in Loop: Header=BB63_18 Depth=1
	v_mad_u64_u32 v[2:3], s[2:3], s25, 25, v[6:7]
	v_ashrrev_i32_e32 v3, 31, v2
	v_lshl_add_u64 v[2:3], v[2:3], 4, s[18:19]
	buffer_inv sc1
	global_load_dwordx4 v[10:13], v[2:3], off
	v_mov_b64_e32 v[4:5], 0
	s_cmp_lt_i32 s27, 2
	v_mov_b64_e32 v[2:3], 0
	s_waitcnt vmcnt(0)
	ds_write2_b64 v24, v[10:11], v[12:13] offset1:1
	s_waitcnt lgkmcnt(0)
	s_cbranch_scc1 .LBB63_41
; %bb.34:                               ;   in Loop: Header=BB63_18 Depth=1
	s_add_i32 s24, s27, -1
	v_mov_b64_e32 v[12:13], 0
	s_movk_i32 s25, 0x780
	v_mov_b64_e32 v[10:11], 0
.LBB63_35:                              ;   Parent Loop BB63_18 Depth=1
                                        ; =>  This Inner Loop Header: Depth=2
	v_mov_b32_e32 v2, s25
	s_waitcnt lgkmcnt(0)
	ds_read2_b32 v[14:15], v2 offset1:32
	s_mov_b64 s[2:3], -1
	s_and_b64 vcc, exec, s[20:21]
                                        ; implicit-def: $vgpr4_vgpr5
	s_cbranch_vccz .LBB63_38
; %bb.36:                               ;   in Loop: Header=BB63_35 Depth=2
	s_waitcnt lgkmcnt(0)
	v_add_u32_e32 v2, v14, v7
	v_ashrrev_i32_e32 v3, 31, v2
	v_add_u32_e32 v62, v15, v16
	v_lshl_add_u64 v[4:5], v[2:3], 4, s[18:19]
	v_ashrrev_i32_e32 v63, 31, v62
	v_lshl_add_u64 v[38:39], v[62:63], 4, s[18:19]
	global_load_dwordx4 v[30:33], v[4:5], off
	global_load_dwordx4 v[34:37], v[38:39], off
	v_add_u32_e32 v4, 5, v2
	v_ashrrev_i32_e32 v5, 31, v4
	v_add_u32_e32 v38, 5, v62
	v_lshl_add_u64 v[4:5], v[4:5], 4, s[18:19]
	v_ashrrev_i32_e32 v39, 31, v38
	v_lshl_add_u64 v[46:47], v[38:39], 4, s[18:19]
	global_load_dwordx4 v[38:41], v[4:5], off
	global_load_dwordx4 v[42:45], v[46:47], off
	;; [unrolled: 8-line block ×3, first 2 shown]
	v_add_u32_e32 v4, 15, v2
	v_ashrrev_i32_e32 v5, 31, v4
	v_add_u32_e32 v54, 15, v62
	v_lshl_add_u64 v[4:5], v[4:5], 4, s[18:19]
	v_ashrrev_i32_e32 v55, 31, v54
	v_add_u32_e32 v2, 20, v2
	v_lshl_add_u64 v[64:65], v[54:55], 4, s[18:19]
	global_load_dwordx4 v[54:57], v[4:5], off
	global_load_dwordx4 v[58:61], v[64:65], off
	v_ashrrev_i32_e32 v3, 31, v2
	v_add_u32_e32 v4, 20, v62
	v_lshl_add_u64 v[2:3], v[2:3], 4, s[18:19]
	v_ashrrev_i32_e32 v5, 31, v4
	v_lshl_add_u64 v[4:5], v[4:5], 4, s[18:19]
	global_load_dwordx4 v[62:65], v[2:3], off
	global_load_dwordx4 v[66:69], v[4:5], off
	s_waitcnt vmcnt(8)
	v_fma_f64 v[2:3], v[30:31], v[34:35], v[10:11]
	v_fma_f64 v[4:5], v[32:33], v[34:35], v[12:13]
	v_fmac_f64_e32 v[2:3], v[32:33], v[36:37]
	v_fma_f64 v[4:5], v[30:31], -v[36:37], v[4:5]
	s_waitcnt vmcnt(6)
	v_fmac_f64_e32 v[2:3], v[38:39], v[42:43]
	v_fmac_f64_e32 v[4:5], v[40:41], v[42:43]
	v_fmac_f64_e32 v[2:3], v[40:41], v[44:45]
	v_fma_f64 v[4:5], v[38:39], -v[44:45], v[4:5]
	s_waitcnt vmcnt(4)
	v_fmac_f64_e32 v[2:3], v[46:47], v[50:51]
	v_fmac_f64_e32 v[4:5], v[48:49], v[50:51]
	;; [unrolled: 5-line block ×4, first 2 shown]
	v_fmac_f64_e32 v[2:3], v[64:65], v[68:69]
	v_fma_f64 v[4:5], v[62:63], -v[68:69], v[4:5]
	s_cbranch_execz .LBB63_39
.LBB63_37:                              ;   in Loop: Header=BB63_35 Depth=2
	s_add_i32 s24, s24, -1
	s_add_i32 s25, s25, 4
	s_cmp_eq_u32 s24, 0
	s_cbranch_scc0 .LBB63_40
	s_branch .LBB63_41
.LBB63_38:                              ;   in Loop: Header=BB63_35 Depth=2
	s_andn2_b64 vcc, exec, s[2:3]
	s_cbranch_vccnz .LBB63_37
.LBB63_39:                              ;   in Loop: Header=BB63_35 Depth=2
	s_waitcnt lgkmcnt(0)
	v_add_u32_e32 v2, v14, v1
	v_ashrrev_i32_e32 v3, 31, v2
	v_lshl_add_u64 v[66:67], v[2:3], 4, s[18:19]
	v_add_u32_e32 v2, v15, v21
	v_ashrrev_i32_e32 v3, 31, v2
	v_lshl_add_u64 v[14:15], v[2:3], 4, s[18:19]
	global_load_dwordx4 v[2:5], v[14:15], off
	global_load_dwordx4 v[30:33], v[66:67], off
	global_load_dwordx4 v[34:37], v[66:67], off offset:16
	global_load_dwordx4 v[38:41], v[14:15], off offset:16
	;; [unrolled: 1-line block ×8, first 2 shown]
	s_waitcnt vmcnt(8)
	v_fmac_f64_e32 v[10:11], v[30:31], v[2:3]
	v_fmac_f64_e32 v[12:13], v[32:33], v[2:3]
	v_fmac_f64_e32 v[10:11], v[32:33], v[4:5]
	v_fma_f64 v[2:3], v[30:31], -v[4:5], v[12:13]
	s_waitcnt vmcnt(6)
	v_fmac_f64_e32 v[10:11], v[34:35], v[38:39]
	v_fmac_f64_e32 v[2:3], v[36:37], v[38:39]
	v_fmac_f64_e32 v[10:11], v[36:37], v[40:41]
	v_fma_f64 v[2:3], v[34:35], -v[40:41], v[2:3]
	;; [unrolled: 5-line block ×5, first 2 shown]
	v_mov_b64_e32 v[2:3], v[10:11]
	s_add_i32 s24, s24, -1
	s_add_i32 s25, s25, 4
	s_cmp_eq_u32 s24, 0
	s_cbranch_scc1 .LBB63_41
.LBB63_40:                              ;   in Loop: Header=BB63_35 Depth=2
	v_mov_b64_e32 v[12:13], v[4:5]
	v_mov_b64_e32 v[10:11], v[2:3]
	s_branch .LBB63_35
.LBB63_41:                              ;   in Loop: Header=BB63_18 Depth=1
	ds_write_b128 v26, v[2:5]
	s_waitcnt lgkmcnt(0)
	ds_read_b128 v[10:13], v0
	ds_read_b128 v[2:5], v22
	s_waitcnt lgkmcnt(1)
	v_cmp_neq_f64_e32 vcc, 0, v[10:11]
	v_cmp_neq_f64_e64 s[2:3], 0, v[12:13]
	s_or_b64 vcc, vcc, s[2:3]
	v_cndmask_b32_e32 v11, v28, v11, vcc
	s_nor_b64 s[24:25], vcc, s[0:1]
	v_cndmask_b32_e32 v10, 0, v10, vcc
	v_cndmask_b32_e32 v13, 0, v13, vcc
	;; [unrolled: 1-line block ×3, first 2 shown]
	s_and_saveexec_b64 s[2:3], s[24:25]
	s_cbranch_execz .LBB63_45
; %bb.42:                               ;   in Loop: Header=BB63_18 Depth=1
	v_mbcnt_lo_u32_b32 v10, exec_lo, 0
	v_mbcnt_hi_u32_b32 v10, exec_hi, v10
	v_cmp_eq_u32_e32 vcc, 0, v10
	s_and_saveexec_b64 s[24:25], vcc
	s_cbranch_execz .LBB63_44
; %bb.43:                               ;   in Loop: Header=BB63_18 Depth=1
	v_mov_b32_e32 v10, s23
	global_atomic_smin v0, v10, s[10:11]
.LBB63_44:                              ;   in Loop: Header=BB63_18 Depth=1
	s_or_b64 exec, exec, s[24:25]
	v_mov_b64_e32 v[12:13], 0
	v_mov_b64_e32 v[10:11], 1.0
.LBB63_45:                              ;   in Loop: Header=BB63_18 Depth=1
	s_or_b64 exec, exec, s[2:3]
	v_mul_f64 v[14:15], v[12:13], v[12:13]
	v_fmac_f64_e32 v[14:15], v[10:11], v[10:11]
	ds_read_b128 v[30:33], v25
	v_div_scale_f64 v[34:35], s[2:3], v[14:15], v[14:15], 1.0
	v_rcp_f64_e32 v[36:37], v[34:35]
	s_waitcnt lgkmcnt(0)
	v_add_f64 v[30:31], v[2:3], -v[30:31]
	v_add_f64 v[4:5], v[4:5], -v[32:33]
	v_fma_f64 v[2:3], -v[34:35], v[36:37], 1.0
	v_fmac_f64_e32 v[36:37], v[36:37], v[2:3]
	v_fma_f64 v[2:3], -v[34:35], v[36:37], 1.0
	v_fmac_f64_e32 v[36:37], v[36:37], v[2:3]
	v_div_scale_f64 v[2:3], vcc, 1.0, v[14:15], 1.0
	v_mul_f64 v[32:33], v[2:3], v[36:37]
	v_fma_f64 v[2:3], -v[34:35], v[32:33], v[2:3]
	s_nop 1
	v_div_fmas_f64 v[2:3], v[2:3], v[36:37], v[32:33]
	v_div_fixup_f64 v[14:15], v[2:3], v[14:15], 1.0
	v_mul_f64 v[2:3], v[12:13], v[4:5]
	v_mul_f64 v[12:13], v[12:13], -v[30:31]
	v_fmac_f64_e32 v[2:3], v[30:31], v[10:11]
	v_fmac_f64_e32 v[12:13], v[4:5], v[10:11]
	v_mul_f64 v[2:3], v[14:15], v[2:3]
	v_mul_f64 v[4:5], v[14:15], v[12:13]
	ds_write_b128 v22, v[2:5]
	s_waitcnt lgkmcnt(0)
	ds_read_b128 v[10:13], v27
	ds_read_b128 v[30:33], v19
	s_waitcnt lgkmcnt(0)
	v_fmac_f64_e32 v[30:31], v[2:3], v[10:11]
	v_fmac_f64_e32 v[32:33], v[4:5], v[10:11]
	v_fmac_f64_e32 v[30:31], v[4:5], v[12:13]
	v_fma_f64 v[32:33], v[2:3], -v[12:13], v[32:33]
	ds_write_b128 v19, v[30:33]
	s_waitcnt lgkmcnt(0)
	ds_read_b128 v[10:13], v0 offset:112
	ds_read_b128 v[2:5], v22 offset:16
	s_waitcnt lgkmcnt(1)
	v_cmp_neq_f64_e32 vcc, 0, v[10:11]
	v_cmp_neq_f64_e64 s[2:3], 0, v[12:13]
	s_or_b64 vcc, vcc, s[2:3]
	v_cndmask_b32_e32 v11, v28, v11, vcc
	s_nor_b64 s[24:25], vcc, s[0:1]
	v_cndmask_b32_e32 v10, 0, v10, vcc
	v_cndmask_b32_e32 v13, 0, v13, vcc
	;; [unrolled: 1-line block ×3, first 2 shown]
	s_and_saveexec_b64 s[2:3], s[24:25]
	s_cbranch_execz .LBB63_49
; %bb.46:                               ;   in Loop: Header=BB63_18 Depth=1
	v_mbcnt_lo_u32_b32 v10, exec_lo, 0
	v_mbcnt_hi_u32_b32 v10, exec_hi, v10
	v_cmp_eq_u32_e32 vcc, 0, v10
	s_and_saveexec_b64 s[24:25], vcc
	s_cbranch_execz .LBB63_48
; %bb.47:                               ;   in Loop: Header=BB63_18 Depth=1
	v_mov_b32_e32 v10, s23
	global_atomic_smin v0, v10, s[10:11]
.LBB63_48:                              ;   in Loop: Header=BB63_18 Depth=1
	s_or_b64 exec, exec, s[24:25]
	v_mov_b64_e32 v[12:13], 0
	v_mov_b64_e32 v[10:11], 1.0
.LBB63_49:                              ;   in Loop: Header=BB63_18 Depth=1
	s_or_b64 exec, exec, s[2:3]
	ds_read_b128 v[30:33], v0 offset:96
	ds_read_b128 v[34:37], v22
	ds_read_b128 v[38:41], v25 offset:16
	v_mul_f64 v[14:15], v[12:13], v[12:13]
	v_fmac_f64_e32 v[14:15], v[10:11], v[10:11]
	s_waitcnt lgkmcnt(0)
	v_fmac_f64_e32 v[40:41], v[32:33], v[34:35]
	v_fmac_f64_e32 v[38:39], v[30:31], v[34:35]
	v_div_scale_f64 v[34:35], s[2:3], v[14:15], v[14:15], 1.0
	v_fma_f64 v[30:31], v[30:31], -v[36:37], v[40:41]
	v_rcp_f64_e32 v[40:41], v[34:35]
	v_fmac_f64_e32 v[38:39], v[32:33], v[36:37]
	v_add_f64 v[32:33], v[2:3], -v[38:39]
	v_add_f64 v[4:5], v[4:5], -v[30:31]
	v_fma_f64 v[2:3], -v[34:35], v[40:41], 1.0
	v_fmac_f64_e32 v[40:41], v[40:41], v[2:3]
	v_fma_f64 v[2:3], -v[34:35], v[40:41], 1.0
	v_fmac_f64_e32 v[40:41], v[40:41], v[2:3]
	v_div_scale_f64 v[2:3], vcc, 1.0, v[14:15], 1.0
	v_mul_f64 v[30:31], v[2:3], v[40:41]
	v_fma_f64 v[2:3], -v[34:35], v[30:31], v[2:3]
	s_nop 1
	v_div_fmas_f64 v[2:3], v[2:3], v[40:41], v[30:31]
	v_div_fixup_f64 v[14:15], v[2:3], v[14:15], 1.0
	v_mul_f64 v[2:3], v[12:13], v[4:5]
	v_mul_f64 v[12:13], v[12:13], -v[32:33]
	v_fmac_f64_e32 v[2:3], v[32:33], v[10:11]
	v_fmac_f64_e32 v[12:13], v[4:5], v[10:11]
	v_mul_f64 v[2:3], v[14:15], v[2:3]
	v_mul_f64 v[4:5], v[14:15], v[12:13]
	ds_write_b128 v22, v[2:5] offset:16
	s_waitcnt lgkmcnt(0)
	ds_read_b128 v[10:13], v27 offset:16
	ds_read_b128 v[30:33], v19
	s_waitcnt lgkmcnt(0)
	v_fmac_f64_e32 v[30:31], v[2:3], v[10:11]
	v_fmac_f64_e32 v[32:33], v[4:5], v[10:11]
	;; [unrolled: 1-line block ×3, first 2 shown]
	v_fma_f64 v[32:33], v[2:3], -v[12:13], v[32:33]
	ds_write_b128 v19, v[30:33]
	s_waitcnt lgkmcnt(0)
	ds_read_b128 v[10:13], v0 offset:224
	ds_read_b128 v[2:5], v22 offset:32
	s_waitcnt lgkmcnt(1)
	v_cmp_neq_f64_e32 vcc, 0, v[10:11]
	v_cmp_neq_f64_e64 s[2:3], 0, v[12:13]
	s_or_b64 vcc, vcc, s[2:3]
	v_cndmask_b32_e32 v11, v28, v11, vcc
	s_nor_b64 s[24:25], vcc, s[0:1]
	v_cndmask_b32_e32 v10, 0, v10, vcc
	v_cndmask_b32_e32 v13, 0, v13, vcc
	v_cndmask_b32_e32 v12, 0, v12, vcc
	s_and_saveexec_b64 s[2:3], s[24:25]
	s_cbranch_execz .LBB63_53
; %bb.50:                               ;   in Loop: Header=BB63_18 Depth=1
	v_mbcnt_lo_u32_b32 v10, exec_lo, 0
	v_mbcnt_hi_u32_b32 v10, exec_hi, v10
	v_cmp_eq_u32_e32 vcc, 0, v10
	s_and_saveexec_b64 s[24:25], vcc
	s_cbranch_execz .LBB63_52
; %bb.51:                               ;   in Loop: Header=BB63_18 Depth=1
	v_mov_b32_e32 v10, s23
	global_atomic_smin v0, v10, s[10:11]
.LBB63_52:                              ;   in Loop: Header=BB63_18 Depth=1
	s_or_b64 exec, exec, s[24:25]
	v_mov_b64_e32 v[12:13], 0
	v_mov_b64_e32 v[10:11], 1.0
.LBB63_53:                              ;   in Loop: Header=BB63_18 Depth=1
	s_or_b64 exec, exec, s[2:3]
	ds_read_b128 v[30:33], v22
	ds_read_b128 v[34:37], v0 offset:192
	ds_read_b128 v[38:41], v25 offset:32
	;; [unrolled: 1-line block ×4, first 2 shown]
	s_waitcnt lgkmcnt(2)
	v_fmac_f64_e32 v[40:41], v[36:37], v[30:31]
	v_fmac_f64_e32 v[38:39], v[34:35], v[30:31]
	v_mul_f64 v[30:31], v[12:13], v[12:13]
	v_fmac_f64_e32 v[30:31], v[10:11], v[10:11]
	v_fma_f64 v[14:15], v[34:35], -v[32:33], v[40:41]
	v_fmac_f64_e32 v[38:39], v[36:37], v[32:33]
	v_div_scale_f64 v[32:33], s[2:3], v[30:31], v[30:31], 1.0
	v_rcp_f64_e32 v[34:35], v[32:33]
	s_waitcnt lgkmcnt(0)
	v_fmac_f64_e32 v[38:39], v[42:43], v[46:47]
	v_fmac_f64_e32 v[38:39], v[44:45], v[48:49]
	v_add_f64 v[36:37], v[2:3], -v[38:39]
	v_fma_f64 v[2:3], -v[32:33], v[34:35], 1.0
	v_fmac_f64_e32 v[34:35], v[34:35], v[2:3]
	v_fmac_f64_e32 v[14:15], v[44:45], v[46:47]
	v_fma_f64 v[2:3], -v[32:33], v[34:35], 1.0
	v_fma_f64 v[14:15], v[42:43], -v[48:49], v[14:15]
	v_fmac_f64_e32 v[34:35], v[34:35], v[2:3]
	v_div_scale_f64 v[2:3], vcc, 1.0, v[30:31], 1.0
	v_add_f64 v[4:5], v[4:5], -v[14:15]
	v_mul_f64 v[14:15], v[2:3], v[34:35]
	v_fma_f64 v[2:3], -v[32:33], v[14:15], v[2:3]
	s_nop 0
	v_div_fmas_f64 v[2:3], v[2:3], v[34:35], v[14:15]
	v_div_fixup_f64 v[14:15], v[2:3], v[30:31], 1.0
	v_mul_f64 v[2:3], v[12:13], v[4:5]
	v_mul_f64 v[12:13], v[12:13], -v[36:37]
	v_fmac_f64_e32 v[2:3], v[36:37], v[10:11]
	v_fmac_f64_e32 v[12:13], v[4:5], v[10:11]
	v_mul_f64 v[2:3], v[14:15], v[2:3]
	v_mul_f64 v[4:5], v[14:15], v[12:13]
	ds_write_b128 v22, v[2:5] offset:32
	s_waitcnt lgkmcnt(0)
	ds_read_b128 v[10:13], v27 offset:32
	ds_read_b128 v[30:33], v19
	s_waitcnt lgkmcnt(0)
	v_fmac_f64_e32 v[30:31], v[2:3], v[10:11]
	v_fmac_f64_e32 v[32:33], v[4:5], v[10:11]
	;; [unrolled: 1-line block ×3, first 2 shown]
	v_fma_f64 v[32:33], v[2:3], -v[12:13], v[32:33]
	ds_write_b128 v19, v[30:33]
	s_waitcnt lgkmcnt(0)
	ds_read_b128 v[10:13], v0 offset:336
	ds_read_b128 v[2:5], v22 offset:48
	s_waitcnt lgkmcnt(1)
	v_cmp_neq_f64_e32 vcc, 0, v[10:11]
	v_cmp_neq_f64_e64 s[2:3], 0, v[12:13]
	s_or_b64 vcc, vcc, s[2:3]
	v_cndmask_b32_e32 v11, v28, v11, vcc
	s_nor_b64 s[24:25], vcc, s[0:1]
	v_cndmask_b32_e32 v10, 0, v10, vcc
	v_cndmask_b32_e32 v13, 0, v13, vcc
	;; [unrolled: 1-line block ×3, first 2 shown]
	s_and_saveexec_b64 s[2:3], s[24:25]
	s_cbranch_execz .LBB63_57
; %bb.54:                               ;   in Loop: Header=BB63_18 Depth=1
	v_mbcnt_lo_u32_b32 v10, exec_lo, 0
	v_mbcnt_hi_u32_b32 v10, exec_hi, v10
	v_cmp_eq_u32_e32 vcc, 0, v10
	s_and_saveexec_b64 s[24:25], vcc
	s_cbranch_execz .LBB63_56
; %bb.55:                               ;   in Loop: Header=BB63_18 Depth=1
	v_mov_b32_e32 v10, s23
	global_atomic_smin v0, v10, s[10:11]
.LBB63_56:                              ;   in Loop: Header=BB63_18 Depth=1
	s_or_b64 exec, exec, s[24:25]
	v_mov_b64_e32 v[12:13], 0
	v_mov_b64_e32 v[10:11], 1.0
.LBB63_57:                              ;   in Loop: Header=BB63_18 Depth=1
	s_or_b64 exec, exec, s[2:3]
	ds_read_b128 v[30:33], v22
	ds_read_b128 v[34:37], v25 offset:48
	ds_read_b128 v[38:41], v0 offset:288
	;; [unrolled: 1-line block ×6, first 2 shown]
	s_waitcnt lgkmcnt(4)
	v_fmac_f64_e32 v[36:37], v[40:41], v[30:31]
	v_fmac_f64_e32 v[34:35], v[38:39], v[30:31]
	v_mul_f64 v[30:31], v[12:13], v[12:13]
	v_fmac_f64_e32 v[30:31], v[10:11], v[10:11]
	v_fma_f64 v[14:15], v[38:39], -v[32:33], v[36:37]
	v_fmac_f64_e32 v[34:35], v[40:41], v[32:33]
	v_div_scale_f64 v[32:33], s[2:3], v[30:31], v[30:31], 1.0
	s_waitcnt lgkmcnt(2)
	v_fmac_f64_e32 v[34:35], v[42:43], v[46:47]
	v_rcp_f64_e32 v[36:37], v[32:33]
	v_fmac_f64_e32 v[34:35], v[44:45], v[48:49]
	s_waitcnt lgkmcnt(0)
	v_fmac_f64_e32 v[34:35], v[54:55], v[50:51]
	v_fmac_f64_e32 v[34:35], v[56:57], v[52:53]
	v_fmac_f64_e32 v[14:15], v[44:45], v[46:47]
	v_add_f64 v[34:35], v[2:3], -v[34:35]
	v_fma_f64 v[2:3], -v[32:33], v[36:37], 1.0
	v_fma_f64 v[14:15], v[42:43], -v[48:49], v[14:15]
	v_fmac_f64_e32 v[36:37], v[36:37], v[2:3]
	v_fmac_f64_e32 v[14:15], v[56:57], v[50:51]
	v_fma_f64 v[2:3], -v[32:33], v[36:37], 1.0
	v_fma_f64 v[14:15], v[54:55], -v[52:53], v[14:15]
	v_fmac_f64_e32 v[36:37], v[36:37], v[2:3]
	v_div_scale_f64 v[2:3], vcc, 1.0, v[30:31], 1.0
	v_add_f64 v[4:5], v[4:5], -v[14:15]
	v_mul_f64 v[14:15], v[2:3], v[36:37]
	v_fma_f64 v[2:3], -v[32:33], v[14:15], v[2:3]
	s_nop 0
	v_div_fmas_f64 v[2:3], v[2:3], v[36:37], v[14:15]
	v_div_fixup_f64 v[14:15], v[2:3], v[30:31], 1.0
	v_mul_f64 v[2:3], v[12:13], v[4:5]
	v_mul_f64 v[12:13], v[12:13], -v[34:35]
	v_fmac_f64_e32 v[2:3], v[34:35], v[10:11]
	v_fmac_f64_e32 v[12:13], v[4:5], v[10:11]
	v_mul_f64 v[2:3], v[14:15], v[2:3]
	v_mul_f64 v[4:5], v[14:15], v[12:13]
	ds_write_b128 v22, v[2:5] offset:48
	s_waitcnt lgkmcnt(0)
	ds_read_b128 v[10:13], v27 offset:48
	ds_read_b128 v[30:33], v19
	s_waitcnt lgkmcnt(0)
	v_fmac_f64_e32 v[30:31], v[2:3], v[10:11]
	v_fmac_f64_e32 v[32:33], v[4:5], v[10:11]
	;; [unrolled: 1-line block ×3, first 2 shown]
	v_fma_f64 v[32:33], v[2:3], -v[12:13], v[32:33]
	ds_write_b128 v19, v[30:33]
	s_waitcnt lgkmcnt(0)
	ds_read_b128 v[10:13], v0 offset:448
	ds_read_b128 v[2:5], v22 offset:64
	s_waitcnt lgkmcnt(1)
	v_cmp_neq_f64_e32 vcc, 0, v[10:11]
	v_cmp_neq_f64_e64 s[2:3], 0, v[12:13]
	s_or_b64 vcc, vcc, s[2:3]
	v_cndmask_b32_e32 v11, v28, v11, vcc
	s_nor_b64 s[24:25], vcc, s[0:1]
	v_cndmask_b32_e32 v10, 0, v10, vcc
	v_cndmask_b32_e32 v13, 0, v13, vcc
	;; [unrolled: 1-line block ×3, first 2 shown]
	s_and_saveexec_b64 s[2:3], s[24:25]
	s_cbranch_execz .LBB63_17
; %bb.58:                               ;   in Loop: Header=BB63_18 Depth=1
	v_mbcnt_lo_u32_b32 v10, exec_lo, 0
	v_mbcnt_hi_u32_b32 v10, exec_hi, v10
	v_cmp_eq_u32_e32 vcc, 0, v10
	s_and_saveexec_b64 s[24:25], vcc
	s_cbranch_execz .LBB63_16
; %bb.59:                               ;   in Loop: Header=BB63_18 Depth=1
	v_mov_b32_e32 v10, s23
	global_atomic_smin v0, v10, s[10:11]
	s_branch .LBB63_16
.LBB63_60:                              ;   in Loop: Header=BB63_18 Depth=1
                                        ; implicit-def: $sgpr22
	s_cbranch_execz .LBB63_18
.LBB63_61:
	s_cmp_lg_u32 s33, 0
	s_cselect_b64 s[12:13], -1, 0
	s_cmp_eq_u32 s33, 0
	v_mov_b32_e32 v0, v17
	s_cbranch_scc1 .LBB63_63
; %bb.62:
	v_mad_u32_u24 v0, v7, 5, v16
.LBB63_63:
	s_mul_i32 s30, s30, 25
	v_add_u32_e32 v0, s30, v0
	v_ashrrev_i32_e32 v1, 31, v0
	v_lshl_add_u64 v[0:1], v[0:1], 4, s[18:19]
	global_load_dwordx4 v[0:3], v[0:1], off
	s_movk_i32 s0, 0x60
	v_mov_b32_e32 v4, 0x3c0
	v_mad_u32_u24 v8, v16, s0, v4
	v_cmp_ne_u32_e64 s[2:3], 0, v16
	v_lshl_add_u32 v6, v7, 4, v8
	v_cmp_eq_u32_e32 vcc, 0, v16
	s_waitcnt vmcnt(0)
	ds_write2_b64 v6, v[0:1], v[2:3] offset1:1
	s_waitcnt lgkmcnt(0)
	s_and_saveexec_b64 s[0:1], vcc
	s_cbranch_execz .LBB63_72
; %bb.64:
	v_mov_b32_e32 v4, 0
	ds_read_b128 v[0:3], v4 offset:1440
	ds_read_b128 v[10:13], v4 offset:960
	s_waitcnt lgkmcnt(0)
	v_add_f64 v[0:1], v[10:11], -v[0:1]
	v_add_f64 v[4:5], v[12:13], -v[2:3]
	v_xor_b32_e32 v2, 0x80000000, v1
	v_cmp_gt_f64_e32 vcc, 0, v[0:1]
	v_xor_b32_e32 v3, 0x80000000, v5
	s_nop 0
	v_cndmask_b32_e32 v1, v1, v2, vcc
	v_cmp_gt_f64_e32 vcc, 0, v[4:5]
	v_mov_b32_e32 v2, v4
	s_nop 0
	v_cndmask_b32_e32 v3, v5, v3, vcc
	v_cmp_ngt_f64_e32 vcc, v[0:1], v[2:3]
	s_cbranch_vccz .LBB63_69
; %bb.65:
	v_cmp_eq_f64_e32 vcc, 0, v[4:5]
	s_mov_b64 s[4:5], 0
	s_cbranch_vccnz .LBB63_139
; %bb.66:
	v_div_scale_f64 v[4:5], s[14:15], v[2:3], v[2:3], v[0:1]
	v_rcp_f64_e32 v[10:11], v[4:5]
	v_div_scale_f64 v[12:13], vcc, v[0:1], v[2:3], v[0:1]
	s_mov_b32 s14, 0
	v_fma_f64 v[14:15], -v[4:5], v[10:11], 1.0
	v_fmac_f64_e32 v[10:11], v[10:11], v[14:15]
	v_fma_f64 v[14:15], -v[4:5], v[10:11], 1.0
	v_fmac_f64_e32 v[10:11], v[10:11], v[14:15]
	v_mul_f64 v[14:15], v[12:13], v[10:11]
	v_fma_f64 v[4:5], -v[4:5], v[14:15], v[12:13]
	v_div_fmas_f64 v[4:5], v[4:5], v[10:11], v[14:15]
	v_div_fixup_f64 v[4:5], v[4:5], v[2:3], v[0:1]
	v_fma_f64 v[4:5], v[4:5], v[4:5], 1.0
	s_brev_b32 s15, 8
	v_cmp_gt_f64_e32 vcc, s[14:15], v[4:5]
	s_and_b64 s[14:15], vcc, exec
	s_cselect_b32 s14, 0x100, 0
	v_ldexp_f64 v[4:5], v[4:5], s14
	v_rsq_f64_e32 v[10:11], v[4:5]
	s_cselect_b32 s14, 0xffffff80, 0
	v_mov_b32_e32 v9, 0x260
	v_cmp_class_f64_e32 vcc, v[4:5], v9
	v_mul_f64 v[12:13], v[4:5], v[10:11]
	v_mul_f64 v[10:11], v[10:11], 0.5
	v_fma_f64 v[14:15], -v[10:11], v[12:13], 0.5
	v_fmac_f64_e32 v[12:13], v[12:13], v[14:15]
	v_fma_f64 v[22:23], -v[12:13], v[12:13], v[4:5]
	v_fmac_f64_e32 v[10:11], v[10:11], v[14:15]
	v_fmac_f64_e32 v[12:13], v[22:23], v[10:11]
	v_fma_f64 v[14:15], -v[12:13], v[12:13], v[4:5]
	v_fmac_f64_e32 v[12:13], v[14:15], v[10:11]
	v_ldexp_f64 v[10:11], v[12:13], s14
	v_cndmask_b32_e32 v5, v11, v5, vcc
	v_cndmask_b32_e32 v4, v10, v4, vcc
	v_mul_f64 v[4:5], v[2:3], v[4:5]
	s_andn2_b64 vcc, exec, s[4:5]
	s_cbranch_vccz .LBB63_70
	s_branch .LBB63_71
.LBB63_67:
	s_cbranch_execnz .LBB63_133
.LBB63_68:
	s_endpgm
.LBB63_69:
                                        ; implicit-def: $vgpr4_vgpr5
.LBB63_70:
	v_div_scale_f64 v[4:5], s[4:5], v[0:1], v[0:1], v[2:3]
	v_rcp_f64_e32 v[10:11], v[4:5]
	v_div_scale_f64 v[12:13], vcc, v[2:3], v[0:1], v[2:3]
	s_mov_b32 s4, 0
	v_fma_f64 v[14:15], -v[4:5], v[10:11], 1.0
	v_fmac_f64_e32 v[10:11], v[10:11], v[14:15]
	v_fma_f64 v[14:15], -v[4:5], v[10:11], 1.0
	v_fmac_f64_e32 v[10:11], v[10:11], v[14:15]
	v_mul_f64 v[14:15], v[12:13], v[10:11]
	v_fma_f64 v[4:5], -v[4:5], v[14:15], v[12:13]
	v_div_fmas_f64 v[4:5], v[4:5], v[10:11], v[14:15]
	v_div_fixup_f64 v[2:3], v[4:5], v[0:1], v[2:3]
	v_fma_f64 v[2:3], v[2:3], v[2:3], 1.0
	s_brev_b32 s5, 8
	v_cmp_gt_f64_e32 vcc, s[4:5], v[2:3]
	s_and_b64 s[4:5], vcc, exec
	s_cselect_b32 s4, 0x100, 0
	v_ldexp_f64 v[2:3], v[2:3], s4
	v_rsq_f64_e32 v[4:5], v[2:3]
	s_cselect_b32 s4, 0xffffff80, 0
	v_mov_b32_e32 v9, 0x260
	v_cmp_class_f64_e32 vcc, v[2:3], v9
	v_mul_f64 v[10:11], v[2:3], v[4:5]
	v_mul_f64 v[4:5], v[4:5], 0.5
	v_fma_f64 v[12:13], -v[4:5], v[10:11], 0.5
	v_fmac_f64_e32 v[10:11], v[10:11], v[12:13]
	v_fma_f64 v[14:15], -v[10:11], v[10:11], v[2:3]
	v_fmac_f64_e32 v[4:5], v[4:5], v[12:13]
	v_fmac_f64_e32 v[10:11], v[14:15], v[4:5]
	v_fma_f64 v[12:13], -v[10:11], v[10:11], v[2:3]
	v_fmac_f64_e32 v[10:11], v[12:13], v[4:5]
	v_ldexp_f64 v[4:5], v[10:11], s4
	v_cndmask_b32_e32 v3, v5, v3, vcc
	v_cndmask_b32_e32 v2, v4, v2, vcc
	v_mul_f64 v[4:5], v[0:1], v[2:3]
.LBB63_71:
	s_mov_b32 s4, 0
	s_brev_b32 s5, 8
	v_cmp_gt_f64_e32 vcc, s[4:5], v[4:5]
	s_and_b64 s[4:5], vcc, exec
	s_cselect_b32 s4, 0x100, 0
	v_ldexp_f64 v[0:1], v[4:5], s4
	v_rsq_f64_e32 v[2:3], v[0:1]
	s_cselect_b32 s4, 0xffffff80, 0
	v_mul_f64 v[4:5], v[0:1], v[2:3]
	v_mul_f64 v[2:3], v[2:3], 0.5
	v_fma_f64 v[10:11], -v[2:3], v[4:5], 0.5
	v_fmac_f64_e32 v[4:5], v[4:5], v[10:11]
	v_fmac_f64_e32 v[2:3], v[2:3], v[10:11]
	v_fma_f64 v[10:11], -v[4:5], v[4:5], v[0:1]
	v_fmac_f64_e32 v[4:5], v[10:11], v[2:3]
	v_fma_f64 v[10:11], -v[4:5], v[4:5], v[0:1]
	v_fmac_f64_e32 v[4:5], v[10:11], v[2:3]
	v_ldexp_f64 v[2:3], v[4:5], s4
	v_mov_b32_e32 v4, 0x260
	v_cmp_class_f64_e32 vcc, v[0:1], v4
	s_nop 1
	v_cndmask_b32_e32 v0, v2, v0, vcc
	v_mov_b32_e32 v2, 0
	v_cndmask_b32_e32 v1, v3, v1, vcc
	v_mov_b32_e32 v3, v2
	ds_write_b128 v2, v[0:3] offset:960
.LBB63_72:
	s_or_b64 exec, exec, s[0:1]
	v_mov_b32_e32 v0, 0
	s_waitcnt lgkmcnt(0)
	ds_read_b128 v[0:3], v0 offset:960
	v_or_b32_e32 v9, v7, v16
	v_cmp_ne_u32_e64 s[0:1], 0, v9
	v_mov_b32_e32 v4, 0x3ff00000
	s_add_i32 s20, s16, s17
	s_waitcnt lgkmcnt(0)
	v_cmp_neq_f64_e32 vcc, 0, v[0:1]
	v_cmp_neq_f64_e64 s[4:5], 0, v[2:3]
	s_or_b64 vcc, vcc, s[4:5]
	v_cndmask_b32_e32 v1, v4, v1, vcc
	s_nor_b64 s[14:15], vcc, s[0:1]
	v_cndmask_b32_e32 v0, 0, v0, vcc
	v_cndmask_b32_e32 v3, 0, v3, vcc
	;; [unrolled: 1-line block ×3, first 2 shown]
	s_and_saveexec_b64 s[4:5], s[14:15]
	s_cbranch_execz .LBB63_76
; %bb.73:
	v_mbcnt_lo_u32_b32 v0, exec_lo, 0
	v_mbcnt_hi_u32_b32 v0, exec_hi, v0
	v_cmp_eq_u32_e32 vcc, 0, v0
	s_and_saveexec_b64 s[14:15], vcc
	s_cbranch_execz .LBB63_75
; %bb.74:
	v_mov_b32_e32 v0, 0
	v_mov_b32_e32 v1, s20
	global_atomic_smin v0, v1, s[10:11]
.LBB63_75:
	s_or_b64 exec, exec, s[14:15]
	v_mov_b64_e32 v[2:3], 0
	v_mov_b64_e32 v[0:1], 1.0
.LBB63_76:
	s_or_b64 exec, exec, s[4:5]
	s_movk_i32 s4, 0x60
	v_mov_b32_e32 v4, 0x3c0
	v_mad_u32_u24 v10, v7, s4, v4
	s_and_saveexec_b64 s[4:5], s[2:3]
	s_cbranch_execz .LBB63_78
; %bb.77:
	v_mul_f64 v[4:5], v[2:3], v[2:3]
	v_fmac_f64_e32 v[4:5], v[0:1], v[0:1]
	ds_read_b128 v[12:15], v8
	ds_read_b128 v[22:25], v20
	v_div_scale_f64 v[26:27], s[2:3], v[4:5], v[4:5], 1.0
	v_rcp_f64_e32 v[28:29], v[26:27]
	s_waitcnt lgkmcnt(0)
	v_add_f64 v[22:23], v[12:13], -v[22:23]
	v_add_f64 v[14:15], v[14:15], -v[24:25]
	v_fma_f64 v[12:13], -v[26:27], v[28:29], 1.0
	v_fmac_f64_e32 v[28:29], v[28:29], v[12:13]
	v_fma_f64 v[12:13], -v[26:27], v[28:29], 1.0
	v_fmac_f64_e32 v[28:29], v[28:29], v[12:13]
	v_div_scale_f64 v[12:13], vcc, 1.0, v[4:5], 1.0
	v_mul_f64 v[24:25], v[12:13], v[28:29]
	v_fma_f64 v[12:13], -v[26:27], v[24:25], v[12:13]
	s_nop 1
	v_div_fmas_f64 v[12:13], v[12:13], v[28:29], v[24:25]
	v_div_fixup_f64 v[4:5], v[12:13], v[4:5], 1.0
	v_mul_f64 v[12:13], v[2:3], v[14:15]
	v_mul_f64 v[2:3], v[2:3], -v[22:23]
	v_fmac_f64_e32 v[12:13], v[22:23], v[0:1]
	v_fmac_f64_e32 v[2:3], v[14:15], v[0:1]
	v_mul_f64 v[12:13], v[4:5], v[12:13]
	v_mul_f64 v[14:15], v[4:5], v[2:3]
	ds_write_b128 v8, v[12:15]
	s_waitcnt lgkmcnt(0)
	ds_read_b128 v[0:3], v10
	ds_read_b128 v[22:25], v19
	s_waitcnt lgkmcnt(0)
	v_fmac_f64_e32 v[22:23], v[12:13], v[0:1]
	v_fmac_f64_e32 v[24:25], v[14:15], v[0:1]
	;; [unrolled: 1-line block ×3, first 2 shown]
	v_fma_f64 v[24:25], v[12:13], -v[2:3], v[24:25]
	ds_write_b128 v19, v[22:25]
.LBB63_78:
	s_or_b64 exec, exec, s[4:5]
	v_cmp_eq_u32_e32 vcc, 1, v16
	s_waitcnt lgkmcnt(0)
	s_and_saveexec_b64 s[2:3], vcc
	s_cbranch_execz .LBB63_85
; %bb.79:
	v_mov_b32_e32 v4, 0
	ds_read_b128 v[0:3], v4 offset:1552
	ds_read_b128 v[12:15], v4 offset:1072
	s_waitcnt lgkmcnt(0)
	v_add_f64 v[0:1], v[12:13], -v[0:1]
	v_add_f64 v[4:5], v[14:15], -v[2:3]
	v_xor_b32_e32 v2, 0x80000000, v1
	v_cmp_gt_f64_e32 vcc, 0, v[0:1]
	v_xor_b32_e32 v3, 0x80000000, v5
	s_nop 0
	v_cndmask_b32_e32 v1, v1, v2, vcc
	v_cmp_gt_f64_e32 vcc, 0, v[4:5]
	v_mov_b32_e32 v2, v4
	s_nop 0
	v_cndmask_b32_e32 v3, v5, v3, vcc
	v_cmp_gt_f64_e32 vcc, v[0:1], v[2:3]
	s_cbranch_vccnz .LBB63_82
; %bb.80:
	v_cmp_eq_f64_e32 vcc, 0, v[4:5]
	s_mov_b64 s[4:5], 0
	s_cbranch_vccnz .LBB63_140
; %bb.81:
	v_div_scale_f64 v[4:5], s[14:15], v[2:3], v[2:3], v[0:1]
	v_rcp_f64_e32 v[12:13], v[4:5]
	v_div_scale_f64 v[14:15], vcc, v[0:1], v[2:3], v[0:1]
	s_mov_b32 s14, 0
	v_fma_f64 v[22:23], -v[4:5], v[12:13], 1.0
	v_fmac_f64_e32 v[12:13], v[12:13], v[22:23]
	v_fma_f64 v[22:23], -v[4:5], v[12:13], 1.0
	v_fmac_f64_e32 v[12:13], v[12:13], v[22:23]
	v_mul_f64 v[22:23], v[14:15], v[12:13]
	v_fma_f64 v[4:5], -v[4:5], v[22:23], v[14:15]
	v_div_fmas_f64 v[4:5], v[4:5], v[12:13], v[22:23]
	v_div_fixup_f64 v[4:5], v[4:5], v[2:3], v[0:1]
	v_fma_f64 v[4:5], v[4:5], v[4:5], 1.0
	s_brev_b32 s15, 8
	v_cmp_gt_f64_e32 vcc, s[14:15], v[4:5]
	s_and_b64 s[14:15], vcc, exec
	s_cselect_b32 s14, 0x100, 0
	v_ldexp_f64 v[4:5], v[4:5], s14
	v_rsq_f64_e32 v[12:13], v[4:5]
	s_cselect_b32 s14, 0xffffff80, 0
	v_mov_b32_e32 v11, 0x260
	v_cmp_class_f64_e32 vcc, v[4:5], v11
	v_mul_f64 v[14:15], v[4:5], v[12:13]
	v_mul_f64 v[12:13], v[12:13], 0.5
	v_fma_f64 v[22:23], -v[12:13], v[14:15], 0.5
	v_fmac_f64_e32 v[14:15], v[14:15], v[22:23]
	v_fma_f64 v[24:25], -v[14:15], v[14:15], v[4:5]
	v_fmac_f64_e32 v[12:13], v[12:13], v[22:23]
	v_fmac_f64_e32 v[14:15], v[24:25], v[12:13]
	v_fma_f64 v[22:23], -v[14:15], v[14:15], v[4:5]
	v_fmac_f64_e32 v[14:15], v[22:23], v[12:13]
	v_ldexp_f64 v[12:13], v[14:15], s14
	v_cndmask_b32_e32 v5, v13, v5, vcc
	v_cndmask_b32_e32 v4, v12, v4, vcc
	v_mul_f64 v[4:5], v[2:3], v[4:5]
	s_andn2_b64 vcc, exec, s[4:5]
	s_cbranch_vccz .LBB63_83
	s_branch .LBB63_84
.LBB63_82:
                                        ; implicit-def: $vgpr4_vgpr5
.LBB63_83:
	v_div_scale_f64 v[4:5], s[4:5], v[0:1], v[0:1], v[2:3]
	v_rcp_f64_e32 v[12:13], v[4:5]
	v_div_scale_f64 v[14:15], vcc, v[2:3], v[0:1], v[2:3]
	s_mov_b32 s4, 0
	v_fma_f64 v[22:23], -v[4:5], v[12:13], 1.0
	v_fmac_f64_e32 v[12:13], v[12:13], v[22:23]
	v_fma_f64 v[22:23], -v[4:5], v[12:13], 1.0
	v_fmac_f64_e32 v[12:13], v[12:13], v[22:23]
	v_mul_f64 v[22:23], v[14:15], v[12:13]
	v_fma_f64 v[4:5], -v[4:5], v[22:23], v[14:15]
	v_div_fmas_f64 v[4:5], v[4:5], v[12:13], v[22:23]
	v_div_fixup_f64 v[2:3], v[4:5], v[0:1], v[2:3]
	v_fma_f64 v[2:3], v[2:3], v[2:3], 1.0
	s_brev_b32 s5, 8
	v_cmp_gt_f64_e32 vcc, s[4:5], v[2:3]
	s_and_b64 s[4:5], vcc, exec
	s_cselect_b32 s4, 0x100, 0
	v_ldexp_f64 v[2:3], v[2:3], s4
	v_rsq_f64_e32 v[4:5], v[2:3]
	s_cselect_b32 s4, 0xffffff80, 0
	v_mov_b32_e32 v11, 0x260
	v_cmp_class_f64_e32 vcc, v[2:3], v11
	v_mul_f64 v[12:13], v[2:3], v[4:5]
	v_mul_f64 v[4:5], v[4:5], 0.5
	v_fma_f64 v[14:15], -v[4:5], v[12:13], 0.5
	v_fmac_f64_e32 v[12:13], v[12:13], v[14:15]
	v_fma_f64 v[22:23], -v[12:13], v[12:13], v[2:3]
	v_fmac_f64_e32 v[4:5], v[4:5], v[14:15]
	v_fmac_f64_e32 v[12:13], v[22:23], v[4:5]
	v_fma_f64 v[14:15], -v[12:13], v[12:13], v[2:3]
	v_fmac_f64_e32 v[12:13], v[14:15], v[4:5]
	v_ldexp_f64 v[4:5], v[12:13], s4
	v_cndmask_b32_e32 v3, v5, v3, vcc
	v_cndmask_b32_e32 v2, v4, v2, vcc
	v_mul_f64 v[4:5], v[0:1], v[2:3]
.LBB63_84:
	s_mov_b32 s4, 0
	s_brev_b32 s5, 8
	v_cmp_gt_f64_e32 vcc, s[4:5], v[4:5]
	s_and_b64 s[4:5], vcc, exec
	s_cselect_b32 s4, 0x100, 0
	v_ldexp_f64 v[0:1], v[4:5], s4
	v_rsq_f64_e32 v[2:3], v[0:1]
	s_cselect_b32 s4, 0xffffff80, 0
	v_mul_f64 v[4:5], v[0:1], v[2:3]
	v_mul_f64 v[2:3], v[2:3], 0.5
	v_fma_f64 v[12:13], -v[2:3], v[4:5], 0.5
	v_fmac_f64_e32 v[4:5], v[4:5], v[12:13]
	v_fmac_f64_e32 v[2:3], v[2:3], v[12:13]
	v_fma_f64 v[12:13], -v[4:5], v[4:5], v[0:1]
	v_fmac_f64_e32 v[4:5], v[12:13], v[2:3]
	v_fma_f64 v[12:13], -v[4:5], v[4:5], v[0:1]
	v_fmac_f64_e32 v[4:5], v[12:13], v[2:3]
	v_ldexp_f64 v[2:3], v[4:5], s4
	v_mov_b32_e32 v4, 0x260
	v_cmp_class_f64_e32 vcc, v[0:1], v4
	s_nop 1
	v_cndmask_b32_e32 v0, v2, v0, vcc
	v_mov_b32_e32 v2, 0
	v_cndmask_b32_e32 v1, v3, v1, vcc
	v_mov_b32_e32 v3, v2
	ds_write_b128 v2, v[0:3] offset:1072
.LBB63_85:
	s_or_b64 exec, exec, s[2:3]
	v_mov_b32_e32 v0, 0
	s_waitcnt lgkmcnt(0)
	ds_read_b128 v[0:3], v0 offset:1072
	v_mov_b32_e32 v4, 0x3ff00000
	s_waitcnt lgkmcnt(0)
	v_cmp_neq_f64_e32 vcc, 0, v[0:1]
	v_cmp_neq_f64_e64 s[2:3], 0, v[2:3]
	s_or_b64 vcc, vcc, s[2:3]
	v_cndmask_b32_e32 v1, v4, v1, vcc
	s_nor_b64 s[4:5], vcc, s[0:1]
	v_cndmask_b32_e32 v0, 0, v0, vcc
	v_cndmask_b32_e32 v3, 0, v3, vcc
	;; [unrolled: 1-line block ×3, first 2 shown]
	s_and_saveexec_b64 s[2:3], s[4:5]
	s_cbranch_execz .LBB63_89
; %bb.86:
	v_mbcnt_lo_u32_b32 v0, exec_lo, 0
	v_mbcnt_hi_u32_b32 v0, exec_hi, v0
	v_cmp_eq_u32_e32 vcc, 0, v0
	s_and_saveexec_b64 s[4:5], vcc
	s_cbranch_execz .LBB63_88
; %bb.87:
	v_mov_b32_e32 v0, 0
	v_mov_b32_e32 v1, s20
	global_atomic_smin v0, v1, s[10:11]
.LBB63_88:
	s_or_b64 exec, exec, s[4:5]
	v_mov_b64_e32 v[2:3], 0
	v_mov_b64_e32 v[0:1], 1.0
.LBB63_89:
	s_or_b64 exec, exec, s[2:3]
	v_cmp_lt_u32_e32 vcc, 1, v16
	s_and_saveexec_b64 s[2:3], vcc
	s_cbranch_execz .LBB63_91
; %bb.90:
	v_mul_f64 v[4:5], v[2:3], v[2:3]
	v_fmac_f64_e32 v[4:5], v[0:1], v[0:1]
	ds_read_b128 v[12:15], v8 offset:16
	ds_read_b128 v[22:25], v20 offset:16
	v_div_scale_f64 v[26:27], s[4:5], v[4:5], v[4:5], 1.0
	v_rcp_f64_e32 v[28:29], v[26:27]
	s_waitcnt lgkmcnt(0)
	v_add_f64 v[22:23], v[12:13], -v[22:23]
	v_add_f64 v[14:15], v[14:15], -v[24:25]
	v_fma_f64 v[12:13], -v[26:27], v[28:29], 1.0
	v_fmac_f64_e32 v[28:29], v[28:29], v[12:13]
	v_fma_f64 v[12:13], -v[26:27], v[28:29], 1.0
	v_fmac_f64_e32 v[28:29], v[28:29], v[12:13]
	v_div_scale_f64 v[12:13], vcc, 1.0, v[4:5], 1.0
	v_mul_f64 v[24:25], v[12:13], v[28:29]
	v_fma_f64 v[12:13], -v[26:27], v[24:25], v[12:13]
	s_nop 1
	v_div_fmas_f64 v[12:13], v[12:13], v[28:29], v[24:25]
	v_div_fixup_f64 v[4:5], v[12:13], v[4:5], 1.0
	v_mul_f64 v[12:13], v[2:3], v[14:15]
	v_mul_f64 v[2:3], v[2:3], -v[22:23]
	v_fmac_f64_e32 v[12:13], v[22:23], v[0:1]
	v_fmac_f64_e32 v[2:3], v[14:15], v[0:1]
	v_mul_f64 v[12:13], v[4:5], v[12:13]
	v_mul_f64 v[14:15], v[4:5], v[2:3]
	ds_write_b128 v8, v[12:15] offset:16
	s_waitcnt lgkmcnt(0)
	ds_read_b128 v[0:3], v10 offset:16
	ds_read_b128 v[22:25], v19
	s_waitcnt lgkmcnt(0)
	v_fmac_f64_e32 v[22:23], v[12:13], v[0:1]
	v_fmac_f64_e32 v[24:25], v[14:15], v[0:1]
	;; [unrolled: 1-line block ×3, first 2 shown]
	v_fma_f64 v[24:25], v[12:13], -v[2:3], v[24:25]
	ds_write_b128 v19, v[22:25]
.LBB63_91:
	s_or_b64 exec, exec, s[2:3]
	v_cmp_eq_u32_e32 vcc, 2, v16
	s_waitcnt lgkmcnt(0)
	s_and_saveexec_b64 s[2:3], vcc
	s_cbranch_execz .LBB63_98
; %bb.92:
	v_mov_b32_e32 v4, 0
	ds_read_b128 v[0:3], v4 offset:1664
	ds_read_b128 v[12:15], v4 offset:1184
	s_waitcnt lgkmcnt(0)
	v_add_f64 v[0:1], v[12:13], -v[0:1]
	v_add_f64 v[4:5], v[14:15], -v[2:3]
	v_xor_b32_e32 v2, 0x80000000, v1
	v_cmp_gt_f64_e32 vcc, 0, v[0:1]
	v_xor_b32_e32 v3, 0x80000000, v5
	s_nop 0
	v_cndmask_b32_e32 v1, v1, v2, vcc
	v_cmp_gt_f64_e32 vcc, 0, v[4:5]
	v_mov_b32_e32 v2, v4
	s_nop 0
	v_cndmask_b32_e32 v3, v5, v3, vcc
	v_cmp_gt_f64_e32 vcc, v[0:1], v[2:3]
	s_cbranch_vccnz .LBB63_95
; %bb.93:
	v_cmp_eq_f64_e32 vcc, 0, v[4:5]
	s_mov_b64 s[4:5], 0
	s_cbranch_vccnz .LBB63_141
; %bb.94:
	v_div_scale_f64 v[4:5], s[14:15], v[2:3], v[2:3], v[0:1]
	v_rcp_f64_e32 v[12:13], v[4:5]
	v_div_scale_f64 v[14:15], vcc, v[0:1], v[2:3], v[0:1]
	s_mov_b32 s14, 0
	v_fma_f64 v[22:23], -v[4:5], v[12:13], 1.0
	v_fmac_f64_e32 v[12:13], v[12:13], v[22:23]
	v_fma_f64 v[22:23], -v[4:5], v[12:13], 1.0
	v_fmac_f64_e32 v[12:13], v[12:13], v[22:23]
	v_mul_f64 v[22:23], v[14:15], v[12:13]
	v_fma_f64 v[4:5], -v[4:5], v[22:23], v[14:15]
	v_div_fmas_f64 v[4:5], v[4:5], v[12:13], v[22:23]
	v_div_fixup_f64 v[4:5], v[4:5], v[2:3], v[0:1]
	v_fma_f64 v[4:5], v[4:5], v[4:5], 1.0
	s_brev_b32 s15, 8
	v_cmp_gt_f64_e32 vcc, s[14:15], v[4:5]
	s_and_b64 s[14:15], vcc, exec
	s_cselect_b32 s14, 0x100, 0
	v_ldexp_f64 v[4:5], v[4:5], s14
	v_rsq_f64_e32 v[12:13], v[4:5]
	s_cselect_b32 s14, 0xffffff80, 0
	v_mov_b32_e32 v11, 0x260
	v_cmp_class_f64_e32 vcc, v[4:5], v11
	v_mul_f64 v[14:15], v[4:5], v[12:13]
	v_mul_f64 v[12:13], v[12:13], 0.5
	v_fma_f64 v[22:23], -v[12:13], v[14:15], 0.5
	v_fmac_f64_e32 v[14:15], v[14:15], v[22:23]
	v_fma_f64 v[24:25], -v[14:15], v[14:15], v[4:5]
	v_fmac_f64_e32 v[12:13], v[12:13], v[22:23]
	v_fmac_f64_e32 v[14:15], v[24:25], v[12:13]
	v_fma_f64 v[22:23], -v[14:15], v[14:15], v[4:5]
	v_fmac_f64_e32 v[14:15], v[22:23], v[12:13]
	v_ldexp_f64 v[12:13], v[14:15], s14
	v_cndmask_b32_e32 v5, v13, v5, vcc
	v_cndmask_b32_e32 v4, v12, v4, vcc
	v_mul_f64 v[4:5], v[2:3], v[4:5]
	s_andn2_b64 vcc, exec, s[4:5]
	s_cbranch_vccz .LBB63_96
	s_branch .LBB63_97
.LBB63_95:
                                        ; implicit-def: $vgpr4_vgpr5
.LBB63_96:
	v_div_scale_f64 v[4:5], s[4:5], v[0:1], v[0:1], v[2:3]
	v_rcp_f64_e32 v[12:13], v[4:5]
	v_div_scale_f64 v[14:15], vcc, v[2:3], v[0:1], v[2:3]
	s_mov_b32 s4, 0
	v_fma_f64 v[22:23], -v[4:5], v[12:13], 1.0
	v_fmac_f64_e32 v[12:13], v[12:13], v[22:23]
	v_fma_f64 v[22:23], -v[4:5], v[12:13], 1.0
	v_fmac_f64_e32 v[12:13], v[12:13], v[22:23]
	v_mul_f64 v[22:23], v[14:15], v[12:13]
	v_fma_f64 v[4:5], -v[4:5], v[22:23], v[14:15]
	v_div_fmas_f64 v[4:5], v[4:5], v[12:13], v[22:23]
	v_div_fixup_f64 v[2:3], v[4:5], v[0:1], v[2:3]
	v_fma_f64 v[2:3], v[2:3], v[2:3], 1.0
	s_brev_b32 s5, 8
	v_cmp_gt_f64_e32 vcc, s[4:5], v[2:3]
	s_and_b64 s[4:5], vcc, exec
	s_cselect_b32 s4, 0x100, 0
	v_ldexp_f64 v[2:3], v[2:3], s4
	v_rsq_f64_e32 v[4:5], v[2:3]
	s_cselect_b32 s4, 0xffffff80, 0
	v_mov_b32_e32 v11, 0x260
	v_cmp_class_f64_e32 vcc, v[2:3], v11
	v_mul_f64 v[12:13], v[2:3], v[4:5]
	v_mul_f64 v[4:5], v[4:5], 0.5
	v_fma_f64 v[14:15], -v[4:5], v[12:13], 0.5
	v_fmac_f64_e32 v[12:13], v[12:13], v[14:15]
	v_fma_f64 v[22:23], -v[12:13], v[12:13], v[2:3]
	v_fmac_f64_e32 v[4:5], v[4:5], v[14:15]
	v_fmac_f64_e32 v[12:13], v[22:23], v[4:5]
	v_fma_f64 v[14:15], -v[12:13], v[12:13], v[2:3]
	v_fmac_f64_e32 v[12:13], v[14:15], v[4:5]
	v_ldexp_f64 v[4:5], v[12:13], s4
	v_cndmask_b32_e32 v3, v5, v3, vcc
	v_cndmask_b32_e32 v2, v4, v2, vcc
	v_mul_f64 v[4:5], v[0:1], v[2:3]
.LBB63_97:
	s_mov_b32 s4, 0
	s_brev_b32 s5, 8
	v_cmp_gt_f64_e32 vcc, s[4:5], v[4:5]
	s_and_b64 s[4:5], vcc, exec
	s_cselect_b32 s4, 0x100, 0
	v_ldexp_f64 v[0:1], v[4:5], s4
	v_rsq_f64_e32 v[2:3], v[0:1]
	s_cselect_b32 s4, 0xffffff80, 0
	v_mul_f64 v[4:5], v[0:1], v[2:3]
	v_mul_f64 v[2:3], v[2:3], 0.5
	v_fma_f64 v[12:13], -v[2:3], v[4:5], 0.5
	v_fmac_f64_e32 v[4:5], v[4:5], v[12:13]
	v_fmac_f64_e32 v[2:3], v[2:3], v[12:13]
	v_fma_f64 v[12:13], -v[4:5], v[4:5], v[0:1]
	v_fmac_f64_e32 v[4:5], v[12:13], v[2:3]
	v_fma_f64 v[12:13], -v[4:5], v[4:5], v[0:1]
	v_fmac_f64_e32 v[4:5], v[12:13], v[2:3]
	v_ldexp_f64 v[2:3], v[4:5], s4
	v_mov_b32_e32 v4, 0x260
	v_cmp_class_f64_e32 vcc, v[0:1], v4
	s_nop 1
	v_cndmask_b32_e32 v0, v2, v0, vcc
	v_mov_b32_e32 v2, 0
	v_cndmask_b32_e32 v1, v3, v1, vcc
	v_mov_b32_e32 v3, v2
	ds_write_b128 v2, v[0:3] offset:1184
.LBB63_98:
	s_or_b64 exec, exec, s[2:3]
	v_mov_b32_e32 v0, 0
	s_waitcnt lgkmcnt(0)
	ds_read_b128 v[0:3], v0 offset:1184
	v_mov_b32_e32 v4, 0x3ff00000
	s_waitcnt lgkmcnt(0)
	v_cmp_neq_f64_e32 vcc, 0, v[0:1]
	v_cmp_neq_f64_e64 s[2:3], 0, v[2:3]
	s_or_b64 vcc, vcc, s[2:3]
	v_cndmask_b32_e32 v1, v4, v1, vcc
	s_nor_b64 s[4:5], vcc, s[0:1]
	v_cndmask_b32_e32 v0, 0, v0, vcc
	v_cndmask_b32_e32 v3, 0, v3, vcc
	;; [unrolled: 1-line block ×3, first 2 shown]
	s_and_saveexec_b64 s[2:3], s[4:5]
	s_cbranch_execz .LBB63_102
; %bb.99:
	v_mbcnt_lo_u32_b32 v0, exec_lo, 0
	v_mbcnt_hi_u32_b32 v0, exec_hi, v0
	v_cmp_eq_u32_e32 vcc, 0, v0
	s_and_saveexec_b64 s[4:5], vcc
	s_cbranch_execz .LBB63_101
; %bb.100:
	v_mov_b32_e32 v0, 0
	v_mov_b32_e32 v1, s20
	global_atomic_smin v0, v1, s[10:11]
.LBB63_101:
	s_or_b64 exec, exec, s[4:5]
	v_mov_b64_e32 v[2:3], 0
	v_mov_b64_e32 v[0:1], 1.0
.LBB63_102:
	s_or_b64 exec, exec, s[2:3]
	v_cmp_lt_u32_e32 vcc, 2, v16
	s_and_saveexec_b64 s[2:3], vcc
	s_cbranch_execz .LBB63_104
; %bb.103:
	v_mul_f64 v[4:5], v[2:3], v[2:3]
	v_fmac_f64_e32 v[4:5], v[0:1], v[0:1]
	ds_read_b128 v[12:15], v8 offset:32
	ds_read_b128 v[22:25], v20 offset:32
	v_div_scale_f64 v[26:27], s[4:5], v[4:5], v[4:5], 1.0
	v_rcp_f64_e32 v[28:29], v[26:27]
	s_waitcnt lgkmcnt(0)
	v_add_f64 v[22:23], v[12:13], -v[22:23]
	v_add_f64 v[14:15], v[14:15], -v[24:25]
	v_fma_f64 v[12:13], -v[26:27], v[28:29], 1.0
	v_fmac_f64_e32 v[28:29], v[28:29], v[12:13]
	v_fma_f64 v[12:13], -v[26:27], v[28:29], 1.0
	v_fmac_f64_e32 v[28:29], v[28:29], v[12:13]
	v_div_scale_f64 v[12:13], vcc, 1.0, v[4:5], 1.0
	v_mul_f64 v[24:25], v[12:13], v[28:29]
	v_fma_f64 v[12:13], -v[26:27], v[24:25], v[12:13]
	s_nop 1
	v_div_fmas_f64 v[12:13], v[12:13], v[28:29], v[24:25]
	v_div_fixup_f64 v[4:5], v[12:13], v[4:5], 1.0
	v_mul_f64 v[12:13], v[2:3], v[14:15]
	v_mul_f64 v[2:3], v[2:3], -v[22:23]
	v_fmac_f64_e32 v[12:13], v[22:23], v[0:1]
	v_fmac_f64_e32 v[2:3], v[14:15], v[0:1]
	v_mul_f64 v[12:13], v[4:5], v[12:13]
	v_mul_f64 v[14:15], v[4:5], v[2:3]
	ds_write_b128 v8, v[12:15] offset:32
	s_waitcnt lgkmcnt(0)
	ds_read_b128 v[0:3], v10 offset:32
	ds_read_b128 v[22:25], v19
	s_waitcnt lgkmcnt(0)
	v_fmac_f64_e32 v[22:23], v[12:13], v[0:1]
	v_fmac_f64_e32 v[24:25], v[14:15], v[0:1]
	;; [unrolled: 1-line block ×3, first 2 shown]
	v_fma_f64 v[24:25], v[12:13], -v[2:3], v[24:25]
	ds_write_b128 v19, v[22:25]
.LBB63_104:
	s_or_b64 exec, exec, s[2:3]
	v_cmp_eq_u32_e32 vcc, 3, v16
	s_waitcnt lgkmcnt(0)
	s_and_saveexec_b64 s[2:3], vcc
	s_cbranch_execz .LBB63_111
; %bb.105:
	v_mov_b32_e32 v4, 0
	ds_read_b128 v[0:3], v4 offset:1776
	ds_read_b128 v[12:15], v4 offset:1296
	s_waitcnt lgkmcnt(0)
	v_add_f64 v[0:1], v[12:13], -v[0:1]
	v_add_f64 v[4:5], v[14:15], -v[2:3]
	v_xor_b32_e32 v2, 0x80000000, v1
	v_cmp_gt_f64_e32 vcc, 0, v[0:1]
	v_xor_b32_e32 v3, 0x80000000, v5
	s_nop 0
	v_cndmask_b32_e32 v1, v1, v2, vcc
	v_cmp_gt_f64_e32 vcc, 0, v[4:5]
	v_mov_b32_e32 v2, v4
	s_nop 0
	v_cndmask_b32_e32 v3, v5, v3, vcc
	v_cmp_gt_f64_e32 vcc, v[0:1], v[2:3]
	s_cbranch_vccnz .LBB63_108
; %bb.106:
	v_cmp_eq_f64_e32 vcc, 0, v[4:5]
	s_mov_b64 s[4:5], 0
	s_cbranch_vccnz .LBB63_142
; %bb.107:
	v_div_scale_f64 v[4:5], s[14:15], v[2:3], v[2:3], v[0:1]
	v_rcp_f64_e32 v[12:13], v[4:5]
	v_div_scale_f64 v[14:15], vcc, v[0:1], v[2:3], v[0:1]
	s_mov_b32 s14, 0
	v_fma_f64 v[22:23], -v[4:5], v[12:13], 1.0
	v_fmac_f64_e32 v[12:13], v[12:13], v[22:23]
	v_fma_f64 v[22:23], -v[4:5], v[12:13], 1.0
	v_fmac_f64_e32 v[12:13], v[12:13], v[22:23]
	v_mul_f64 v[22:23], v[14:15], v[12:13]
	v_fma_f64 v[4:5], -v[4:5], v[22:23], v[14:15]
	v_div_fmas_f64 v[4:5], v[4:5], v[12:13], v[22:23]
	v_div_fixup_f64 v[4:5], v[4:5], v[2:3], v[0:1]
	v_fma_f64 v[4:5], v[4:5], v[4:5], 1.0
	s_brev_b32 s15, 8
	v_cmp_gt_f64_e32 vcc, s[14:15], v[4:5]
	s_and_b64 s[14:15], vcc, exec
	s_cselect_b32 s14, 0x100, 0
	v_ldexp_f64 v[4:5], v[4:5], s14
	v_rsq_f64_e32 v[12:13], v[4:5]
	s_cselect_b32 s14, 0xffffff80, 0
	v_mov_b32_e32 v11, 0x260
	v_cmp_class_f64_e32 vcc, v[4:5], v11
	v_mul_f64 v[14:15], v[4:5], v[12:13]
	v_mul_f64 v[12:13], v[12:13], 0.5
	v_fma_f64 v[22:23], -v[12:13], v[14:15], 0.5
	v_fmac_f64_e32 v[14:15], v[14:15], v[22:23]
	v_fma_f64 v[24:25], -v[14:15], v[14:15], v[4:5]
	v_fmac_f64_e32 v[12:13], v[12:13], v[22:23]
	v_fmac_f64_e32 v[14:15], v[24:25], v[12:13]
	v_fma_f64 v[22:23], -v[14:15], v[14:15], v[4:5]
	v_fmac_f64_e32 v[14:15], v[22:23], v[12:13]
	v_ldexp_f64 v[12:13], v[14:15], s14
	v_cndmask_b32_e32 v5, v13, v5, vcc
	v_cndmask_b32_e32 v4, v12, v4, vcc
	v_mul_f64 v[4:5], v[2:3], v[4:5]
	s_andn2_b64 vcc, exec, s[4:5]
	s_cbranch_vccz .LBB63_109
	s_branch .LBB63_110
.LBB63_108:
                                        ; implicit-def: $vgpr4_vgpr5
.LBB63_109:
	v_div_scale_f64 v[4:5], s[4:5], v[0:1], v[0:1], v[2:3]
	v_rcp_f64_e32 v[12:13], v[4:5]
	v_div_scale_f64 v[14:15], vcc, v[2:3], v[0:1], v[2:3]
	s_mov_b32 s4, 0
	v_fma_f64 v[22:23], -v[4:5], v[12:13], 1.0
	v_fmac_f64_e32 v[12:13], v[12:13], v[22:23]
	v_fma_f64 v[22:23], -v[4:5], v[12:13], 1.0
	v_fmac_f64_e32 v[12:13], v[12:13], v[22:23]
	v_mul_f64 v[22:23], v[14:15], v[12:13]
	v_fma_f64 v[4:5], -v[4:5], v[22:23], v[14:15]
	v_div_fmas_f64 v[4:5], v[4:5], v[12:13], v[22:23]
	v_div_fixup_f64 v[2:3], v[4:5], v[0:1], v[2:3]
	v_fma_f64 v[2:3], v[2:3], v[2:3], 1.0
	s_brev_b32 s5, 8
	v_cmp_gt_f64_e32 vcc, s[4:5], v[2:3]
	s_and_b64 s[4:5], vcc, exec
	s_cselect_b32 s4, 0x100, 0
	v_ldexp_f64 v[2:3], v[2:3], s4
	v_rsq_f64_e32 v[4:5], v[2:3]
	s_cselect_b32 s4, 0xffffff80, 0
	v_mov_b32_e32 v11, 0x260
	v_cmp_class_f64_e32 vcc, v[2:3], v11
	v_mul_f64 v[12:13], v[2:3], v[4:5]
	v_mul_f64 v[4:5], v[4:5], 0.5
	v_fma_f64 v[14:15], -v[4:5], v[12:13], 0.5
	v_fmac_f64_e32 v[12:13], v[12:13], v[14:15]
	v_fma_f64 v[22:23], -v[12:13], v[12:13], v[2:3]
	v_fmac_f64_e32 v[4:5], v[4:5], v[14:15]
	v_fmac_f64_e32 v[12:13], v[22:23], v[4:5]
	v_fma_f64 v[14:15], -v[12:13], v[12:13], v[2:3]
	v_fmac_f64_e32 v[12:13], v[14:15], v[4:5]
	v_ldexp_f64 v[4:5], v[12:13], s4
	v_cndmask_b32_e32 v3, v5, v3, vcc
	v_cndmask_b32_e32 v2, v4, v2, vcc
	v_mul_f64 v[4:5], v[0:1], v[2:3]
.LBB63_110:
	s_mov_b32 s4, 0
	s_brev_b32 s5, 8
	v_cmp_gt_f64_e32 vcc, s[4:5], v[4:5]
	s_and_b64 s[4:5], vcc, exec
	s_cselect_b32 s4, 0x100, 0
	v_ldexp_f64 v[0:1], v[4:5], s4
	v_rsq_f64_e32 v[2:3], v[0:1]
	s_cselect_b32 s4, 0xffffff80, 0
	v_mul_f64 v[4:5], v[0:1], v[2:3]
	v_mul_f64 v[2:3], v[2:3], 0.5
	v_fma_f64 v[12:13], -v[2:3], v[4:5], 0.5
	v_fmac_f64_e32 v[4:5], v[4:5], v[12:13]
	v_fmac_f64_e32 v[2:3], v[2:3], v[12:13]
	v_fma_f64 v[12:13], -v[4:5], v[4:5], v[0:1]
	v_fmac_f64_e32 v[4:5], v[12:13], v[2:3]
	v_fma_f64 v[12:13], -v[4:5], v[4:5], v[0:1]
	v_fmac_f64_e32 v[4:5], v[12:13], v[2:3]
	v_ldexp_f64 v[2:3], v[4:5], s4
	v_mov_b32_e32 v4, 0x260
	v_cmp_class_f64_e32 vcc, v[0:1], v4
	s_nop 1
	v_cndmask_b32_e32 v0, v2, v0, vcc
	v_mov_b32_e32 v2, 0
	v_cndmask_b32_e32 v1, v3, v1, vcc
	v_mov_b32_e32 v3, v2
	ds_write_b128 v2, v[0:3] offset:1296
.LBB63_111:
	s_or_b64 exec, exec, s[2:3]
	v_mov_b32_e32 v0, 0
	s_waitcnt lgkmcnt(0)
	ds_read_b128 v[0:3], v0 offset:1296
	v_mov_b32_e32 v4, 0x3ff00000
	s_waitcnt lgkmcnt(0)
	v_cmp_neq_f64_e32 vcc, 0, v[0:1]
	v_cmp_neq_f64_e64 s[2:3], 0, v[2:3]
	s_or_b64 vcc, vcc, s[2:3]
	v_cndmask_b32_e32 v1, v4, v1, vcc
	s_nor_b64 s[4:5], vcc, s[0:1]
	v_cndmask_b32_e32 v0, 0, v0, vcc
	v_cndmask_b32_e32 v3, 0, v3, vcc
	v_cndmask_b32_e32 v2, 0, v2, vcc
	s_and_saveexec_b64 s[2:3], s[4:5]
	s_cbranch_execz .LBB63_115
; %bb.112:
	v_mbcnt_lo_u32_b32 v0, exec_lo, 0
	v_mbcnt_hi_u32_b32 v0, exec_hi, v0
	v_cmp_eq_u32_e32 vcc, 0, v0
	s_and_saveexec_b64 s[4:5], vcc
	s_cbranch_execz .LBB63_114
; %bb.113:
	v_mov_b32_e32 v0, 0
	v_mov_b32_e32 v1, s20
	global_atomic_smin v0, v1, s[10:11]
.LBB63_114:
	s_or_b64 exec, exec, s[4:5]
	v_mov_b64_e32 v[2:3], 0
	v_mov_b64_e32 v[0:1], 1.0
.LBB63_115:
	s_or_b64 exec, exec, s[2:3]
	v_cmp_lt_u32_e32 vcc, 3, v16
	s_and_saveexec_b64 s[2:3], vcc
	s_cbranch_execz .LBB63_117
; %bb.116:
	v_mul_f64 v[4:5], v[2:3], v[2:3]
	v_fmac_f64_e32 v[4:5], v[0:1], v[0:1]
	ds_read_b128 v[12:15], v8 offset:48
	ds_read_b128 v[22:25], v20 offset:48
	v_div_scale_f64 v[26:27], s[4:5], v[4:5], v[4:5], 1.0
	v_rcp_f64_e32 v[28:29], v[26:27]
	s_waitcnt lgkmcnt(0)
	v_add_f64 v[22:23], v[12:13], -v[22:23]
	v_add_f64 v[14:15], v[14:15], -v[24:25]
	v_fma_f64 v[12:13], -v[26:27], v[28:29], 1.0
	v_fmac_f64_e32 v[28:29], v[28:29], v[12:13]
	v_fma_f64 v[12:13], -v[26:27], v[28:29], 1.0
	v_fmac_f64_e32 v[28:29], v[28:29], v[12:13]
	v_div_scale_f64 v[12:13], vcc, 1.0, v[4:5], 1.0
	v_mul_f64 v[24:25], v[12:13], v[28:29]
	v_fma_f64 v[12:13], -v[26:27], v[24:25], v[12:13]
	s_nop 1
	v_div_fmas_f64 v[12:13], v[12:13], v[28:29], v[24:25]
	v_div_fixup_f64 v[4:5], v[12:13], v[4:5], 1.0
	v_mul_f64 v[12:13], v[2:3], v[14:15]
	v_mul_f64 v[2:3], v[2:3], -v[22:23]
	v_fmac_f64_e32 v[12:13], v[22:23], v[0:1]
	v_fmac_f64_e32 v[2:3], v[14:15], v[0:1]
	v_mul_f64 v[12:13], v[4:5], v[12:13]
	v_mul_f64 v[14:15], v[4:5], v[2:3]
	ds_write_b128 v8, v[12:15] offset:48
	s_waitcnt lgkmcnt(0)
	ds_read_b128 v[0:3], v10 offset:48
	ds_read_b128 v[22:25], v19
	s_waitcnt lgkmcnt(0)
	v_fmac_f64_e32 v[22:23], v[12:13], v[0:1]
	v_fmac_f64_e32 v[24:25], v[14:15], v[0:1]
	;; [unrolled: 1-line block ×3, first 2 shown]
	v_fma_f64 v[24:25], v[12:13], -v[2:3], v[24:25]
	ds_write_b128 v19, v[22:25]
.LBB63_117:
	s_or_b64 exec, exec, s[2:3]
	v_cmp_eq_u32_e32 vcc, 4, v16
	s_waitcnt lgkmcnt(0)
	s_and_saveexec_b64 s[2:3], vcc
	s_cbranch_execz .LBB63_124
; %bb.118:
	v_mov_b32_e32 v4, 0
	ds_read_b128 v[0:3], v4 offset:1888
	ds_read_b128 v[12:15], v4 offset:1408
	s_waitcnt lgkmcnt(0)
	v_add_f64 v[0:1], v[12:13], -v[0:1]
	v_add_f64 v[4:5], v[14:15], -v[2:3]
	v_xor_b32_e32 v2, 0x80000000, v1
	v_cmp_gt_f64_e32 vcc, 0, v[0:1]
	v_xor_b32_e32 v3, 0x80000000, v5
	s_nop 0
	v_cndmask_b32_e32 v1, v1, v2, vcc
	v_cmp_gt_f64_e32 vcc, 0, v[4:5]
	v_mov_b32_e32 v2, v4
	s_nop 0
	v_cndmask_b32_e32 v3, v5, v3, vcc
	v_cmp_gt_f64_e32 vcc, v[0:1], v[2:3]
	s_cbranch_vccnz .LBB63_121
; %bb.119:
	v_cmp_eq_f64_e32 vcc, 0, v[4:5]
	s_mov_b64 s[4:5], 0
	s_cbranch_vccnz .LBB63_143
; %bb.120:
	v_div_scale_f64 v[4:5], s[14:15], v[2:3], v[2:3], v[0:1]
	v_rcp_f64_e32 v[12:13], v[4:5]
	v_div_scale_f64 v[14:15], vcc, v[0:1], v[2:3], v[0:1]
	s_mov_b32 s14, 0
	v_fma_f64 v[22:23], -v[4:5], v[12:13], 1.0
	v_fmac_f64_e32 v[12:13], v[12:13], v[22:23]
	v_fma_f64 v[22:23], -v[4:5], v[12:13], 1.0
	v_fmac_f64_e32 v[12:13], v[12:13], v[22:23]
	v_mul_f64 v[22:23], v[14:15], v[12:13]
	v_fma_f64 v[4:5], -v[4:5], v[22:23], v[14:15]
	v_div_fmas_f64 v[4:5], v[4:5], v[12:13], v[22:23]
	v_div_fixup_f64 v[4:5], v[4:5], v[2:3], v[0:1]
	v_fma_f64 v[4:5], v[4:5], v[4:5], 1.0
	s_brev_b32 s15, 8
	v_cmp_gt_f64_e32 vcc, s[14:15], v[4:5]
	s_and_b64 s[14:15], vcc, exec
	s_cselect_b32 s14, 0x100, 0
	v_ldexp_f64 v[4:5], v[4:5], s14
	v_rsq_f64_e32 v[12:13], v[4:5]
	s_cselect_b32 s14, 0xffffff80, 0
	v_mov_b32_e32 v11, 0x260
	v_cmp_class_f64_e32 vcc, v[4:5], v11
	v_mul_f64 v[14:15], v[4:5], v[12:13]
	v_mul_f64 v[12:13], v[12:13], 0.5
	v_fma_f64 v[22:23], -v[12:13], v[14:15], 0.5
	v_fmac_f64_e32 v[14:15], v[14:15], v[22:23]
	v_fma_f64 v[24:25], -v[14:15], v[14:15], v[4:5]
	v_fmac_f64_e32 v[12:13], v[12:13], v[22:23]
	v_fmac_f64_e32 v[14:15], v[24:25], v[12:13]
	v_fma_f64 v[22:23], -v[14:15], v[14:15], v[4:5]
	v_fmac_f64_e32 v[14:15], v[22:23], v[12:13]
	v_ldexp_f64 v[12:13], v[14:15], s14
	v_cndmask_b32_e32 v5, v13, v5, vcc
	v_cndmask_b32_e32 v4, v12, v4, vcc
	v_mul_f64 v[4:5], v[2:3], v[4:5]
	s_andn2_b64 vcc, exec, s[4:5]
	s_cbranch_vccz .LBB63_122
	s_branch .LBB63_123
.LBB63_121:
                                        ; implicit-def: $vgpr4_vgpr5
.LBB63_122:
	v_div_scale_f64 v[4:5], s[4:5], v[0:1], v[0:1], v[2:3]
	v_rcp_f64_e32 v[12:13], v[4:5]
	v_div_scale_f64 v[14:15], vcc, v[2:3], v[0:1], v[2:3]
	s_mov_b32 s4, 0
	v_fma_f64 v[22:23], -v[4:5], v[12:13], 1.0
	v_fmac_f64_e32 v[12:13], v[12:13], v[22:23]
	v_fma_f64 v[22:23], -v[4:5], v[12:13], 1.0
	v_fmac_f64_e32 v[12:13], v[12:13], v[22:23]
	v_mul_f64 v[22:23], v[14:15], v[12:13]
	v_fma_f64 v[4:5], -v[4:5], v[22:23], v[14:15]
	v_div_fmas_f64 v[4:5], v[4:5], v[12:13], v[22:23]
	v_div_fixup_f64 v[2:3], v[4:5], v[0:1], v[2:3]
	v_fma_f64 v[2:3], v[2:3], v[2:3], 1.0
	s_brev_b32 s5, 8
	v_cmp_gt_f64_e32 vcc, s[4:5], v[2:3]
	s_and_b64 s[4:5], vcc, exec
	s_cselect_b32 s4, 0x100, 0
	v_ldexp_f64 v[2:3], v[2:3], s4
	v_rsq_f64_e32 v[4:5], v[2:3]
	s_cselect_b32 s4, 0xffffff80, 0
	v_mov_b32_e32 v11, 0x260
	v_cmp_class_f64_e32 vcc, v[2:3], v11
	v_mul_f64 v[12:13], v[2:3], v[4:5]
	v_mul_f64 v[4:5], v[4:5], 0.5
	v_fma_f64 v[14:15], -v[4:5], v[12:13], 0.5
	v_fmac_f64_e32 v[12:13], v[12:13], v[14:15]
	v_fma_f64 v[22:23], -v[12:13], v[12:13], v[2:3]
	v_fmac_f64_e32 v[4:5], v[4:5], v[14:15]
	v_fmac_f64_e32 v[12:13], v[22:23], v[4:5]
	v_fma_f64 v[14:15], -v[12:13], v[12:13], v[2:3]
	v_fmac_f64_e32 v[12:13], v[14:15], v[4:5]
	v_ldexp_f64 v[4:5], v[12:13], s4
	v_cndmask_b32_e32 v3, v5, v3, vcc
	v_cndmask_b32_e32 v2, v4, v2, vcc
	v_mul_f64 v[4:5], v[0:1], v[2:3]
.LBB63_123:
	s_mov_b32 s4, 0
	s_brev_b32 s5, 8
	v_cmp_gt_f64_e32 vcc, s[4:5], v[4:5]
	s_and_b64 s[4:5], vcc, exec
	s_cselect_b32 s4, 0x100, 0
	v_ldexp_f64 v[0:1], v[4:5], s4
	v_rsq_f64_e32 v[2:3], v[0:1]
	s_cselect_b32 s4, 0xffffff80, 0
	v_mul_f64 v[4:5], v[0:1], v[2:3]
	v_mul_f64 v[2:3], v[2:3], 0.5
	v_fma_f64 v[12:13], -v[2:3], v[4:5], 0.5
	v_fmac_f64_e32 v[4:5], v[4:5], v[12:13]
	v_fmac_f64_e32 v[2:3], v[2:3], v[12:13]
	v_fma_f64 v[12:13], -v[4:5], v[4:5], v[0:1]
	v_fmac_f64_e32 v[4:5], v[12:13], v[2:3]
	v_fma_f64 v[12:13], -v[4:5], v[4:5], v[0:1]
	v_fmac_f64_e32 v[4:5], v[12:13], v[2:3]
	v_ldexp_f64 v[2:3], v[4:5], s4
	v_mov_b32_e32 v4, 0x260
	v_cmp_class_f64_e32 vcc, v[0:1], v4
	s_nop 1
	v_cndmask_b32_e32 v0, v2, v0, vcc
	v_mov_b32_e32 v2, 0
	v_cndmask_b32_e32 v1, v3, v1, vcc
	v_mov_b32_e32 v3, v2
	ds_write_b128 v2, v[0:3] offset:1408
.LBB63_124:
	s_or_b64 exec, exec, s[2:3]
	v_mov_b32_e32 v0, 0
	s_waitcnt lgkmcnt(0)
	ds_read_b128 v[0:3], v0 offset:1408
	v_mov_b32_e32 v4, 0x3ff00000
	s_waitcnt lgkmcnt(0)
	v_cmp_neq_f64_e32 vcc, 0, v[0:1]
	v_cmp_neq_f64_e64 s[2:3], 0, v[2:3]
	s_or_b64 vcc, vcc, s[2:3]
	v_cndmask_b32_e32 v1, v4, v1, vcc
	s_nor_b64 s[2:3], vcc, s[0:1]
	v_cndmask_b32_e32 v0, 0, v0, vcc
	v_cndmask_b32_e32 v3, 0, v3, vcc
	;; [unrolled: 1-line block ×3, first 2 shown]
	s_and_saveexec_b64 s[0:1], s[2:3]
	s_cbranch_execz .LBB63_137
; %bb.125:
	v_mbcnt_lo_u32_b32 v0, exec_lo, 0
	v_mbcnt_hi_u32_b32 v0, exec_hi, v0
	v_cmp_eq_u32_e32 vcc, 0, v0
	s_and_saveexec_b64 s[2:3], vcc
	s_cbranch_execz .LBB63_127
; %bb.126:
	v_mov_b32_e32 v0, 0
	v_mov_b32_e32 v1, s20
	global_atomic_smin v0, v1, s[10:11]
.LBB63_127:
	s_or_b64 exec, exec, s[2:3]
	v_mov_b64_e32 v[2:3], 0
	v_mov_b64_e32 v[0:1], 1.0
	s_or_b64 exec, exec, s[0:1]
	v_cmp_lt_u32_e32 vcc, 4, v16
	s_and_saveexec_b64 s[0:1], vcc
	s_cbranch_execnz .LBB63_138
.LBB63_128:
	s_or_b64 exec, exec, s[0:1]
	s_andn2_b64 vcc, exec, s[12:13]
	s_cbranch_vccnz .LBB63_130
.LBB63_129:
	v_mov_b32_e32 v17, v18
.LBB63_130:
	ds_read2_b64 v[0:3], v6 offset1:1
	v_add_u32_e32 v4, s30, v17
	v_ashrrev_i32_e32 v5, 31, v4
	v_lshl_add_u64 v[4:5], v[4:5], 4, s[18:19]
	v_cmp_eq_u32_e32 vcc, 0, v9
	s_waitcnt lgkmcnt(0)
	global_store_dwordx4 v[4:5], v[0:3], off
	s_and_saveexec_b64 s[0:1], vcc
	s_cbranch_execz .LBB63_132
; %bb.131:
	s_add_u32 s2, s6, s8
	s_addc_u32 s3, s7, s9
	v_mov_b32_e32 v0, 0
	v_mov_b32_e32 v1, 1
	buffer_wbl2 sc1
	s_waitcnt vmcnt(0)
	global_store_dword v0, v1, s[2:3] sc1
.LBB63_132:
	s_or_b64 exec, exec, s[0:1]
	s_branch .LBB63_68
.LBB63_133:
	v_or_b32_e32 v0, v7, v16
	v_cmp_eq_u32_e32 vcc, 0, v0
	s_and_saveexec_b64 s[0:1], vcc
	s_cbranch_execz .LBB63_68
; %bb.134:
	v_mbcnt_lo_u32_b32 v0, exec_lo, 0
	v_mbcnt_hi_u32_b32 v0, exec_hi, v0
	v_cmp_eq_u32_e32 vcc, 0, v0
	s_and_saveexec_b64 s[0:1], vcc
	s_cbranch_execz .LBB63_136
; %bb.135:
	s_add_i32 s2, s16, s17
	v_mov_b32_e32 v0, 0
	v_mov_b32_e32 v1, s2
	global_atomic_smin v0, v1, s[10:11]
.LBB63_136:
	s_or_b64 exec, exec, s[0:1]
	s_add_u32 s0, s6, s8
	s_addc_u32 s1, s7, s9
	v_mov_b32_e32 v0, 0
	v_mov_b32_e32 v1, 1
	buffer_wbl2 sc1
	s_waitcnt vmcnt(0)
	global_store_dword v0, v1, s[0:1] sc1
	s_endpgm
.LBB63_137:
	s_or_b64 exec, exec, s[0:1]
	v_cmp_lt_u32_e32 vcc, 4, v16
	s_and_saveexec_b64 s[0:1], vcc
	s_cbranch_execz .LBB63_128
.LBB63_138:
	v_mul_f64 v[4:5], v[2:3], v[2:3]
	v_fmac_f64_e32 v[4:5], v[0:1], v[0:1]
	ds_read_b128 v[12:15], v8 offset:64
	ds_read_b128 v[20:23], v20 offset:64
	v_div_scale_f64 v[24:25], s[2:3], v[4:5], v[4:5], 1.0
	v_rcp_f64_e32 v[26:27], v[24:25]
	s_waitcnt lgkmcnt(0)
	v_add_f64 v[20:21], v[12:13], -v[20:21]
	v_add_f64 v[14:15], v[14:15], -v[22:23]
	v_fma_f64 v[12:13], -v[24:25], v[26:27], 1.0
	v_fmac_f64_e32 v[26:27], v[26:27], v[12:13]
	v_fma_f64 v[12:13], -v[24:25], v[26:27], 1.0
	v_fmac_f64_e32 v[26:27], v[26:27], v[12:13]
	v_div_scale_f64 v[12:13], vcc, 1.0, v[4:5], 1.0
	v_mul_f64 v[22:23], v[12:13], v[26:27]
	v_fma_f64 v[12:13], -v[24:25], v[22:23], v[12:13]
	s_nop 1
	v_div_fmas_f64 v[12:13], v[12:13], v[26:27], v[22:23]
	v_div_fixup_f64 v[4:5], v[12:13], v[4:5], 1.0
	v_mul_f64 v[12:13], v[2:3], v[14:15]
	v_mul_f64 v[2:3], v[2:3], -v[20:21]
	v_fmac_f64_e32 v[12:13], v[20:21], v[0:1]
	v_fmac_f64_e32 v[2:3], v[14:15], v[0:1]
	v_mul_f64 v[12:13], v[4:5], v[12:13]
	v_mul_f64 v[14:15], v[4:5], v[2:3]
	ds_write_b128 v8, v[12:15] offset:64
	s_waitcnt lgkmcnt(0)
	ds_read_b128 v[0:3], v10 offset:64
	ds_read_b128 v[20:23], v19
	s_waitcnt lgkmcnt(0)
	v_fmac_f64_e32 v[20:21], v[12:13], v[0:1]
	v_fmac_f64_e32 v[22:23], v[14:15], v[0:1]
	v_fmac_f64_e32 v[20:21], v[14:15], v[2:3]
	v_fma_f64 v[22:23], v[12:13], -v[2:3], v[22:23]
	ds_write_b128 v19, v[20:23]
	s_or_b64 exec, exec, s[0:1]
	s_andn2_b64 vcc, exec, s[12:13]
	s_waitcnt lgkmcnt(0)
	s_cbranch_vccz .LBB63_129
	s_branch .LBB63_130
.LBB63_139:
	v_mov_b64_e32 v[4:5], 0
	s_andn2_b64 vcc, exec, s[4:5]
	s_cbranch_vccz .LBB63_70
	s_branch .LBB63_71
.LBB63_140:
	v_mov_b64_e32 v[4:5], 0
	s_andn2_b64 vcc, exec, s[4:5]
	s_cbranch_vccz .LBB63_83
	s_branch .LBB63_84
.LBB63_141:
	v_mov_b64_e32 v[4:5], 0
	s_andn2_b64 vcc, exec, s[4:5]
	s_cbranch_vccz .LBB63_96
	s_branch .LBB63_97
.LBB63_142:
	v_mov_b64_e32 v[4:5], 0
	s_andn2_b64 vcc, exec, s[4:5]
	s_cbranch_vccz .LBB63_109
	s_branch .LBB63_110
.LBB63_143:
	v_mov_b64_e32 v[4:5], 0
	s_andn2_b64 vcc, exec, s[4:5]
	s_cbranch_vccz .LBB63_122
	s_branch .LBB63_123
	.section	.rodata,"a",@progbits
	.p2align	6, 0x0
	.amdhsa_kernel _ZN9rocsparseL26bsric0_2_8_unrolled_kernelILi25ELi32ELi5E21rocsparse_complex_numIdEEEv20rocsparse_direction_iiPKiS5_PT2_S5_PiS5_S8_21rocsparse_index_base_
		.amdhsa_group_segment_fixed_size 2304
		.amdhsa_private_segment_fixed_size 0
		.amdhsa_kernarg_size 76
		.amdhsa_user_sgpr_count 2
		.amdhsa_user_sgpr_dispatch_ptr 0
		.amdhsa_user_sgpr_queue_ptr 0
		.amdhsa_user_sgpr_kernarg_segment_ptr 1
		.amdhsa_user_sgpr_dispatch_id 0
		.amdhsa_user_sgpr_kernarg_preload_length 0
		.amdhsa_user_sgpr_kernarg_preload_offset 0
		.amdhsa_user_sgpr_private_segment_size 0
		.amdhsa_uses_dynamic_stack 0
		.amdhsa_enable_private_segment 0
		.amdhsa_system_sgpr_workgroup_id_x 1
		.amdhsa_system_sgpr_workgroup_id_y 0
		.amdhsa_system_sgpr_workgroup_id_z 0
		.amdhsa_system_sgpr_workgroup_info 0
		.amdhsa_system_vgpr_workitem_id 1
		.amdhsa_next_free_vgpr 72
		.amdhsa_next_free_sgpr 40
		.amdhsa_accum_offset 72
		.amdhsa_reserve_vcc 1
		.amdhsa_float_round_mode_32 0
		.amdhsa_float_round_mode_16_64 0
		.amdhsa_float_denorm_mode_32 3
		.amdhsa_float_denorm_mode_16_64 3
		.amdhsa_dx10_clamp 1
		.amdhsa_ieee_mode 1
		.amdhsa_fp16_overflow 0
		.amdhsa_tg_split 0
		.amdhsa_exception_fp_ieee_invalid_op 0
		.amdhsa_exception_fp_denorm_src 0
		.amdhsa_exception_fp_ieee_div_zero 0
		.amdhsa_exception_fp_ieee_overflow 0
		.amdhsa_exception_fp_ieee_underflow 0
		.amdhsa_exception_fp_ieee_inexact 0
		.amdhsa_exception_int_div_zero 0
	.end_amdhsa_kernel
	.section	.text._ZN9rocsparseL26bsric0_2_8_unrolled_kernelILi25ELi32ELi5E21rocsparse_complex_numIdEEEv20rocsparse_direction_iiPKiS5_PT2_S5_PiS5_S8_21rocsparse_index_base_,"axG",@progbits,_ZN9rocsparseL26bsric0_2_8_unrolled_kernelILi25ELi32ELi5E21rocsparse_complex_numIdEEEv20rocsparse_direction_iiPKiS5_PT2_S5_PiS5_S8_21rocsparse_index_base_,comdat
.Lfunc_end63:
	.size	_ZN9rocsparseL26bsric0_2_8_unrolled_kernelILi25ELi32ELi5E21rocsparse_complex_numIdEEEv20rocsparse_direction_iiPKiS5_PT2_S5_PiS5_S8_21rocsparse_index_base_, .Lfunc_end63-_ZN9rocsparseL26bsric0_2_8_unrolled_kernelILi25ELi32ELi5E21rocsparse_complex_numIdEEEv20rocsparse_direction_iiPKiS5_PT2_S5_PiS5_S8_21rocsparse_index_base_
                                        ; -- End function
	.set _ZN9rocsparseL26bsric0_2_8_unrolled_kernelILi25ELi32ELi5E21rocsparse_complex_numIdEEEv20rocsparse_direction_iiPKiS5_PT2_S5_PiS5_S8_21rocsparse_index_base_.num_vgpr, 72
	.set _ZN9rocsparseL26bsric0_2_8_unrolled_kernelILi25ELi32ELi5E21rocsparse_complex_numIdEEEv20rocsparse_direction_iiPKiS5_PT2_S5_PiS5_S8_21rocsparse_index_base_.num_agpr, 0
	.set _ZN9rocsparseL26bsric0_2_8_unrolled_kernelILi25ELi32ELi5E21rocsparse_complex_numIdEEEv20rocsparse_direction_iiPKiS5_PT2_S5_PiS5_S8_21rocsparse_index_base_.numbered_sgpr, 40
	.set _ZN9rocsparseL26bsric0_2_8_unrolled_kernelILi25ELi32ELi5E21rocsparse_complex_numIdEEEv20rocsparse_direction_iiPKiS5_PT2_S5_PiS5_S8_21rocsparse_index_base_.num_named_barrier, 0
	.set _ZN9rocsparseL26bsric0_2_8_unrolled_kernelILi25ELi32ELi5E21rocsparse_complex_numIdEEEv20rocsparse_direction_iiPKiS5_PT2_S5_PiS5_S8_21rocsparse_index_base_.private_seg_size, 0
	.set _ZN9rocsparseL26bsric0_2_8_unrolled_kernelILi25ELi32ELi5E21rocsparse_complex_numIdEEEv20rocsparse_direction_iiPKiS5_PT2_S5_PiS5_S8_21rocsparse_index_base_.uses_vcc, 1
	.set _ZN9rocsparseL26bsric0_2_8_unrolled_kernelILi25ELi32ELi5E21rocsparse_complex_numIdEEEv20rocsparse_direction_iiPKiS5_PT2_S5_PiS5_S8_21rocsparse_index_base_.uses_flat_scratch, 0
	.set _ZN9rocsparseL26bsric0_2_8_unrolled_kernelILi25ELi32ELi5E21rocsparse_complex_numIdEEEv20rocsparse_direction_iiPKiS5_PT2_S5_PiS5_S8_21rocsparse_index_base_.has_dyn_sized_stack, 0
	.set _ZN9rocsparseL26bsric0_2_8_unrolled_kernelILi25ELi32ELi5E21rocsparse_complex_numIdEEEv20rocsparse_direction_iiPKiS5_PT2_S5_PiS5_S8_21rocsparse_index_base_.has_recursion, 0
	.set _ZN9rocsparseL26bsric0_2_8_unrolled_kernelILi25ELi32ELi5E21rocsparse_complex_numIdEEEv20rocsparse_direction_iiPKiS5_PT2_S5_PiS5_S8_21rocsparse_index_base_.has_indirect_call, 0
	.section	.AMDGPU.csdata,"",@progbits
; Kernel info:
; codeLenInByte = 11032
; TotalNumSgprs: 46
; NumVgprs: 72
; NumAgprs: 0
; TotalNumVgprs: 72
; ScratchSize: 0
; MemoryBound: 1
; FloatMode: 240
; IeeeMode: 1
; LDSByteSize: 2304 bytes/workgroup (compile time only)
; SGPRBlocks: 5
; VGPRBlocks: 8
; NumSGPRsForWavesPerEU: 46
; NumVGPRsForWavesPerEU: 72
; AccumOffset: 72
; Occupancy: 7
; WaveLimiterHint : 1
; COMPUTE_PGM_RSRC2:SCRATCH_EN: 0
; COMPUTE_PGM_RSRC2:USER_SGPR: 2
; COMPUTE_PGM_RSRC2:TRAP_HANDLER: 0
; COMPUTE_PGM_RSRC2:TGID_X_EN: 1
; COMPUTE_PGM_RSRC2:TGID_Y_EN: 0
; COMPUTE_PGM_RSRC2:TGID_Z_EN: 0
; COMPUTE_PGM_RSRC2:TIDIG_COMP_CNT: 1
; COMPUTE_PGM_RSRC3_GFX90A:ACCUM_OFFSET: 17
; COMPUTE_PGM_RSRC3_GFX90A:TG_SPLIT: 0
	.section	.text._ZN9rocsparseL26bsric0_2_8_unrolled_kernelILi36ELi32ELi6E21rocsparse_complex_numIdEEEv20rocsparse_direction_iiPKiS5_PT2_S5_PiS5_S8_21rocsparse_index_base_,"axG",@progbits,_ZN9rocsparseL26bsric0_2_8_unrolled_kernelILi36ELi32ELi6E21rocsparse_complex_numIdEEEv20rocsparse_direction_iiPKiS5_PT2_S5_PiS5_S8_21rocsparse_index_base_,comdat
	.globl	_ZN9rocsparseL26bsric0_2_8_unrolled_kernelILi36ELi32ELi6E21rocsparse_complex_numIdEEEv20rocsparse_direction_iiPKiS5_PT2_S5_PiS5_S8_21rocsparse_index_base_ ; -- Begin function _ZN9rocsparseL26bsric0_2_8_unrolled_kernelILi36ELi32ELi6E21rocsparse_complex_numIdEEEv20rocsparse_direction_iiPKiS5_PT2_S5_PiS5_S8_21rocsparse_index_base_
	.p2align	8
	.type	_ZN9rocsparseL26bsric0_2_8_unrolled_kernelILi36ELi32ELi6E21rocsparse_complex_numIdEEEv20rocsparse_direction_iiPKiS5_PT2_S5_PiS5_S8_21rocsparse_index_base_,@function
_ZN9rocsparseL26bsric0_2_8_unrolled_kernelILi36ELi32ELi6E21rocsparse_complex_numIdEEEv20rocsparse_direction_iiPKiS5_PT2_S5_PiS5_S8_21rocsparse_index_base_: ; @_ZN9rocsparseL26bsric0_2_8_unrolled_kernelILi36ELi32ELi6E21rocsparse_complex_numIdEEEv20rocsparse_direction_iiPKiS5_PT2_S5_PiS5_S8_21rocsparse_index_base_
; %bb.0:
	s_load_dwordx8 s[4:11], s[0:1], 0x28
	s_mov_b32 s3, 0
	s_lshl_b64 s[2:3], s[2:3], 2
	v_and_b32_e32 v7, 0x3ff, v0
	v_bfe_u32 v16, v0, 10, 10
	s_waitcnt lgkmcnt(0)
	s_add_u32 s2, s8, s2
	s_addc_u32 s3, s9, s3
	s_load_dword s16, s[2:3], 0x0
	s_waitcnt lgkmcnt(0)
	s_ashr_i32 s17, s16, 31
	s_lshl_b64 s[8:9], s[16:17], 2
	s_add_u32 s2, s4, s8
	s_addc_u32 s3, s5, s9
	s_load_dword s30, s[2:3], 0x0
	s_load_dword s17, s[0:1], 0x48
	s_waitcnt lgkmcnt(0)
	s_cmp_lg_u32 s30, -1
	s_cbranch_scc0 .LBB64_71
; %bb.1:
	s_load_dwordx4 s[12:15], s[0:1], 0x10
	s_load_dwordx2 s[18:19], s[0:1], 0x20
	v_mad_u32_u24 v17, v16, 6, v7
	v_mul_u32_u24_e32 v21, 6, v16
	s_waitcnt lgkmcnt(0)
	s_add_u32 s2, s12, s8
	s_addc_u32 s3, s13, s9
	s_load_dword s26, s[2:3], 0x0
	s_waitcnt lgkmcnt(0)
	s_sub_i32 s31, s26, s17
	v_add_u32_e32 v0, s31, v17
	v_cmp_ge_i32_e32 vcc, s30, v0
	s_and_saveexec_b64 s[2:3], vcc
	s_cbranch_execz .LBB64_14
; %bb.2:
	v_add_u32_e32 v1, s26, v7
	v_add_u32_e32 v2, v1, v21
	v_subrev_u32_e32 v2, s17, v2
	v_add_u32_e32 v2, 36, v2
	s_add_i32 s20, s30, 1
	v_max_i32_e32 v2, s20, v2
	v_add_u32_e32 v2, s17, v2
	v_sub_u32_e32 v1, v2, v1
	v_subrev_u32_e32 v1, 36, v1
	v_cmp_ne_u32_e32 vcc, v1, v21
	s_mov_b32 s20, 0x38e38e39
	s_mov_b64 s[22:23], -1
	v_cndmask_b32_e64 v2, 0, 1, vcc
	v_or_b32_e32 v2, v21, v2
	v_sub_u32_e32 v1, v1, v2
	v_mul_hi_u32 v1, v1, s20
	v_lshrrev_b32_e32 v1, 3, v1
	v_addc_co_u32_e32 v4, vcc, 0, v1, vcc
	v_cmp_ne_u32_e32 vcc, 0, v4
	s_and_saveexec_b64 s[20:21], vcc
	s_cbranch_execz .LBB64_11
; %bb.3:
	v_add_u32_e32 v2, -1, v4
	v_add_u32_e32 v1, 36, v0
	v_lshrrev_b32_e32 v2, 1, v2
	v_add_u32_e32 v5, 1, v2
	v_cmp_lt_u32_e32 vcc, 14, v4
	v_mov_b64_e32 v[2:3], v[0:1]
	s_and_saveexec_b64 s[22:23], vcc
	s_cbranch_execz .LBB64_7
; %bb.4:
	v_and_b32_e32 v6, -8, v5
	s_mov_b64 s[24:25], 0
	v_mov_b64_e32 v[2:3], v[0:1]
.LBB64_5:                               ; =>This Inner Loop Header: Depth=1
	v_ashrrev_i32_e32 v9, 31, v3
	v_mov_b32_e32 v8, v3
	v_ashrrev_i32_e32 v11, 31, v2
	v_mov_b32_e32 v10, v2
	v_add_u32_e32 v12, 0x48, v2
	v_add_u32_e32 v14, 0x48, v3
	;; [unrolled: 1-line block ×14, first 2 shown]
	v_lshl_add_u64 v[10:11], v[10:11], 2, s[14:15]
	v_lshl_add_u64 v[8:9], v[8:9], 2, s[14:15]
	v_ashrrev_i32_e32 v15, 31, v14
	v_ashrrev_i32_e32 v13, 31, v12
	v_ashrrev_i32_e32 v23, 31, v22
	v_ashrrev_i32_e32 v19, 31, v18
	v_ashrrev_i32_e32 v27, 31, v26
	v_ashrrev_i32_e32 v25, 31, v24
	v_ashrrev_i32_e32 v31, 31, v30
	v_ashrrev_i32_e32 v29, 31, v28
	v_ashrrev_i32_e32 v35, 31, v34
	v_ashrrev_i32_e32 v33, 31, v32
	v_ashrrev_i32_e32 v39, 31, v38
	v_ashrrev_i32_e32 v37, 31, v36
	v_ashrrev_i32_e32 v43, 31, v42
	v_ashrrev_i32_e32 v41, 31, v40
	v_lshl_add_u64 v[44:45], v[12:13], 2, s[14:15]
	v_lshl_add_u64 v[46:47], v[14:15], 2, s[14:15]
	;; [unrolled: 1-line block ×14, first 2 shown]
	global_load_dword v1, v[10:11], off
	global_load_dword v13, v[8:9], off
	;; [unrolled: 1-line block ×15, first 2 shown]
                                        ; kill: killed $vgpr66_vgpr67
                                        ; kill: killed $vgpr68_vgpr69
                                        ; kill: killed $vgpr62_vgpr63
                                        ; kill: killed $vgpr64_vgpr65
                                        ; kill: killed $vgpr8_vgpr9
                                        ; kill: killed $vgpr58_vgpr59
                                        ; kill: killed $vgpr60_vgpr61
                                        ; kill: killed $vgpr10_vgpr11
                                        ; kill: killed $vgpr54_vgpr55
                                        ; kill: killed $vgpr56_vgpr57
                                        ; kill: killed $vgpr50_vgpr51
                                        ; kill: killed $vgpr52_vgpr53
                                        ; kill: killed $vgpr46_vgpr47
                                        ; kill: killed $vgpr48_vgpr49
                                        ; kill: killed $vgpr44_vgpr45
	global_load_dword v8, v[70:71], off
	v_subrev_u32_e32 v9, s31, v3
	v_subrev_u32_e32 v10, s31, v2
	v_add_u32_e32 v6, -8, v6
	v_lshlrev_b32_e32 v10, 2, v10
	v_lshlrev_b32_e32 v9, 2, v9
	v_subrev_u32_e32 v12, s31, v12
	v_cmp_eq_u32_e32 vcc, 0, v6
	v_add_u32_e32 v3, 0x240, v3
	v_add_u32_e32 v2, 0x240, v2
	v_subrev_u32_e32 v11, s31, v14
	v_subrev_u32_e32 v14, s31, v22
	;; [unrolled: 1-line block ×13, first 2 shown]
	v_lshlrev_b32_e32 v12, 2, v12
	s_or_b64 s[24:25], vcc, s[24:25]
	v_lshlrev_b32_e32 v11, 2, v11
	v_lshlrev_b32_e32 v18, 2, v18
	;; [unrolled: 1-line block ×13, first 2 shown]
	s_waitcnt vmcnt(15)
	v_subrev_u32_e32 v1, s17, v1
	s_waitcnt vmcnt(14)
	v_subrev_u32_e32 v13, s17, v13
	ds_write_b32 v10, v1 offset:2944
	ds_write_b32 v9, v13 offset:2944
	s_waitcnt vmcnt(13)
	v_subrev_u32_e32 v1, s17, v15
	s_waitcnt vmcnt(12)
	v_subrev_u32_e32 v10, s17, v19
	s_waitcnt vmcnt(10)
	v_subrev_u32_e32 v13, s17, v23
	s_waitcnt vmcnt(9)
	v_subrev_u32_e32 v9, s17, v25
	s_waitcnt vmcnt(8)
	v_subrev_u32_e32 v15, s17, v27
	v_subrev_u32_e32 v19, s17, v20
	s_waitcnt vmcnt(7)
	v_subrev_u32_e32 v20, s17, v29
	s_waitcnt vmcnt(5)
	;; [unrolled: 2-line block ×6, first 2 shown]
	v_subrev_u32_e32 v29, s17, v41
	v_subrev_u32_e32 v31, s17, v31
	s_waitcnt vmcnt(0)
	v_subrev_u32_e32 v8, s17, v8
	ds_write_b32 v12, v9 offset:2944
	ds_write_b32 v11, v1 offset:2944
	;; [unrolled: 1-line block ×14, first 2 shown]
	s_andn2_b64 exec, exec, s[24:25]
	s_cbranch_execnz .LBB64_5
; %bb.6:
	s_or_b64 exec, exec, s[24:25]
.LBB64_7:
	s_or_b64 exec, exec, s[22:23]
	v_and_b32_e32 v1, 7, v5
	v_cmp_ne_u32_e32 vcc, 0, v1
	s_and_saveexec_b64 s[22:23], vcc
	s_cbranch_execz .LBB64_10
; %bb.8:
	v_sub_u32_e32 v1, 0, v1
	s_mov_b64 s[24:25], 0
.LBB64_9:                               ; =>This Inner Loop Header: Depth=1
	v_ashrrev_i32_e32 v9, 31, v3
	v_mov_b32_e32 v8, v3
	v_ashrrev_i32_e32 v11, 31, v2
	v_mov_b32_e32 v10, v2
	v_lshl_add_u64 v[8:9], v[8:9], 2, s[14:15]
	v_lshl_add_u64 v[10:11], v[10:11], 2, s[14:15]
	global_load_dword v5, v[8:9], off
	global_load_dword v6, v[10:11], off
	v_subrev_u32_e32 v9, s31, v2
	v_add_co_u32_e32 v1, vcc, 1, v1
	v_subrev_u32_e32 v8, s31, v3
	v_add_u32_e32 v3, 0x48, v3
	v_add_u32_e32 v2, 0x48, v2
	v_lshlrev_b32_e32 v9, 2, v9
	s_or_b64 s[24:25], vcc, s[24:25]
	v_lshlrev_b32_e32 v8, 2, v8
	s_waitcnt vmcnt(1)
	v_subrev_u32_e32 v5, s17, v5
	s_waitcnt vmcnt(0)
	v_subrev_u32_e32 v6, s17, v6
	ds_write_b32 v9, v6 offset:2944
	ds_write_b32 v8, v5 offset:2944
	s_andn2_b64 exec, exec, s[24:25]
	s_cbranch_execnz .LBB64_9
.LBB64_10:
	s_or_b64 exec, exec, s[22:23]
	v_add_u32_e32 v2, 1, v4
	v_and_b32_e32 v3, 0x1ffffffe, v2
	v_mad_u64_u32 v[0:1], s[22:23], v3, 36, v[0:1]
	v_cmp_ne_u32_e32 vcc, v2, v3
	s_orn2_b64 s[22:23], vcc, exec
.LBB64_11:
	s_or_b64 exec, exec, s[20:21]
	s_and_b64 exec, exec, s[22:23]
	s_cbranch_execz .LBB64_14
; %bb.12:
	v_add_u32_e32 v1, s17, v0
	v_subrev_u32_e32 v1, s26, v1
	v_mov_b32_e32 v2, 0xb80
	v_lshl_add_u32 v4, v1, 2, v2
	v_ashrrev_i32_e32 v1, 31, v0
	v_lshl_add_u64 v[2:3], v[0:1], 2, s[14:15]
	s_mov_b64 s[20:21], 0
	s_mov_b64 s[22:23], 0x90
.LBB64_13:                              ; =>This Inner Loop Header: Depth=1
	global_load_dword v1, v[2:3], off
	v_add_u32_e32 v0, 36, v0
	v_cmp_lt_i32_e32 vcc, s30, v0
	v_lshl_add_u64 v[2:3], v[2:3], 0, s[22:23]
	s_or_b64 s[20:21], vcc, s[20:21]
	s_waitcnt vmcnt(0)
	v_subrev_u32_e32 v1, s17, v1
	ds_write_b32 v4, v1
	v_add_u32_e32 v4, 0x90, v4
	s_andn2_b64 exec, exec, s[20:21]
	s_cbranch_execnz .LBB64_13
.LBB64_14:
	s_or_b64 exec, exec, s[2:3]
	s_load_dword s33, s[0:1], 0x0
	s_movk_i32 s0, 0x70
	v_mov_b32_e32 v0, 0x7e0
	v_mad_u32_u24 v20, v16, s0, v0
	v_mov_b32_e32 v0, 0
	v_lshl_add_u32 v19, v7, 4, v20
	v_mov_b32_e32 v1, v0
	v_mov_b32_e32 v2, v0
	;; [unrolled: 1-line block ×3, first 2 shown]
	s_cmp_ge_i32 s31, s30
	v_mad_u32_u24 v18, v7, 6, v16
	ds_write_b128 v19, v[0:3]
	s_waitcnt lgkmcnt(0)
	s_cbranch_scc1 .LBB64_65
; %bb.15:
	s_cmp_lg_u32 s33, 0
	s_cselect_b64 s[20:21], -1, 0
	s_cmp_eq_u32 s33, 0
	v_mov_b32_e32 v3, 0x540
	v_mov_b32_e32 v5, 0x2a0
	v_mad_u32_u24 v2, v7, 6, v16
	v_mad_u32_u24 v22, v16, s0, v3
	v_lshlrev_b32_e32 v4, 4, v7
	v_mad_u32_u24 v25, v16, s0, v5
	v_mad_u32_u24 v27, v7, s0, v3
	v_or_b32_e32 v3, v7, v16
	s_cselect_b64 vcc, -1, 0
	v_mul_u32_u24_e32 v1, 6, v7
	v_add_u32_e32 v23, v22, v4
	v_mad_u32_u24 v24, v16, s0, v4
	v_add_u32_e32 v26, v25, v4
	v_cmp_ne_u32_e64 s[0:1], 0, v3
	v_cndmask_b32_e32 v6, v2, v17, vcc
	v_mov_b32_e32 v28, 0x3ff00000
	s_mov_b32 s22, s31
	s_branch .LBB64_18
.LBB64_16:                              ;   in Loop: Header=BB64_18 Depth=1
	s_or_b64 exec, exec, s[24:25]
	v_mov_b64_e32 v[12:13], 0
	v_mov_b64_e32 v[10:11], 1.0
.LBB64_17:                              ;   in Loop: Header=BB64_18 Depth=1
	s_or_b64 exec, exec, s[2:3]
	ds_read_b128 v[30:33], v0 offset:624
	ds_read_b128 v[34:37], v0 offset:560
	;; [unrolled: 1-line block ×3, first 2 shown]
	ds_read_b128 v[42:45], v22
	ds_read_b128 v[46:49], v22 offset:64
	ds_read_b128 v[50:53], v25 offset:80
	;; [unrolled: 1-line block ×7, first 2 shown]
	s_waitcnt lgkmcnt(5)
	v_fmac_f64_e32 v[52:53], v[36:37], v[42:43]
	v_fma_f64 v[14:15], v[34:35], -v[44:45], v[52:53]
	v_fmac_f64_e32 v[50:51], v[34:35], v[42:43]
	s_waitcnt lgkmcnt(2)
	v_fmac_f64_e32 v[14:15], v[40:41], v[62:63]
	v_fmac_f64_e32 v[50:51], v[36:37], v[44:45]
	v_fma_f64 v[14:15], v[38:39], -v[64:65], v[14:15]
	v_fmac_f64_e32 v[50:51], v[38:39], v[62:63]
	s_waitcnt lgkmcnt(1)
	v_fmac_f64_e32 v[14:15], v[56:57], v[66:67]
	;; [unrolled: 5-line block ×3, first 2 shown]
	v_fmac_f64_e32 v[50:51], v[56:57], v[68:69]
	v_fma_f64 v[14:15], v[58:59], -v[72:73], v[14:15]
	v_fmac_f64_e32 v[50:51], v[58:59], v[70:71]
	v_fmac_f64_e32 v[14:15], v[32:33], v[46:47]
	;; [unrolled: 1-line block ×3, first 2 shown]
	v_fma_f64 v[14:15], v[30:31], -v[48:49], v[14:15]
	v_fmac_f64_e32 v[50:51], v[30:31], v[46:47]
	v_mul_f64 v[30:31], v[12:13], v[12:13]
	v_fmac_f64_e32 v[30:31], v[10:11], v[10:11]
	v_div_scale_f64 v[34:35], s[2:3], v[30:31], v[30:31], 1.0
	v_rcp_f64_e32 v[36:37], v[34:35]
	v_fmac_f64_e32 v[50:51], v[32:33], v[48:49]
	v_add_f64 v[32:33], v[2:3], -v[50:51]
	v_add_f64 v[4:5], v[4:5], -v[14:15]
	v_fma_f64 v[2:3], -v[34:35], v[36:37], 1.0
	v_fmac_f64_e32 v[36:37], v[36:37], v[2:3]
	v_fma_f64 v[2:3], -v[34:35], v[36:37], 1.0
	v_fmac_f64_e32 v[36:37], v[36:37], v[2:3]
	v_div_scale_f64 v[2:3], vcc, 1.0, v[30:31], 1.0
	v_mul_f64 v[14:15], v[2:3], v[36:37]
	v_fma_f64 v[2:3], -v[34:35], v[14:15], v[2:3]
	s_add_i32 s22, s22, 1
	s_nop 0
	v_div_fmas_f64 v[2:3], v[2:3], v[36:37], v[14:15]
	v_div_fixup_f64 v[14:15], v[2:3], v[30:31], 1.0
	v_mul_f64 v[2:3], v[12:13], v[4:5]
	v_mul_f64 v[12:13], v[12:13], -v[32:33]
	v_fmac_f64_e32 v[2:3], v[32:33], v[10:11]
	v_fmac_f64_e32 v[12:13], v[4:5], v[10:11]
	v_mul_f64 v[2:3], v[14:15], v[2:3]
	v_mul_f64 v[4:5], v[14:15], v[12:13]
	ds_write_b128 v22, v[2:5] offset:80
	s_waitcnt lgkmcnt(0)
	ds_read_b128 v[10:13], v27 offset:80
	ds_read_b128 v[30:33], v19
	s_cmp_ge_i32 s22, s30
	s_cselect_b64 s[2:3], -1, 0
	s_waitcnt lgkmcnt(0)
	v_fmac_f64_e32 v[30:31], v[2:3], v[10:11]
	v_fmac_f64_e32 v[32:33], v[4:5], v[10:11]
	v_fmac_f64_e32 v[30:31], v[4:5], v[12:13]
	v_fma_f64 v[32:33], v[2:3], -v[12:13], v[32:33]
	ds_write_b128 v19, v[30:33]
	s_waitcnt lgkmcnt(0)
	ds_read2_b64 v[2:5], v23 offset1:1
	s_waitcnt lgkmcnt(0)
	global_store_dwordx4 v[8:9], v[2:5], off
	buffer_wbl2 sc1
	s_waitcnt vmcnt(0)
	buffer_inv sc1
	s_and_b64 vcc, exec, s[2:3]
	s_cbranch_vccnz .LBB64_65
.LBB64_18:                              ; =>This Loop Header: Depth=1
                                        ;     Child Loop BB64_21 Depth 2
                                        ;     Child Loop BB64_32 Depth 2
	;; [unrolled: 1-line block ×3, first 2 shown]
	s_ashr_i32 s23, s22, 31
	s_lshl_b64 s[2:3], s[22:23], 2
	s_add_u32 s2, s14, s2
	s_addc_u32 s3, s15, s3
	s_load_dword s23, s[2:3], 0x0
	s_waitcnt lgkmcnt(0)
	s_sub_i32 s24, s23, s17
	s_ashr_i32 s25, s24, 31
	s_lshl_b64 s[2:3], s[24:25], 2
	s_add_u32 s26, s4, s2
	s_addc_u32 s27, s5, s3
	s_load_dword s25, s[26:27], 0x0
	s_waitcnt lgkmcnt(0)
	s_cmp_eq_u32 s25, -1
	s_cbranch_scc1 .LBB64_64
; %bb.19:                               ;   in Loop: Header=BB64_18 Depth=1
	v_mad_u64_u32 v[2:3], s[26:27], s22, 36, v[6:7]
	v_ashrrev_i32_e32 v3, 31, v2
	v_lshl_add_u64 v[8:9], v[2:3], 4, s[18:19]
	global_load_dwordx4 v[2:5], v[8:9], off
	s_add_u32 s26, s12, s2
	s_addc_u32 s27, s13, s3
	s_load_dword s26, s[26:27], 0x0
	ds_read_b32 v10, v0 offset:2944
	s_mov_b32 s27, 0
	s_waitcnt lgkmcnt(0)
	s_sub_i32 s26, s26, s17
	s_cmp_le_i32 s26, s25
	v_cmp_ge_i32_e32 vcc, s24, v10
	s_cselect_b64 s[28:29], -1, 0
	s_and_b64 s[28:29], s[28:29], vcc
	s_andn2_b64 vcc, exec, s[28:29]
	s_waitcnt vmcnt(0)
	ds_write2_b64 v23, v[2:3], v[4:5] offset1:1
	s_cbranch_vccnz .LBB64_31
; %bb.20:                               ;   in Loop: Header=BB64_18 Depth=1
	s_mov_b32 s34, 0
	s_mov_b32 s35, 0
.LBB64_21:                              ;   Parent Loop BB64_18 Depth=1
                                        ; =>  This Inner Loop Header: Depth=2
	s_ashr_i32 s27, s26, 31
	s_lshl_b64 s[28:29], s[26:27], 2
	s_add_u32 s28, s14, s28
	s_addc_u32 s29, s15, s29
	s_load_dword s27, s[28:29], 0x0
	s_lshl_b32 s28, s35, 2
	v_mov_b32_e32 v2, s28
	ds_read_b32 v2, v2 offset:2944
	s_mov_b64 s[28:29], -1
	s_waitcnt lgkmcnt(0)
	s_sub_i32 s39, s27, s17
                                        ; implicit-def: $sgpr27
                                        ; implicit-def: $sgpr38
                                        ; implicit-def: $sgpr37
	v_cmp_ge_i32_e32 vcc, s39, v2
	v_readfirstlane_b32 s36, v2
	s_cbranch_vccz .LBB64_27
; %bb.22:                               ;   in Loop: Header=BB64_21 Depth=2
	s_cmp_le_i32 s39, s36
                                        ; implicit-def: $sgpr27
                                        ; implicit-def: $sgpr38
                                        ; implicit-def: $sgpr37
	s_cbranch_scc0 .LBB64_24
; %bb.23:                               ;   in Loop: Header=BB64_21 Depth=2
	s_add_i32 s27, s35, s31
	s_mul_i32 s27, s27, 36
	s_lshl_b32 s28, s34, 2
	v_mov_b32_e32 v2, s28
	v_mov_b32_e32 v3, s27
	s_mul_i32 s27, s26, 36
	v_mov_b32_e32 v4, s27
	v_add_u32_e32 v2, 0x800, v2
	ds_write2_b32 v2, v4, v3 offset0:160 offset1:192
	s_add_i32 s37, s35, 1
	s_add_i32 s38, s26, 1
	;; [unrolled: 1-line block ×3, first 2 shown]
	s_mov_b64 s[28:29], 0
.LBB64_24:                              ;   in Loop: Header=BB64_21 Depth=2
	s_andn2_b64 vcc, exec, s[28:29]
	s_cbranch_vccnz .LBB64_26
; %bb.25:                               ;   in Loop: Header=BB64_21 Depth=2
	s_add_i32 s37, s35, 1
	s_mov_b32 s27, s34
	s_mov_b32 s38, s26
.LBB64_26:                              ;   in Loop: Header=BB64_21 Depth=2
	s_mov_b64 s[28:29], 0
.LBB64_27:                              ;   in Loop: Header=BB64_21 Depth=2
	s_andn2_b64 vcc, exec, s[28:29]
	s_cbranch_vccnz .LBB64_29
; %bb.28:                               ;   in Loop: Header=BB64_21 Depth=2
	s_add_i32 s38, s26, 1
	s_mov_b32 s37, s35
	s_mov_b32 s27, s34
.LBB64_29:                              ;   in Loop: Header=BB64_21 Depth=2
	s_cmp_le_i32 s38, s25
	s_cselect_b64 s[28:29], -1, 0
	s_cmp_le_i32 s36, s24
	s_cselect_b64 s[34:35], -1, 0
	s_and_b64 s[28:29], s[28:29], s[34:35]
	s_and_b64 vcc, exec, s[28:29]
	s_cbranch_vccz .LBB64_31
; %bb.30:                               ;   in Loop: Header=BB64_21 Depth=2
	s_mov_b32 s34, s27
	s_mov_b32 s26, s38
	;; [unrolled: 1-line block ×3, first 2 shown]
	s_branch .LBB64_21
.LBB64_31:                              ;   in Loop: Header=BB64_18 Depth=1
	s_add_u32 s2, s6, s2
	s_addc_u32 s3, s7, s3
	s_waitcnt lgkmcnt(0)
.LBB64_32:                              ;   Parent Loop BB64_18 Depth=1
                                        ; =>  This Inner Loop Header: Depth=2
	global_load_dword v2, v0, s[2:3] sc1
	s_waitcnt vmcnt(0)
	v_cmp_eq_u32_e32 vcc, 0, v2
	s_cbranch_vccnz .LBB64_32
; %bb.33:                               ;   in Loop: Header=BB64_18 Depth=1
	v_mad_u64_u32 v[2:3], s[2:3], s25, 36, v[6:7]
	v_ashrrev_i32_e32 v3, 31, v2
	v_lshl_add_u64 v[2:3], v[2:3], 4, s[18:19]
	buffer_inv sc1
	global_load_dwordx4 v[10:13], v[2:3], off
	v_mov_b64_e32 v[4:5], 0
	s_cmp_lt_i32 s27, 2
	v_mov_b64_e32 v[2:3], 0
	s_waitcnt vmcnt(0)
	ds_write2_b64 v24, v[10:11], v[12:13] offset1:1
	s_waitcnt lgkmcnt(0)
	s_cbranch_scc1 .LBB64_41
; %bb.34:                               ;   in Loop: Header=BB64_18 Depth=1
	s_add_i32 s24, s27, -1
	v_mov_b64_e32 v[12:13], 0
	s_movk_i32 s25, 0xa80
	v_mov_b64_e32 v[10:11], 0
.LBB64_35:                              ;   Parent Loop BB64_18 Depth=1
                                        ; =>  This Inner Loop Header: Depth=2
	v_mov_b32_e32 v2, s25
	s_waitcnt lgkmcnt(0)
	ds_read2_b32 v[14:15], v2 offset1:32
	s_mov_b64 s[2:3], -1
	s_and_b64 vcc, exec, s[20:21]
                                        ; implicit-def: $vgpr4_vgpr5
	s_cbranch_vccz .LBB64_38
; %bb.36:                               ;   in Loop: Header=BB64_35 Depth=2
	s_waitcnt lgkmcnt(0)
	v_add_u32_e32 v2, v14, v7
	v_ashrrev_i32_e32 v3, 31, v2
	v_add_u32_e32 v70, v15, v16
	v_lshl_add_u64 v[4:5], v[2:3], 4, s[18:19]
	v_ashrrev_i32_e32 v71, 31, v70
	v_lshl_add_u64 v[38:39], v[70:71], 4, s[18:19]
	global_load_dwordx4 v[30:33], v[4:5], off
	global_load_dwordx4 v[34:37], v[38:39], off
	v_add_u32_e32 v4, 6, v2
	v_ashrrev_i32_e32 v5, 31, v4
	v_add_u32_e32 v38, 6, v70
	v_lshl_add_u64 v[4:5], v[4:5], 4, s[18:19]
	v_ashrrev_i32_e32 v39, 31, v38
	v_lshl_add_u64 v[46:47], v[38:39], 4, s[18:19]
	global_load_dwordx4 v[38:41], v[4:5], off
	global_load_dwordx4 v[42:45], v[46:47], off
	;; [unrolled: 8-line block ×4, first 2 shown]
	v_add_u32_e32 v4, 24, v2
	v_ashrrev_i32_e32 v5, 31, v4
	v_add_u32_e32 v62, 24, v70
	v_lshl_add_u64 v[4:5], v[4:5], 4, s[18:19]
	v_ashrrev_i32_e32 v63, 31, v62
	v_add_u32_e32 v2, 30, v2
	v_lshl_add_u64 v[72:73], v[62:63], 4, s[18:19]
	global_load_dwordx4 v[62:65], v[4:5], off
	global_load_dwordx4 v[66:69], v[72:73], off
	v_ashrrev_i32_e32 v3, 31, v2
	v_add_u32_e32 v4, 30, v70
	v_lshl_add_u64 v[2:3], v[2:3], 4, s[18:19]
	v_ashrrev_i32_e32 v5, 31, v4
	v_lshl_add_u64 v[4:5], v[4:5], 4, s[18:19]
	global_load_dwordx4 v[70:73], v[2:3], off
	global_load_dwordx4 v[74:77], v[4:5], off
	s_waitcnt vmcnt(10)
	v_fma_f64 v[2:3], v[30:31], v[34:35], v[10:11]
	v_fma_f64 v[4:5], v[32:33], v[34:35], v[12:13]
	v_fmac_f64_e32 v[2:3], v[32:33], v[36:37]
	v_fma_f64 v[4:5], v[30:31], -v[36:37], v[4:5]
	s_waitcnt vmcnt(8)
	v_fmac_f64_e32 v[2:3], v[38:39], v[42:43]
	v_fmac_f64_e32 v[4:5], v[40:41], v[42:43]
	v_fmac_f64_e32 v[2:3], v[40:41], v[44:45]
	v_fma_f64 v[4:5], v[38:39], -v[44:45], v[4:5]
	s_waitcnt vmcnt(6)
	v_fmac_f64_e32 v[2:3], v[46:47], v[50:51]
	v_fmac_f64_e32 v[4:5], v[48:49], v[50:51]
	;; [unrolled: 5-line block ×5, first 2 shown]
	v_fmac_f64_e32 v[2:3], v[72:73], v[76:77]
	v_fma_f64 v[4:5], v[70:71], -v[76:77], v[4:5]
	s_cbranch_execz .LBB64_39
.LBB64_37:                              ;   in Loop: Header=BB64_35 Depth=2
	s_add_i32 s24, s24, -1
	s_add_i32 s25, s25, 4
	s_cmp_eq_u32 s24, 0
	s_cbranch_scc0 .LBB64_40
	s_branch .LBB64_41
.LBB64_38:                              ;   in Loop: Header=BB64_35 Depth=2
	s_andn2_b64 vcc, exec, s[2:3]
	s_cbranch_vccnz .LBB64_37
.LBB64_39:                              ;   in Loop: Header=BB64_35 Depth=2
	s_waitcnt lgkmcnt(0)
	v_add_u32_e32 v2, v14, v1
	v_ashrrev_i32_e32 v3, 31, v2
	v_lshl_add_u64 v[74:75], v[2:3], 4, s[18:19]
	v_add_u32_e32 v2, v15, v21
	v_ashrrev_i32_e32 v3, 31, v2
	v_lshl_add_u64 v[14:15], v[2:3], 4, s[18:19]
	global_load_dwordx4 v[2:5], v[14:15], off
	global_load_dwordx4 v[30:33], v[74:75], off
	global_load_dwordx4 v[34:37], v[74:75], off offset:16
	global_load_dwordx4 v[38:41], v[14:15], off offset:16
	;; [unrolled: 1-line block ×10, first 2 shown]
	s_waitcnt vmcnt(10)
	v_fmac_f64_e32 v[10:11], v[30:31], v[2:3]
	v_fmac_f64_e32 v[12:13], v[32:33], v[2:3]
	v_fmac_f64_e32 v[10:11], v[32:33], v[4:5]
	v_fma_f64 v[2:3], v[30:31], -v[4:5], v[12:13]
	s_waitcnt vmcnt(8)
	v_fmac_f64_e32 v[10:11], v[34:35], v[38:39]
	v_fmac_f64_e32 v[2:3], v[36:37], v[38:39]
	v_fmac_f64_e32 v[10:11], v[36:37], v[40:41]
	v_fma_f64 v[2:3], v[34:35], -v[40:41], v[2:3]
	;; [unrolled: 5-line block ×6, first 2 shown]
	v_mov_b64_e32 v[2:3], v[10:11]
	s_add_i32 s24, s24, -1
	s_add_i32 s25, s25, 4
	s_cmp_eq_u32 s24, 0
	s_cbranch_scc1 .LBB64_41
.LBB64_40:                              ;   in Loop: Header=BB64_35 Depth=2
	v_mov_b64_e32 v[12:13], v[4:5]
	v_mov_b64_e32 v[10:11], v[2:3]
	s_branch .LBB64_35
.LBB64_41:                              ;   in Loop: Header=BB64_18 Depth=1
	ds_write_b128 v26, v[2:5]
	s_waitcnt lgkmcnt(0)
	ds_read_b128 v[10:13], v0
	ds_read_b128 v[2:5], v22
	s_waitcnt lgkmcnt(1)
	v_cmp_neq_f64_e32 vcc, 0, v[10:11]
	v_cmp_neq_f64_e64 s[2:3], 0, v[12:13]
	s_or_b64 vcc, vcc, s[2:3]
	v_cndmask_b32_e32 v11, v28, v11, vcc
	s_nor_b64 s[24:25], vcc, s[0:1]
	v_cndmask_b32_e32 v10, 0, v10, vcc
	v_cndmask_b32_e32 v13, 0, v13, vcc
	;; [unrolled: 1-line block ×3, first 2 shown]
	s_and_saveexec_b64 s[2:3], s[24:25]
	s_cbranch_execz .LBB64_45
; %bb.42:                               ;   in Loop: Header=BB64_18 Depth=1
	v_mbcnt_lo_u32_b32 v10, exec_lo, 0
	v_mbcnt_hi_u32_b32 v10, exec_hi, v10
	v_cmp_eq_u32_e32 vcc, 0, v10
	s_and_saveexec_b64 s[24:25], vcc
	s_cbranch_execz .LBB64_44
; %bb.43:                               ;   in Loop: Header=BB64_18 Depth=1
	v_mov_b32_e32 v10, s23
	global_atomic_smin v0, v10, s[10:11]
.LBB64_44:                              ;   in Loop: Header=BB64_18 Depth=1
	s_or_b64 exec, exec, s[24:25]
	v_mov_b64_e32 v[12:13], 0
	v_mov_b64_e32 v[10:11], 1.0
.LBB64_45:                              ;   in Loop: Header=BB64_18 Depth=1
	s_or_b64 exec, exec, s[2:3]
	v_mul_f64 v[14:15], v[12:13], v[12:13]
	v_fmac_f64_e32 v[14:15], v[10:11], v[10:11]
	ds_read_b128 v[30:33], v25
	v_div_scale_f64 v[34:35], s[2:3], v[14:15], v[14:15], 1.0
	v_rcp_f64_e32 v[36:37], v[34:35]
	s_waitcnt lgkmcnt(0)
	v_add_f64 v[30:31], v[2:3], -v[30:31]
	v_add_f64 v[4:5], v[4:5], -v[32:33]
	v_fma_f64 v[2:3], -v[34:35], v[36:37], 1.0
	v_fmac_f64_e32 v[36:37], v[36:37], v[2:3]
	v_fma_f64 v[2:3], -v[34:35], v[36:37], 1.0
	v_fmac_f64_e32 v[36:37], v[36:37], v[2:3]
	v_div_scale_f64 v[2:3], vcc, 1.0, v[14:15], 1.0
	v_mul_f64 v[32:33], v[2:3], v[36:37]
	v_fma_f64 v[2:3], -v[34:35], v[32:33], v[2:3]
	s_nop 1
	v_div_fmas_f64 v[2:3], v[2:3], v[36:37], v[32:33]
	v_div_fixup_f64 v[14:15], v[2:3], v[14:15], 1.0
	v_mul_f64 v[2:3], v[12:13], v[4:5]
	v_mul_f64 v[12:13], v[12:13], -v[30:31]
	v_fmac_f64_e32 v[2:3], v[30:31], v[10:11]
	v_fmac_f64_e32 v[12:13], v[4:5], v[10:11]
	v_mul_f64 v[2:3], v[14:15], v[2:3]
	v_mul_f64 v[4:5], v[14:15], v[12:13]
	ds_write_b128 v22, v[2:5]
	s_waitcnt lgkmcnt(0)
	ds_read_b128 v[10:13], v27
	ds_read_b128 v[30:33], v19
	s_waitcnt lgkmcnt(0)
	v_fmac_f64_e32 v[30:31], v[2:3], v[10:11]
	v_fmac_f64_e32 v[32:33], v[4:5], v[10:11]
	;; [unrolled: 1-line block ×3, first 2 shown]
	v_fma_f64 v[32:33], v[2:3], -v[12:13], v[32:33]
	ds_write_b128 v19, v[30:33]
	s_waitcnt lgkmcnt(0)
	ds_read_b128 v[10:13], v0 offset:128
	ds_read_b128 v[2:5], v22 offset:16
	s_waitcnt lgkmcnt(1)
	v_cmp_neq_f64_e32 vcc, 0, v[10:11]
	v_cmp_neq_f64_e64 s[2:3], 0, v[12:13]
	s_or_b64 vcc, vcc, s[2:3]
	v_cndmask_b32_e32 v11, v28, v11, vcc
	s_nor_b64 s[24:25], vcc, s[0:1]
	v_cndmask_b32_e32 v10, 0, v10, vcc
	v_cndmask_b32_e32 v13, 0, v13, vcc
	;; [unrolled: 1-line block ×3, first 2 shown]
	s_and_saveexec_b64 s[2:3], s[24:25]
	s_cbranch_execz .LBB64_49
; %bb.46:                               ;   in Loop: Header=BB64_18 Depth=1
	v_mbcnt_lo_u32_b32 v10, exec_lo, 0
	v_mbcnt_hi_u32_b32 v10, exec_hi, v10
	v_cmp_eq_u32_e32 vcc, 0, v10
	s_and_saveexec_b64 s[24:25], vcc
	s_cbranch_execz .LBB64_48
; %bb.47:                               ;   in Loop: Header=BB64_18 Depth=1
	v_mov_b32_e32 v10, s23
	global_atomic_smin v0, v10, s[10:11]
.LBB64_48:                              ;   in Loop: Header=BB64_18 Depth=1
	s_or_b64 exec, exec, s[24:25]
	v_mov_b64_e32 v[12:13], 0
	v_mov_b64_e32 v[10:11], 1.0
.LBB64_49:                              ;   in Loop: Header=BB64_18 Depth=1
	s_or_b64 exec, exec, s[2:3]
	ds_read_b128 v[30:33], v0 offset:112
	ds_read_b128 v[34:37], v22
	ds_read_b128 v[38:41], v25 offset:16
	v_mul_f64 v[14:15], v[12:13], v[12:13]
	v_fmac_f64_e32 v[14:15], v[10:11], v[10:11]
	s_waitcnt lgkmcnt(0)
	v_fmac_f64_e32 v[40:41], v[32:33], v[34:35]
	v_fmac_f64_e32 v[38:39], v[30:31], v[34:35]
	v_div_scale_f64 v[34:35], s[2:3], v[14:15], v[14:15], 1.0
	v_fma_f64 v[30:31], v[30:31], -v[36:37], v[40:41]
	v_rcp_f64_e32 v[40:41], v[34:35]
	v_fmac_f64_e32 v[38:39], v[32:33], v[36:37]
	v_add_f64 v[32:33], v[2:3], -v[38:39]
	v_add_f64 v[4:5], v[4:5], -v[30:31]
	v_fma_f64 v[2:3], -v[34:35], v[40:41], 1.0
	v_fmac_f64_e32 v[40:41], v[40:41], v[2:3]
	v_fma_f64 v[2:3], -v[34:35], v[40:41], 1.0
	v_fmac_f64_e32 v[40:41], v[40:41], v[2:3]
	v_div_scale_f64 v[2:3], vcc, 1.0, v[14:15], 1.0
	v_mul_f64 v[30:31], v[2:3], v[40:41]
	v_fma_f64 v[2:3], -v[34:35], v[30:31], v[2:3]
	s_nop 1
	v_div_fmas_f64 v[2:3], v[2:3], v[40:41], v[30:31]
	v_div_fixup_f64 v[14:15], v[2:3], v[14:15], 1.0
	v_mul_f64 v[2:3], v[12:13], v[4:5]
	v_mul_f64 v[12:13], v[12:13], -v[32:33]
	v_fmac_f64_e32 v[2:3], v[32:33], v[10:11]
	v_fmac_f64_e32 v[12:13], v[4:5], v[10:11]
	v_mul_f64 v[2:3], v[14:15], v[2:3]
	v_mul_f64 v[4:5], v[14:15], v[12:13]
	ds_write_b128 v22, v[2:5] offset:16
	s_waitcnt lgkmcnt(0)
	ds_read_b128 v[10:13], v27 offset:16
	ds_read_b128 v[30:33], v19
	s_waitcnt lgkmcnt(0)
	v_fmac_f64_e32 v[30:31], v[2:3], v[10:11]
	v_fmac_f64_e32 v[32:33], v[4:5], v[10:11]
	v_fmac_f64_e32 v[30:31], v[4:5], v[12:13]
	v_fma_f64 v[32:33], v[2:3], -v[12:13], v[32:33]
	ds_write_b128 v19, v[30:33]
	s_waitcnt lgkmcnt(0)
	ds_read_b128 v[10:13], v0 offset:256
	ds_read_b128 v[2:5], v22 offset:32
	s_waitcnt lgkmcnt(1)
	v_cmp_neq_f64_e32 vcc, 0, v[10:11]
	v_cmp_neq_f64_e64 s[2:3], 0, v[12:13]
	s_or_b64 vcc, vcc, s[2:3]
	v_cndmask_b32_e32 v11, v28, v11, vcc
	s_nor_b64 s[24:25], vcc, s[0:1]
	v_cndmask_b32_e32 v10, 0, v10, vcc
	v_cndmask_b32_e32 v13, 0, v13, vcc
	v_cndmask_b32_e32 v12, 0, v12, vcc
	s_and_saveexec_b64 s[2:3], s[24:25]
	s_cbranch_execz .LBB64_53
; %bb.50:                               ;   in Loop: Header=BB64_18 Depth=1
	v_mbcnt_lo_u32_b32 v10, exec_lo, 0
	v_mbcnt_hi_u32_b32 v10, exec_hi, v10
	v_cmp_eq_u32_e32 vcc, 0, v10
	s_and_saveexec_b64 s[24:25], vcc
	s_cbranch_execz .LBB64_52
; %bb.51:                               ;   in Loop: Header=BB64_18 Depth=1
	v_mov_b32_e32 v10, s23
	global_atomic_smin v0, v10, s[10:11]
.LBB64_52:                              ;   in Loop: Header=BB64_18 Depth=1
	s_or_b64 exec, exec, s[24:25]
	v_mov_b64_e32 v[12:13], 0
	v_mov_b64_e32 v[10:11], 1.0
.LBB64_53:                              ;   in Loop: Header=BB64_18 Depth=1
	s_or_b64 exec, exec, s[2:3]
	ds_read_b128 v[30:33], v22
	ds_read_b128 v[34:37], v0 offset:224
	ds_read_b128 v[38:41], v25 offset:32
	;; [unrolled: 1-line block ×4, first 2 shown]
	s_waitcnt lgkmcnt(2)
	v_fmac_f64_e32 v[40:41], v[36:37], v[30:31]
	v_fmac_f64_e32 v[38:39], v[34:35], v[30:31]
	v_mul_f64 v[30:31], v[12:13], v[12:13]
	v_fmac_f64_e32 v[30:31], v[10:11], v[10:11]
	v_fma_f64 v[14:15], v[34:35], -v[32:33], v[40:41]
	v_fmac_f64_e32 v[38:39], v[36:37], v[32:33]
	v_div_scale_f64 v[32:33], s[2:3], v[30:31], v[30:31], 1.0
	v_rcp_f64_e32 v[34:35], v[32:33]
	s_waitcnt lgkmcnt(0)
	v_fmac_f64_e32 v[38:39], v[42:43], v[46:47]
	v_fmac_f64_e32 v[38:39], v[44:45], v[48:49]
	v_add_f64 v[36:37], v[2:3], -v[38:39]
	v_fma_f64 v[2:3], -v[32:33], v[34:35], 1.0
	v_fmac_f64_e32 v[34:35], v[34:35], v[2:3]
	v_fmac_f64_e32 v[14:15], v[44:45], v[46:47]
	v_fma_f64 v[2:3], -v[32:33], v[34:35], 1.0
	v_fma_f64 v[14:15], v[42:43], -v[48:49], v[14:15]
	v_fmac_f64_e32 v[34:35], v[34:35], v[2:3]
	v_div_scale_f64 v[2:3], vcc, 1.0, v[30:31], 1.0
	v_add_f64 v[4:5], v[4:5], -v[14:15]
	v_mul_f64 v[14:15], v[2:3], v[34:35]
	v_fma_f64 v[2:3], -v[32:33], v[14:15], v[2:3]
	s_nop 0
	v_div_fmas_f64 v[2:3], v[2:3], v[34:35], v[14:15]
	v_div_fixup_f64 v[14:15], v[2:3], v[30:31], 1.0
	v_mul_f64 v[2:3], v[12:13], v[4:5]
	v_mul_f64 v[12:13], v[12:13], -v[36:37]
	v_fmac_f64_e32 v[2:3], v[36:37], v[10:11]
	v_fmac_f64_e32 v[12:13], v[4:5], v[10:11]
	v_mul_f64 v[2:3], v[14:15], v[2:3]
	v_mul_f64 v[4:5], v[14:15], v[12:13]
	ds_write_b128 v22, v[2:5] offset:32
	s_waitcnt lgkmcnt(0)
	ds_read_b128 v[10:13], v27 offset:32
	ds_read_b128 v[30:33], v19
	s_waitcnt lgkmcnt(0)
	v_fmac_f64_e32 v[30:31], v[2:3], v[10:11]
	v_fmac_f64_e32 v[32:33], v[4:5], v[10:11]
	;; [unrolled: 1-line block ×3, first 2 shown]
	v_fma_f64 v[32:33], v[2:3], -v[12:13], v[32:33]
	ds_write_b128 v19, v[30:33]
	s_waitcnt lgkmcnt(0)
	ds_read_b128 v[10:13], v0 offset:384
	ds_read_b128 v[2:5], v22 offset:48
	s_waitcnt lgkmcnt(1)
	v_cmp_neq_f64_e32 vcc, 0, v[10:11]
	v_cmp_neq_f64_e64 s[2:3], 0, v[12:13]
	s_or_b64 vcc, vcc, s[2:3]
	v_cndmask_b32_e32 v11, v28, v11, vcc
	s_nor_b64 s[24:25], vcc, s[0:1]
	v_cndmask_b32_e32 v10, 0, v10, vcc
	v_cndmask_b32_e32 v13, 0, v13, vcc
	;; [unrolled: 1-line block ×3, first 2 shown]
	s_and_saveexec_b64 s[2:3], s[24:25]
	s_cbranch_execz .LBB64_57
; %bb.54:                               ;   in Loop: Header=BB64_18 Depth=1
	v_mbcnt_lo_u32_b32 v10, exec_lo, 0
	v_mbcnt_hi_u32_b32 v10, exec_hi, v10
	v_cmp_eq_u32_e32 vcc, 0, v10
	s_and_saveexec_b64 s[24:25], vcc
	s_cbranch_execz .LBB64_56
; %bb.55:                               ;   in Loop: Header=BB64_18 Depth=1
	v_mov_b32_e32 v10, s23
	global_atomic_smin v0, v10, s[10:11]
.LBB64_56:                              ;   in Loop: Header=BB64_18 Depth=1
	s_or_b64 exec, exec, s[24:25]
	v_mov_b64_e32 v[12:13], 0
	v_mov_b64_e32 v[10:11], 1.0
.LBB64_57:                              ;   in Loop: Header=BB64_18 Depth=1
	s_or_b64 exec, exec, s[2:3]
	ds_read_b128 v[30:33], v22
	ds_read_b128 v[34:37], v25 offset:48
	ds_read_b128 v[38:41], v0 offset:336
	;; [unrolled: 1-line block ×6, first 2 shown]
	s_waitcnt lgkmcnt(4)
	v_fmac_f64_e32 v[36:37], v[40:41], v[30:31]
	v_fmac_f64_e32 v[34:35], v[38:39], v[30:31]
	v_mul_f64 v[30:31], v[12:13], v[12:13]
	v_fmac_f64_e32 v[30:31], v[10:11], v[10:11]
	v_fma_f64 v[14:15], v[38:39], -v[32:33], v[36:37]
	v_fmac_f64_e32 v[34:35], v[40:41], v[32:33]
	v_div_scale_f64 v[32:33], s[2:3], v[30:31], v[30:31], 1.0
	s_waitcnt lgkmcnt(2)
	v_fmac_f64_e32 v[34:35], v[42:43], v[46:47]
	v_rcp_f64_e32 v[36:37], v[32:33]
	v_fmac_f64_e32 v[34:35], v[44:45], v[48:49]
	s_waitcnt lgkmcnt(0)
	v_fmac_f64_e32 v[34:35], v[54:55], v[50:51]
	v_fmac_f64_e32 v[34:35], v[56:57], v[52:53]
	;; [unrolled: 1-line block ×3, first 2 shown]
	v_add_f64 v[34:35], v[2:3], -v[34:35]
	v_fma_f64 v[2:3], -v[32:33], v[36:37], 1.0
	v_fma_f64 v[14:15], v[42:43], -v[48:49], v[14:15]
	v_fmac_f64_e32 v[36:37], v[36:37], v[2:3]
	v_fmac_f64_e32 v[14:15], v[56:57], v[50:51]
	v_fma_f64 v[2:3], -v[32:33], v[36:37], 1.0
	v_fma_f64 v[14:15], v[54:55], -v[52:53], v[14:15]
	v_fmac_f64_e32 v[36:37], v[36:37], v[2:3]
	v_div_scale_f64 v[2:3], vcc, 1.0, v[30:31], 1.0
	v_add_f64 v[4:5], v[4:5], -v[14:15]
	v_mul_f64 v[14:15], v[2:3], v[36:37]
	v_fma_f64 v[2:3], -v[32:33], v[14:15], v[2:3]
	s_nop 0
	v_div_fmas_f64 v[2:3], v[2:3], v[36:37], v[14:15]
	v_div_fixup_f64 v[14:15], v[2:3], v[30:31], 1.0
	v_mul_f64 v[2:3], v[12:13], v[4:5]
	v_mul_f64 v[12:13], v[12:13], -v[34:35]
	v_fmac_f64_e32 v[2:3], v[34:35], v[10:11]
	v_fmac_f64_e32 v[12:13], v[4:5], v[10:11]
	v_mul_f64 v[2:3], v[14:15], v[2:3]
	v_mul_f64 v[4:5], v[14:15], v[12:13]
	ds_write_b128 v22, v[2:5] offset:48
	s_waitcnt lgkmcnt(0)
	ds_read_b128 v[10:13], v27 offset:48
	ds_read_b128 v[30:33], v19
	s_waitcnt lgkmcnt(0)
	v_fmac_f64_e32 v[30:31], v[2:3], v[10:11]
	v_fmac_f64_e32 v[32:33], v[4:5], v[10:11]
	;; [unrolled: 1-line block ×3, first 2 shown]
	v_fma_f64 v[32:33], v[2:3], -v[12:13], v[32:33]
	ds_write_b128 v19, v[30:33]
	s_waitcnt lgkmcnt(0)
	ds_read_b128 v[10:13], v0 offset:512
	ds_read_b128 v[2:5], v22 offset:64
	s_waitcnt lgkmcnt(1)
	v_cmp_neq_f64_e32 vcc, 0, v[10:11]
	v_cmp_neq_f64_e64 s[2:3], 0, v[12:13]
	s_or_b64 vcc, vcc, s[2:3]
	v_cndmask_b32_e32 v11, v28, v11, vcc
	s_nor_b64 s[24:25], vcc, s[0:1]
	v_cndmask_b32_e32 v10, 0, v10, vcc
	v_cndmask_b32_e32 v13, 0, v13, vcc
	;; [unrolled: 1-line block ×3, first 2 shown]
	s_and_saveexec_b64 s[2:3], s[24:25]
	s_cbranch_execz .LBB64_61
; %bb.58:                               ;   in Loop: Header=BB64_18 Depth=1
	v_mbcnt_lo_u32_b32 v10, exec_lo, 0
	v_mbcnt_hi_u32_b32 v10, exec_hi, v10
	v_cmp_eq_u32_e32 vcc, 0, v10
	s_and_saveexec_b64 s[24:25], vcc
	s_cbranch_execz .LBB64_60
; %bb.59:                               ;   in Loop: Header=BB64_18 Depth=1
	v_mov_b32_e32 v10, s23
	global_atomic_smin v0, v10, s[10:11]
.LBB64_60:                              ;   in Loop: Header=BB64_18 Depth=1
	s_or_b64 exec, exec, s[24:25]
	v_mov_b64_e32 v[12:13], 0
	v_mov_b64_e32 v[10:11], 1.0
.LBB64_61:                              ;   in Loop: Header=BB64_18 Depth=1
	s_or_b64 exec, exec, s[2:3]
	ds_read_b128 v[30:33], v0 offset:464
	ds_read_b128 v[34:37], v0 offset:480
	ds_read_b128 v[38:41], v22
	ds_read_b128 v[42:45], v0 offset:448
	ds_read_b128 v[46:49], v25 offset:64
	;; [unrolled: 1-line block ×6, first 2 shown]
	s_waitcnt lgkmcnt(4)
	v_fmac_f64_e32 v[48:49], v[44:45], v[38:39]
	v_fma_f64 v[14:15], v[42:43], -v[40:41], v[48:49]
	v_fmac_f64_e32 v[46:47], v[42:43], v[38:39]
	s_waitcnt lgkmcnt(2)
	v_fmac_f64_e32 v[14:15], v[32:33], v[54:55]
	v_fmac_f64_e32 v[46:47], v[44:45], v[40:41]
	v_fma_f64 v[14:15], v[30:31], -v[56:57], v[14:15]
	v_fmac_f64_e32 v[46:47], v[30:31], v[54:55]
	v_mul_f64 v[30:31], v[12:13], v[12:13]
	v_fmac_f64_e32 v[30:31], v[10:11], v[10:11]
	s_waitcnt lgkmcnt(1)
	v_fmac_f64_e32 v[14:15], v[36:37], v[58:59]
	v_fmac_f64_e32 v[46:47], v[32:33], v[56:57]
	v_div_scale_f64 v[32:33], s[2:3], v[30:31], v[30:31], 1.0
	v_fma_f64 v[14:15], v[34:35], -v[60:61], v[14:15]
	v_fmac_f64_e32 v[46:47], v[34:35], v[58:59]
	v_rcp_f64_e32 v[34:35], v[32:33]
	v_fmac_f64_e32 v[46:47], v[36:37], v[60:61]
	s_waitcnt lgkmcnt(0)
	v_fmac_f64_e32 v[46:47], v[50:51], v[62:63]
	v_fmac_f64_e32 v[46:47], v[52:53], v[64:65]
	v_add_f64 v[36:37], v[2:3], -v[46:47]
	v_fma_f64 v[2:3], -v[32:33], v[34:35], 1.0
	v_fmac_f64_e32 v[34:35], v[34:35], v[2:3]
	v_fmac_f64_e32 v[14:15], v[52:53], v[62:63]
	v_fma_f64 v[2:3], -v[32:33], v[34:35], 1.0
	v_fma_f64 v[14:15], v[50:51], -v[64:65], v[14:15]
	v_fmac_f64_e32 v[34:35], v[34:35], v[2:3]
	v_div_scale_f64 v[2:3], vcc, 1.0, v[30:31], 1.0
	v_add_f64 v[4:5], v[4:5], -v[14:15]
	v_mul_f64 v[14:15], v[2:3], v[34:35]
	v_fma_f64 v[2:3], -v[32:33], v[14:15], v[2:3]
	s_nop 0
	v_div_fmas_f64 v[2:3], v[2:3], v[34:35], v[14:15]
	v_div_fixup_f64 v[14:15], v[2:3], v[30:31], 1.0
	v_mul_f64 v[2:3], v[12:13], v[4:5]
	v_mul_f64 v[12:13], v[12:13], -v[36:37]
	v_fmac_f64_e32 v[2:3], v[36:37], v[10:11]
	v_fmac_f64_e32 v[12:13], v[4:5], v[10:11]
	v_mul_f64 v[2:3], v[14:15], v[2:3]
	v_mul_f64 v[4:5], v[14:15], v[12:13]
	ds_write_b128 v22, v[2:5] offset:64
	s_waitcnt lgkmcnt(0)
	ds_read_b128 v[10:13], v27 offset:64
	ds_read_b128 v[30:33], v19
	s_waitcnt lgkmcnt(0)
	v_fmac_f64_e32 v[30:31], v[2:3], v[10:11]
	v_fmac_f64_e32 v[32:33], v[4:5], v[10:11]
	;; [unrolled: 1-line block ×3, first 2 shown]
	v_fma_f64 v[32:33], v[2:3], -v[12:13], v[32:33]
	ds_write_b128 v19, v[30:33]
	s_waitcnt lgkmcnt(0)
	ds_read_b128 v[10:13], v0 offset:640
	ds_read_b128 v[2:5], v22 offset:80
	s_waitcnt lgkmcnt(1)
	v_cmp_neq_f64_e32 vcc, 0, v[10:11]
	v_cmp_neq_f64_e64 s[2:3], 0, v[12:13]
	s_or_b64 vcc, vcc, s[2:3]
	v_cndmask_b32_e32 v11, v28, v11, vcc
	s_nor_b64 s[24:25], vcc, s[0:1]
	v_cndmask_b32_e32 v10, 0, v10, vcc
	v_cndmask_b32_e32 v13, 0, v13, vcc
	v_cndmask_b32_e32 v12, 0, v12, vcc
	s_and_saveexec_b64 s[2:3], s[24:25]
	s_cbranch_execz .LBB64_17
; %bb.62:                               ;   in Loop: Header=BB64_18 Depth=1
	v_mbcnt_lo_u32_b32 v10, exec_lo, 0
	v_mbcnt_hi_u32_b32 v10, exec_hi, v10
	v_cmp_eq_u32_e32 vcc, 0, v10
	s_and_saveexec_b64 s[24:25], vcc
	s_cbranch_execz .LBB64_16
; %bb.63:                               ;   in Loop: Header=BB64_18 Depth=1
	v_mov_b32_e32 v10, s23
	global_atomic_smin v0, v10, s[10:11]
	s_branch .LBB64_16
.LBB64_64:                              ;   in Loop: Header=BB64_18 Depth=1
                                        ; implicit-def: $sgpr22
	s_cbranch_execz .LBB64_18
.LBB64_65:
	s_cmp_lg_u32 s33, 0
	s_cselect_b64 s[12:13], -1, 0
	s_cmp_eq_u32 s33, 0
	v_mov_b32_e32 v0, v17
	s_cbranch_scc1 .LBB64_67
; %bb.66:
	v_mad_u32_u24 v0, v7, 6, v16
.LBB64_67:
	s_mul_i32 s30, s30, 36
	v_add_u32_e32 v0, s30, v0
	v_ashrrev_i32_e32 v1, 31, v0
	v_lshl_add_u64 v[0:1], v[0:1], 4, s[18:19]
	global_load_dwordx4 v[0:3], v[0:1], off
	s_movk_i32 s0, 0x70
	v_mov_b32_e32 v4, 0x540
	v_mad_u32_u24 v8, v16, s0, v4
	v_cmp_ne_u32_e64 s[2:3], 0, v16
	v_lshl_add_u32 v6, v7, 4, v8
	v_cmp_eq_u32_e32 vcc, 0, v16
	s_waitcnt vmcnt(0)
	ds_write2_b64 v6, v[0:1], v[2:3] offset1:1
	s_waitcnt lgkmcnt(0)
	s_and_saveexec_b64 s[0:1], vcc
	s_cbranch_execz .LBB64_76
; %bb.68:
	v_mov_b32_e32 v4, 0
	ds_read_b128 v[0:3], v4 offset:2016
	ds_read_b128 v[10:13], v4 offset:1344
	s_waitcnt lgkmcnt(0)
	v_add_f64 v[0:1], v[10:11], -v[0:1]
	v_add_f64 v[4:5], v[12:13], -v[2:3]
	v_xor_b32_e32 v2, 0x80000000, v1
	v_cmp_gt_f64_e32 vcc, 0, v[0:1]
	v_xor_b32_e32 v3, 0x80000000, v5
	s_nop 0
	v_cndmask_b32_e32 v1, v1, v2, vcc
	v_cmp_gt_f64_e32 vcc, 0, v[4:5]
	v_mov_b32_e32 v2, v4
	s_nop 0
	v_cndmask_b32_e32 v3, v5, v3, vcc
	v_cmp_ngt_f64_e32 vcc, v[0:1], v[2:3]
	s_cbranch_vccz .LBB64_73
; %bb.69:
	v_cmp_eq_f64_e32 vcc, 0, v[4:5]
	s_mov_b64 s[4:5], 0
	s_cbranch_vccnz .LBB64_156
; %bb.70:
	v_div_scale_f64 v[4:5], s[14:15], v[2:3], v[2:3], v[0:1]
	v_rcp_f64_e32 v[10:11], v[4:5]
	v_div_scale_f64 v[12:13], vcc, v[0:1], v[2:3], v[0:1]
	s_mov_b32 s14, 0
	v_fma_f64 v[14:15], -v[4:5], v[10:11], 1.0
	v_fmac_f64_e32 v[10:11], v[10:11], v[14:15]
	v_fma_f64 v[14:15], -v[4:5], v[10:11], 1.0
	v_fmac_f64_e32 v[10:11], v[10:11], v[14:15]
	v_mul_f64 v[14:15], v[12:13], v[10:11]
	v_fma_f64 v[4:5], -v[4:5], v[14:15], v[12:13]
	v_div_fmas_f64 v[4:5], v[4:5], v[10:11], v[14:15]
	v_div_fixup_f64 v[4:5], v[4:5], v[2:3], v[0:1]
	v_fma_f64 v[4:5], v[4:5], v[4:5], 1.0
	s_brev_b32 s15, 8
	v_cmp_gt_f64_e32 vcc, s[14:15], v[4:5]
	s_and_b64 s[14:15], vcc, exec
	s_cselect_b32 s14, 0x100, 0
	v_ldexp_f64 v[4:5], v[4:5], s14
	v_rsq_f64_e32 v[10:11], v[4:5]
	s_cselect_b32 s14, 0xffffff80, 0
	v_mov_b32_e32 v9, 0x260
	v_cmp_class_f64_e32 vcc, v[4:5], v9
	v_mul_f64 v[12:13], v[4:5], v[10:11]
	v_mul_f64 v[10:11], v[10:11], 0.5
	v_fma_f64 v[14:15], -v[10:11], v[12:13], 0.5
	v_fmac_f64_e32 v[12:13], v[12:13], v[14:15]
	v_fma_f64 v[22:23], -v[12:13], v[12:13], v[4:5]
	v_fmac_f64_e32 v[10:11], v[10:11], v[14:15]
	v_fmac_f64_e32 v[12:13], v[22:23], v[10:11]
	v_fma_f64 v[14:15], -v[12:13], v[12:13], v[4:5]
	v_fmac_f64_e32 v[12:13], v[14:15], v[10:11]
	v_ldexp_f64 v[10:11], v[12:13], s14
	v_cndmask_b32_e32 v5, v11, v5, vcc
	v_cndmask_b32_e32 v4, v10, v4, vcc
	v_mul_f64 v[4:5], v[2:3], v[4:5]
	s_andn2_b64 vcc, exec, s[4:5]
	s_cbranch_vccz .LBB64_74
	s_branch .LBB64_75
.LBB64_71:
	s_cbranch_execnz .LBB64_150
.LBB64_72:
	s_endpgm
.LBB64_73:
                                        ; implicit-def: $vgpr4_vgpr5
.LBB64_74:
	v_div_scale_f64 v[4:5], s[4:5], v[0:1], v[0:1], v[2:3]
	v_rcp_f64_e32 v[10:11], v[4:5]
	v_div_scale_f64 v[12:13], vcc, v[2:3], v[0:1], v[2:3]
	s_mov_b32 s4, 0
	v_fma_f64 v[14:15], -v[4:5], v[10:11], 1.0
	v_fmac_f64_e32 v[10:11], v[10:11], v[14:15]
	v_fma_f64 v[14:15], -v[4:5], v[10:11], 1.0
	v_fmac_f64_e32 v[10:11], v[10:11], v[14:15]
	v_mul_f64 v[14:15], v[12:13], v[10:11]
	v_fma_f64 v[4:5], -v[4:5], v[14:15], v[12:13]
	v_div_fmas_f64 v[4:5], v[4:5], v[10:11], v[14:15]
	v_div_fixup_f64 v[2:3], v[4:5], v[0:1], v[2:3]
	v_fma_f64 v[2:3], v[2:3], v[2:3], 1.0
	s_brev_b32 s5, 8
	v_cmp_gt_f64_e32 vcc, s[4:5], v[2:3]
	s_and_b64 s[4:5], vcc, exec
	s_cselect_b32 s4, 0x100, 0
	v_ldexp_f64 v[2:3], v[2:3], s4
	v_rsq_f64_e32 v[4:5], v[2:3]
	s_cselect_b32 s4, 0xffffff80, 0
	v_mov_b32_e32 v9, 0x260
	v_cmp_class_f64_e32 vcc, v[2:3], v9
	v_mul_f64 v[10:11], v[2:3], v[4:5]
	v_mul_f64 v[4:5], v[4:5], 0.5
	v_fma_f64 v[12:13], -v[4:5], v[10:11], 0.5
	v_fmac_f64_e32 v[10:11], v[10:11], v[12:13]
	v_fma_f64 v[14:15], -v[10:11], v[10:11], v[2:3]
	v_fmac_f64_e32 v[4:5], v[4:5], v[12:13]
	v_fmac_f64_e32 v[10:11], v[14:15], v[4:5]
	v_fma_f64 v[12:13], -v[10:11], v[10:11], v[2:3]
	v_fmac_f64_e32 v[10:11], v[12:13], v[4:5]
	v_ldexp_f64 v[4:5], v[10:11], s4
	v_cndmask_b32_e32 v3, v5, v3, vcc
	v_cndmask_b32_e32 v2, v4, v2, vcc
	v_mul_f64 v[4:5], v[0:1], v[2:3]
.LBB64_75:
	s_mov_b32 s4, 0
	s_brev_b32 s5, 8
	v_cmp_gt_f64_e32 vcc, s[4:5], v[4:5]
	s_and_b64 s[4:5], vcc, exec
	s_cselect_b32 s4, 0x100, 0
	v_ldexp_f64 v[0:1], v[4:5], s4
	v_rsq_f64_e32 v[2:3], v[0:1]
	s_cselect_b32 s4, 0xffffff80, 0
	v_mul_f64 v[4:5], v[0:1], v[2:3]
	v_mul_f64 v[2:3], v[2:3], 0.5
	v_fma_f64 v[10:11], -v[2:3], v[4:5], 0.5
	v_fmac_f64_e32 v[4:5], v[4:5], v[10:11]
	v_fmac_f64_e32 v[2:3], v[2:3], v[10:11]
	v_fma_f64 v[10:11], -v[4:5], v[4:5], v[0:1]
	v_fmac_f64_e32 v[4:5], v[10:11], v[2:3]
	v_fma_f64 v[10:11], -v[4:5], v[4:5], v[0:1]
	v_fmac_f64_e32 v[4:5], v[10:11], v[2:3]
	v_ldexp_f64 v[2:3], v[4:5], s4
	v_mov_b32_e32 v4, 0x260
	v_cmp_class_f64_e32 vcc, v[0:1], v4
	s_nop 1
	v_cndmask_b32_e32 v0, v2, v0, vcc
	v_mov_b32_e32 v2, 0
	v_cndmask_b32_e32 v1, v3, v1, vcc
	v_mov_b32_e32 v3, v2
	ds_write_b128 v2, v[0:3] offset:1344
.LBB64_76:
	s_or_b64 exec, exec, s[0:1]
	v_mov_b32_e32 v0, 0
	s_waitcnt lgkmcnt(0)
	ds_read_b128 v[0:3], v0 offset:1344
	v_or_b32_e32 v9, v7, v16
	v_cmp_ne_u32_e64 s[0:1], 0, v9
	v_mov_b32_e32 v4, 0x3ff00000
	s_add_i32 s20, s16, s17
	s_waitcnt lgkmcnt(0)
	v_cmp_neq_f64_e32 vcc, 0, v[0:1]
	v_cmp_neq_f64_e64 s[4:5], 0, v[2:3]
	s_or_b64 vcc, vcc, s[4:5]
	v_cndmask_b32_e32 v1, v4, v1, vcc
	s_nor_b64 s[14:15], vcc, s[0:1]
	v_cndmask_b32_e32 v0, 0, v0, vcc
	v_cndmask_b32_e32 v3, 0, v3, vcc
	v_cndmask_b32_e32 v2, 0, v2, vcc
	s_and_saveexec_b64 s[4:5], s[14:15]
	s_cbranch_execz .LBB64_80
; %bb.77:
	v_mbcnt_lo_u32_b32 v0, exec_lo, 0
	v_mbcnt_hi_u32_b32 v0, exec_hi, v0
	v_cmp_eq_u32_e32 vcc, 0, v0
	s_and_saveexec_b64 s[14:15], vcc
	s_cbranch_execz .LBB64_79
; %bb.78:
	v_mov_b32_e32 v0, 0
	v_mov_b32_e32 v1, s20
	global_atomic_smin v0, v1, s[10:11]
.LBB64_79:
	s_or_b64 exec, exec, s[14:15]
	v_mov_b64_e32 v[2:3], 0
	v_mov_b64_e32 v[0:1], 1.0
.LBB64_80:
	s_or_b64 exec, exec, s[4:5]
	s_movk_i32 s4, 0x70
	v_mov_b32_e32 v4, 0x540
	v_mad_u32_u24 v10, v7, s4, v4
	s_and_saveexec_b64 s[4:5], s[2:3]
	s_cbranch_execz .LBB64_82
; %bb.81:
	v_mul_f64 v[4:5], v[2:3], v[2:3]
	v_fmac_f64_e32 v[4:5], v[0:1], v[0:1]
	ds_read_b128 v[12:15], v8
	ds_read_b128 v[22:25], v20
	v_div_scale_f64 v[26:27], s[2:3], v[4:5], v[4:5], 1.0
	v_rcp_f64_e32 v[28:29], v[26:27]
	s_waitcnt lgkmcnt(0)
	v_add_f64 v[22:23], v[12:13], -v[22:23]
	v_add_f64 v[14:15], v[14:15], -v[24:25]
	v_fma_f64 v[12:13], -v[26:27], v[28:29], 1.0
	v_fmac_f64_e32 v[28:29], v[28:29], v[12:13]
	v_fma_f64 v[12:13], -v[26:27], v[28:29], 1.0
	v_fmac_f64_e32 v[28:29], v[28:29], v[12:13]
	v_div_scale_f64 v[12:13], vcc, 1.0, v[4:5], 1.0
	v_mul_f64 v[24:25], v[12:13], v[28:29]
	v_fma_f64 v[12:13], -v[26:27], v[24:25], v[12:13]
	s_nop 1
	v_div_fmas_f64 v[12:13], v[12:13], v[28:29], v[24:25]
	v_div_fixup_f64 v[4:5], v[12:13], v[4:5], 1.0
	v_mul_f64 v[12:13], v[2:3], v[14:15]
	v_mul_f64 v[2:3], v[2:3], -v[22:23]
	v_fmac_f64_e32 v[12:13], v[22:23], v[0:1]
	v_fmac_f64_e32 v[2:3], v[14:15], v[0:1]
	v_mul_f64 v[12:13], v[4:5], v[12:13]
	v_mul_f64 v[14:15], v[4:5], v[2:3]
	ds_write_b128 v8, v[12:15]
	s_waitcnt lgkmcnt(0)
	ds_read_b128 v[0:3], v10
	ds_read_b128 v[22:25], v19
	s_waitcnt lgkmcnt(0)
	v_fmac_f64_e32 v[22:23], v[12:13], v[0:1]
	v_fmac_f64_e32 v[24:25], v[14:15], v[0:1]
	;; [unrolled: 1-line block ×3, first 2 shown]
	v_fma_f64 v[24:25], v[12:13], -v[2:3], v[24:25]
	ds_write_b128 v19, v[22:25]
.LBB64_82:
	s_or_b64 exec, exec, s[4:5]
	v_cmp_eq_u32_e32 vcc, 1, v16
	s_waitcnt lgkmcnt(0)
	s_and_saveexec_b64 s[2:3], vcc
	s_cbranch_execz .LBB64_89
; %bb.83:
	v_mov_b32_e32 v4, 0
	ds_read_b128 v[0:3], v4 offset:2144
	ds_read_b128 v[12:15], v4 offset:1472
	s_waitcnt lgkmcnt(0)
	v_add_f64 v[0:1], v[12:13], -v[0:1]
	v_add_f64 v[4:5], v[14:15], -v[2:3]
	v_xor_b32_e32 v2, 0x80000000, v1
	v_cmp_gt_f64_e32 vcc, 0, v[0:1]
	v_xor_b32_e32 v3, 0x80000000, v5
	s_nop 0
	v_cndmask_b32_e32 v1, v1, v2, vcc
	v_cmp_gt_f64_e32 vcc, 0, v[4:5]
	v_mov_b32_e32 v2, v4
	s_nop 0
	v_cndmask_b32_e32 v3, v5, v3, vcc
	v_cmp_gt_f64_e32 vcc, v[0:1], v[2:3]
	s_cbranch_vccnz .LBB64_86
; %bb.84:
	v_cmp_eq_f64_e32 vcc, 0, v[4:5]
	s_mov_b64 s[4:5], 0
	s_cbranch_vccnz .LBB64_157
; %bb.85:
	v_div_scale_f64 v[4:5], s[14:15], v[2:3], v[2:3], v[0:1]
	v_rcp_f64_e32 v[12:13], v[4:5]
	v_div_scale_f64 v[14:15], vcc, v[0:1], v[2:3], v[0:1]
	s_mov_b32 s14, 0
	v_fma_f64 v[22:23], -v[4:5], v[12:13], 1.0
	v_fmac_f64_e32 v[12:13], v[12:13], v[22:23]
	v_fma_f64 v[22:23], -v[4:5], v[12:13], 1.0
	v_fmac_f64_e32 v[12:13], v[12:13], v[22:23]
	v_mul_f64 v[22:23], v[14:15], v[12:13]
	v_fma_f64 v[4:5], -v[4:5], v[22:23], v[14:15]
	v_div_fmas_f64 v[4:5], v[4:5], v[12:13], v[22:23]
	v_div_fixup_f64 v[4:5], v[4:5], v[2:3], v[0:1]
	v_fma_f64 v[4:5], v[4:5], v[4:5], 1.0
	s_brev_b32 s15, 8
	v_cmp_gt_f64_e32 vcc, s[14:15], v[4:5]
	s_and_b64 s[14:15], vcc, exec
	s_cselect_b32 s14, 0x100, 0
	v_ldexp_f64 v[4:5], v[4:5], s14
	v_rsq_f64_e32 v[12:13], v[4:5]
	s_cselect_b32 s14, 0xffffff80, 0
	v_mov_b32_e32 v11, 0x260
	v_cmp_class_f64_e32 vcc, v[4:5], v11
	v_mul_f64 v[14:15], v[4:5], v[12:13]
	v_mul_f64 v[12:13], v[12:13], 0.5
	v_fma_f64 v[22:23], -v[12:13], v[14:15], 0.5
	v_fmac_f64_e32 v[14:15], v[14:15], v[22:23]
	v_fma_f64 v[24:25], -v[14:15], v[14:15], v[4:5]
	v_fmac_f64_e32 v[12:13], v[12:13], v[22:23]
	v_fmac_f64_e32 v[14:15], v[24:25], v[12:13]
	v_fma_f64 v[22:23], -v[14:15], v[14:15], v[4:5]
	v_fmac_f64_e32 v[14:15], v[22:23], v[12:13]
	v_ldexp_f64 v[12:13], v[14:15], s14
	v_cndmask_b32_e32 v5, v13, v5, vcc
	v_cndmask_b32_e32 v4, v12, v4, vcc
	v_mul_f64 v[4:5], v[2:3], v[4:5]
	s_andn2_b64 vcc, exec, s[4:5]
	s_cbranch_vccz .LBB64_87
	s_branch .LBB64_88
.LBB64_86:
                                        ; implicit-def: $vgpr4_vgpr5
.LBB64_87:
	v_div_scale_f64 v[4:5], s[4:5], v[0:1], v[0:1], v[2:3]
	v_rcp_f64_e32 v[12:13], v[4:5]
	v_div_scale_f64 v[14:15], vcc, v[2:3], v[0:1], v[2:3]
	s_mov_b32 s4, 0
	v_fma_f64 v[22:23], -v[4:5], v[12:13], 1.0
	v_fmac_f64_e32 v[12:13], v[12:13], v[22:23]
	v_fma_f64 v[22:23], -v[4:5], v[12:13], 1.0
	v_fmac_f64_e32 v[12:13], v[12:13], v[22:23]
	v_mul_f64 v[22:23], v[14:15], v[12:13]
	v_fma_f64 v[4:5], -v[4:5], v[22:23], v[14:15]
	v_div_fmas_f64 v[4:5], v[4:5], v[12:13], v[22:23]
	v_div_fixup_f64 v[2:3], v[4:5], v[0:1], v[2:3]
	v_fma_f64 v[2:3], v[2:3], v[2:3], 1.0
	s_brev_b32 s5, 8
	v_cmp_gt_f64_e32 vcc, s[4:5], v[2:3]
	s_and_b64 s[4:5], vcc, exec
	s_cselect_b32 s4, 0x100, 0
	v_ldexp_f64 v[2:3], v[2:3], s4
	v_rsq_f64_e32 v[4:5], v[2:3]
	s_cselect_b32 s4, 0xffffff80, 0
	v_mov_b32_e32 v11, 0x260
	v_cmp_class_f64_e32 vcc, v[2:3], v11
	v_mul_f64 v[12:13], v[2:3], v[4:5]
	v_mul_f64 v[4:5], v[4:5], 0.5
	v_fma_f64 v[14:15], -v[4:5], v[12:13], 0.5
	v_fmac_f64_e32 v[12:13], v[12:13], v[14:15]
	v_fma_f64 v[22:23], -v[12:13], v[12:13], v[2:3]
	v_fmac_f64_e32 v[4:5], v[4:5], v[14:15]
	v_fmac_f64_e32 v[12:13], v[22:23], v[4:5]
	v_fma_f64 v[14:15], -v[12:13], v[12:13], v[2:3]
	v_fmac_f64_e32 v[12:13], v[14:15], v[4:5]
	v_ldexp_f64 v[4:5], v[12:13], s4
	v_cndmask_b32_e32 v3, v5, v3, vcc
	v_cndmask_b32_e32 v2, v4, v2, vcc
	v_mul_f64 v[4:5], v[0:1], v[2:3]
.LBB64_88:
	s_mov_b32 s4, 0
	s_brev_b32 s5, 8
	v_cmp_gt_f64_e32 vcc, s[4:5], v[4:5]
	s_and_b64 s[4:5], vcc, exec
	s_cselect_b32 s4, 0x100, 0
	v_ldexp_f64 v[0:1], v[4:5], s4
	v_rsq_f64_e32 v[2:3], v[0:1]
	s_cselect_b32 s4, 0xffffff80, 0
	v_mul_f64 v[4:5], v[0:1], v[2:3]
	v_mul_f64 v[2:3], v[2:3], 0.5
	v_fma_f64 v[12:13], -v[2:3], v[4:5], 0.5
	v_fmac_f64_e32 v[4:5], v[4:5], v[12:13]
	v_fmac_f64_e32 v[2:3], v[2:3], v[12:13]
	v_fma_f64 v[12:13], -v[4:5], v[4:5], v[0:1]
	v_fmac_f64_e32 v[4:5], v[12:13], v[2:3]
	v_fma_f64 v[12:13], -v[4:5], v[4:5], v[0:1]
	v_fmac_f64_e32 v[4:5], v[12:13], v[2:3]
	v_ldexp_f64 v[2:3], v[4:5], s4
	v_mov_b32_e32 v4, 0x260
	v_cmp_class_f64_e32 vcc, v[0:1], v4
	s_nop 1
	v_cndmask_b32_e32 v0, v2, v0, vcc
	v_mov_b32_e32 v2, 0
	v_cndmask_b32_e32 v1, v3, v1, vcc
	v_mov_b32_e32 v3, v2
	ds_write_b128 v2, v[0:3] offset:1472
.LBB64_89:
	s_or_b64 exec, exec, s[2:3]
	v_mov_b32_e32 v0, 0
	s_waitcnt lgkmcnt(0)
	ds_read_b128 v[0:3], v0 offset:1472
	v_mov_b32_e32 v4, 0x3ff00000
	s_waitcnt lgkmcnt(0)
	v_cmp_neq_f64_e32 vcc, 0, v[0:1]
	v_cmp_neq_f64_e64 s[2:3], 0, v[2:3]
	s_or_b64 vcc, vcc, s[2:3]
	v_cndmask_b32_e32 v1, v4, v1, vcc
	s_nor_b64 s[4:5], vcc, s[0:1]
	v_cndmask_b32_e32 v0, 0, v0, vcc
	v_cndmask_b32_e32 v3, 0, v3, vcc
	v_cndmask_b32_e32 v2, 0, v2, vcc
	s_and_saveexec_b64 s[2:3], s[4:5]
	s_cbranch_execz .LBB64_93
; %bb.90:
	v_mbcnt_lo_u32_b32 v0, exec_lo, 0
	v_mbcnt_hi_u32_b32 v0, exec_hi, v0
	v_cmp_eq_u32_e32 vcc, 0, v0
	s_and_saveexec_b64 s[4:5], vcc
	s_cbranch_execz .LBB64_92
; %bb.91:
	v_mov_b32_e32 v0, 0
	v_mov_b32_e32 v1, s20
	global_atomic_smin v0, v1, s[10:11]
.LBB64_92:
	s_or_b64 exec, exec, s[4:5]
	v_mov_b64_e32 v[2:3], 0
	v_mov_b64_e32 v[0:1], 1.0
.LBB64_93:
	s_or_b64 exec, exec, s[2:3]
	v_cmp_lt_u32_e32 vcc, 1, v16
	s_and_saveexec_b64 s[2:3], vcc
	s_cbranch_execz .LBB64_95
; %bb.94:
	v_mul_f64 v[4:5], v[2:3], v[2:3]
	v_fmac_f64_e32 v[4:5], v[0:1], v[0:1]
	ds_read_b128 v[12:15], v8 offset:16
	ds_read_b128 v[22:25], v20 offset:16
	v_div_scale_f64 v[26:27], s[4:5], v[4:5], v[4:5], 1.0
	v_rcp_f64_e32 v[28:29], v[26:27]
	s_waitcnt lgkmcnt(0)
	v_add_f64 v[22:23], v[12:13], -v[22:23]
	v_add_f64 v[14:15], v[14:15], -v[24:25]
	v_fma_f64 v[12:13], -v[26:27], v[28:29], 1.0
	v_fmac_f64_e32 v[28:29], v[28:29], v[12:13]
	v_fma_f64 v[12:13], -v[26:27], v[28:29], 1.0
	v_fmac_f64_e32 v[28:29], v[28:29], v[12:13]
	v_div_scale_f64 v[12:13], vcc, 1.0, v[4:5], 1.0
	v_mul_f64 v[24:25], v[12:13], v[28:29]
	v_fma_f64 v[12:13], -v[26:27], v[24:25], v[12:13]
	s_nop 1
	v_div_fmas_f64 v[12:13], v[12:13], v[28:29], v[24:25]
	v_div_fixup_f64 v[4:5], v[12:13], v[4:5], 1.0
	v_mul_f64 v[12:13], v[2:3], v[14:15]
	v_mul_f64 v[2:3], v[2:3], -v[22:23]
	v_fmac_f64_e32 v[12:13], v[22:23], v[0:1]
	v_fmac_f64_e32 v[2:3], v[14:15], v[0:1]
	v_mul_f64 v[12:13], v[4:5], v[12:13]
	v_mul_f64 v[14:15], v[4:5], v[2:3]
	ds_write_b128 v8, v[12:15] offset:16
	s_waitcnt lgkmcnt(0)
	ds_read_b128 v[0:3], v10 offset:16
	ds_read_b128 v[22:25], v19
	s_waitcnt lgkmcnt(0)
	v_fmac_f64_e32 v[22:23], v[12:13], v[0:1]
	v_fmac_f64_e32 v[24:25], v[14:15], v[0:1]
	v_fmac_f64_e32 v[22:23], v[14:15], v[2:3]
	v_fma_f64 v[24:25], v[12:13], -v[2:3], v[24:25]
	ds_write_b128 v19, v[22:25]
.LBB64_95:
	s_or_b64 exec, exec, s[2:3]
	v_cmp_eq_u32_e32 vcc, 2, v16
	s_waitcnt lgkmcnt(0)
	s_and_saveexec_b64 s[2:3], vcc
	s_cbranch_execz .LBB64_102
; %bb.96:
	v_mov_b32_e32 v4, 0
	ds_read_b128 v[0:3], v4 offset:2272
	ds_read_b128 v[12:15], v4 offset:1600
	s_waitcnt lgkmcnt(0)
	v_add_f64 v[0:1], v[12:13], -v[0:1]
	v_add_f64 v[4:5], v[14:15], -v[2:3]
	v_xor_b32_e32 v2, 0x80000000, v1
	v_cmp_gt_f64_e32 vcc, 0, v[0:1]
	v_xor_b32_e32 v3, 0x80000000, v5
	s_nop 0
	v_cndmask_b32_e32 v1, v1, v2, vcc
	v_cmp_gt_f64_e32 vcc, 0, v[4:5]
	v_mov_b32_e32 v2, v4
	s_nop 0
	v_cndmask_b32_e32 v3, v5, v3, vcc
	v_cmp_gt_f64_e32 vcc, v[0:1], v[2:3]
	s_cbranch_vccnz .LBB64_99
; %bb.97:
	v_cmp_eq_f64_e32 vcc, 0, v[4:5]
	s_mov_b64 s[4:5], 0
	s_cbranch_vccnz .LBB64_158
; %bb.98:
	v_div_scale_f64 v[4:5], s[14:15], v[2:3], v[2:3], v[0:1]
	v_rcp_f64_e32 v[12:13], v[4:5]
	v_div_scale_f64 v[14:15], vcc, v[0:1], v[2:3], v[0:1]
	s_mov_b32 s14, 0
	v_fma_f64 v[22:23], -v[4:5], v[12:13], 1.0
	v_fmac_f64_e32 v[12:13], v[12:13], v[22:23]
	v_fma_f64 v[22:23], -v[4:5], v[12:13], 1.0
	v_fmac_f64_e32 v[12:13], v[12:13], v[22:23]
	v_mul_f64 v[22:23], v[14:15], v[12:13]
	v_fma_f64 v[4:5], -v[4:5], v[22:23], v[14:15]
	v_div_fmas_f64 v[4:5], v[4:5], v[12:13], v[22:23]
	v_div_fixup_f64 v[4:5], v[4:5], v[2:3], v[0:1]
	v_fma_f64 v[4:5], v[4:5], v[4:5], 1.0
	s_brev_b32 s15, 8
	v_cmp_gt_f64_e32 vcc, s[14:15], v[4:5]
	s_and_b64 s[14:15], vcc, exec
	s_cselect_b32 s14, 0x100, 0
	v_ldexp_f64 v[4:5], v[4:5], s14
	v_rsq_f64_e32 v[12:13], v[4:5]
	s_cselect_b32 s14, 0xffffff80, 0
	v_mov_b32_e32 v11, 0x260
	v_cmp_class_f64_e32 vcc, v[4:5], v11
	v_mul_f64 v[14:15], v[4:5], v[12:13]
	v_mul_f64 v[12:13], v[12:13], 0.5
	v_fma_f64 v[22:23], -v[12:13], v[14:15], 0.5
	v_fmac_f64_e32 v[14:15], v[14:15], v[22:23]
	v_fma_f64 v[24:25], -v[14:15], v[14:15], v[4:5]
	v_fmac_f64_e32 v[12:13], v[12:13], v[22:23]
	v_fmac_f64_e32 v[14:15], v[24:25], v[12:13]
	v_fma_f64 v[22:23], -v[14:15], v[14:15], v[4:5]
	v_fmac_f64_e32 v[14:15], v[22:23], v[12:13]
	v_ldexp_f64 v[12:13], v[14:15], s14
	v_cndmask_b32_e32 v5, v13, v5, vcc
	v_cndmask_b32_e32 v4, v12, v4, vcc
	v_mul_f64 v[4:5], v[2:3], v[4:5]
	s_andn2_b64 vcc, exec, s[4:5]
	s_cbranch_vccz .LBB64_100
	s_branch .LBB64_101
.LBB64_99:
                                        ; implicit-def: $vgpr4_vgpr5
.LBB64_100:
	v_div_scale_f64 v[4:5], s[4:5], v[0:1], v[0:1], v[2:3]
	v_rcp_f64_e32 v[12:13], v[4:5]
	v_div_scale_f64 v[14:15], vcc, v[2:3], v[0:1], v[2:3]
	s_mov_b32 s4, 0
	v_fma_f64 v[22:23], -v[4:5], v[12:13], 1.0
	v_fmac_f64_e32 v[12:13], v[12:13], v[22:23]
	v_fma_f64 v[22:23], -v[4:5], v[12:13], 1.0
	v_fmac_f64_e32 v[12:13], v[12:13], v[22:23]
	v_mul_f64 v[22:23], v[14:15], v[12:13]
	v_fma_f64 v[4:5], -v[4:5], v[22:23], v[14:15]
	v_div_fmas_f64 v[4:5], v[4:5], v[12:13], v[22:23]
	v_div_fixup_f64 v[2:3], v[4:5], v[0:1], v[2:3]
	v_fma_f64 v[2:3], v[2:3], v[2:3], 1.0
	s_brev_b32 s5, 8
	v_cmp_gt_f64_e32 vcc, s[4:5], v[2:3]
	s_and_b64 s[4:5], vcc, exec
	s_cselect_b32 s4, 0x100, 0
	v_ldexp_f64 v[2:3], v[2:3], s4
	v_rsq_f64_e32 v[4:5], v[2:3]
	s_cselect_b32 s4, 0xffffff80, 0
	v_mov_b32_e32 v11, 0x260
	v_cmp_class_f64_e32 vcc, v[2:3], v11
	v_mul_f64 v[12:13], v[2:3], v[4:5]
	v_mul_f64 v[4:5], v[4:5], 0.5
	v_fma_f64 v[14:15], -v[4:5], v[12:13], 0.5
	v_fmac_f64_e32 v[12:13], v[12:13], v[14:15]
	v_fma_f64 v[22:23], -v[12:13], v[12:13], v[2:3]
	v_fmac_f64_e32 v[4:5], v[4:5], v[14:15]
	v_fmac_f64_e32 v[12:13], v[22:23], v[4:5]
	v_fma_f64 v[14:15], -v[12:13], v[12:13], v[2:3]
	v_fmac_f64_e32 v[12:13], v[14:15], v[4:5]
	v_ldexp_f64 v[4:5], v[12:13], s4
	v_cndmask_b32_e32 v3, v5, v3, vcc
	v_cndmask_b32_e32 v2, v4, v2, vcc
	v_mul_f64 v[4:5], v[0:1], v[2:3]
.LBB64_101:
	s_mov_b32 s4, 0
	s_brev_b32 s5, 8
	v_cmp_gt_f64_e32 vcc, s[4:5], v[4:5]
	s_and_b64 s[4:5], vcc, exec
	s_cselect_b32 s4, 0x100, 0
	v_ldexp_f64 v[0:1], v[4:5], s4
	v_rsq_f64_e32 v[2:3], v[0:1]
	s_cselect_b32 s4, 0xffffff80, 0
	v_mul_f64 v[4:5], v[0:1], v[2:3]
	v_mul_f64 v[2:3], v[2:3], 0.5
	v_fma_f64 v[12:13], -v[2:3], v[4:5], 0.5
	v_fmac_f64_e32 v[4:5], v[4:5], v[12:13]
	v_fmac_f64_e32 v[2:3], v[2:3], v[12:13]
	v_fma_f64 v[12:13], -v[4:5], v[4:5], v[0:1]
	v_fmac_f64_e32 v[4:5], v[12:13], v[2:3]
	v_fma_f64 v[12:13], -v[4:5], v[4:5], v[0:1]
	v_fmac_f64_e32 v[4:5], v[12:13], v[2:3]
	v_ldexp_f64 v[2:3], v[4:5], s4
	v_mov_b32_e32 v4, 0x260
	v_cmp_class_f64_e32 vcc, v[0:1], v4
	s_nop 1
	v_cndmask_b32_e32 v0, v2, v0, vcc
	v_mov_b32_e32 v2, 0
	v_cndmask_b32_e32 v1, v3, v1, vcc
	v_mov_b32_e32 v3, v2
	ds_write_b128 v2, v[0:3] offset:1600
.LBB64_102:
	s_or_b64 exec, exec, s[2:3]
	v_mov_b32_e32 v0, 0
	s_waitcnt lgkmcnt(0)
	ds_read_b128 v[0:3], v0 offset:1600
	v_mov_b32_e32 v4, 0x3ff00000
	s_waitcnt lgkmcnt(0)
	v_cmp_neq_f64_e32 vcc, 0, v[0:1]
	v_cmp_neq_f64_e64 s[2:3], 0, v[2:3]
	s_or_b64 vcc, vcc, s[2:3]
	v_cndmask_b32_e32 v1, v4, v1, vcc
	s_nor_b64 s[4:5], vcc, s[0:1]
	v_cndmask_b32_e32 v0, 0, v0, vcc
	v_cndmask_b32_e32 v3, 0, v3, vcc
	;; [unrolled: 1-line block ×3, first 2 shown]
	s_and_saveexec_b64 s[2:3], s[4:5]
	s_cbranch_execz .LBB64_106
; %bb.103:
	v_mbcnt_lo_u32_b32 v0, exec_lo, 0
	v_mbcnt_hi_u32_b32 v0, exec_hi, v0
	v_cmp_eq_u32_e32 vcc, 0, v0
	s_and_saveexec_b64 s[4:5], vcc
	s_cbranch_execz .LBB64_105
; %bb.104:
	v_mov_b32_e32 v0, 0
	v_mov_b32_e32 v1, s20
	global_atomic_smin v0, v1, s[10:11]
.LBB64_105:
	s_or_b64 exec, exec, s[4:5]
	v_mov_b64_e32 v[2:3], 0
	v_mov_b64_e32 v[0:1], 1.0
.LBB64_106:
	s_or_b64 exec, exec, s[2:3]
	v_cmp_lt_u32_e32 vcc, 2, v16
	s_and_saveexec_b64 s[2:3], vcc
	s_cbranch_execz .LBB64_108
; %bb.107:
	v_mul_f64 v[4:5], v[2:3], v[2:3]
	v_fmac_f64_e32 v[4:5], v[0:1], v[0:1]
	ds_read_b128 v[12:15], v8 offset:32
	ds_read_b128 v[22:25], v20 offset:32
	v_div_scale_f64 v[26:27], s[4:5], v[4:5], v[4:5], 1.0
	v_rcp_f64_e32 v[28:29], v[26:27]
	s_waitcnt lgkmcnt(0)
	v_add_f64 v[22:23], v[12:13], -v[22:23]
	v_add_f64 v[14:15], v[14:15], -v[24:25]
	v_fma_f64 v[12:13], -v[26:27], v[28:29], 1.0
	v_fmac_f64_e32 v[28:29], v[28:29], v[12:13]
	v_fma_f64 v[12:13], -v[26:27], v[28:29], 1.0
	v_fmac_f64_e32 v[28:29], v[28:29], v[12:13]
	v_div_scale_f64 v[12:13], vcc, 1.0, v[4:5], 1.0
	v_mul_f64 v[24:25], v[12:13], v[28:29]
	v_fma_f64 v[12:13], -v[26:27], v[24:25], v[12:13]
	s_nop 1
	v_div_fmas_f64 v[12:13], v[12:13], v[28:29], v[24:25]
	v_div_fixup_f64 v[4:5], v[12:13], v[4:5], 1.0
	v_mul_f64 v[12:13], v[2:3], v[14:15]
	v_mul_f64 v[2:3], v[2:3], -v[22:23]
	v_fmac_f64_e32 v[12:13], v[22:23], v[0:1]
	v_fmac_f64_e32 v[2:3], v[14:15], v[0:1]
	v_mul_f64 v[12:13], v[4:5], v[12:13]
	v_mul_f64 v[14:15], v[4:5], v[2:3]
	ds_write_b128 v8, v[12:15] offset:32
	s_waitcnt lgkmcnt(0)
	ds_read_b128 v[0:3], v10 offset:32
	ds_read_b128 v[22:25], v19
	s_waitcnt lgkmcnt(0)
	v_fmac_f64_e32 v[22:23], v[12:13], v[0:1]
	v_fmac_f64_e32 v[24:25], v[14:15], v[0:1]
	;; [unrolled: 1-line block ×3, first 2 shown]
	v_fma_f64 v[24:25], v[12:13], -v[2:3], v[24:25]
	ds_write_b128 v19, v[22:25]
.LBB64_108:
	s_or_b64 exec, exec, s[2:3]
	v_cmp_eq_u32_e32 vcc, 3, v16
	s_waitcnt lgkmcnt(0)
	s_and_saveexec_b64 s[2:3], vcc
	s_cbranch_execz .LBB64_115
; %bb.109:
	v_mov_b32_e32 v4, 0
	ds_read_b128 v[0:3], v4 offset:2400
	ds_read_b128 v[12:15], v4 offset:1728
	s_waitcnt lgkmcnt(0)
	v_add_f64 v[0:1], v[12:13], -v[0:1]
	v_add_f64 v[4:5], v[14:15], -v[2:3]
	v_xor_b32_e32 v2, 0x80000000, v1
	v_cmp_gt_f64_e32 vcc, 0, v[0:1]
	v_xor_b32_e32 v3, 0x80000000, v5
	s_nop 0
	v_cndmask_b32_e32 v1, v1, v2, vcc
	v_cmp_gt_f64_e32 vcc, 0, v[4:5]
	v_mov_b32_e32 v2, v4
	s_nop 0
	v_cndmask_b32_e32 v3, v5, v3, vcc
	v_cmp_gt_f64_e32 vcc, v[0:1], v[2:3]
	s_cbranch_vccnz .LBB64_112
; %bb.110:
	v_cmp_eq_f64_e32 vcc, 0, v[4:5]
	s_mov_b64 s[4:5], 0
	s_cbranch_vccnz .LBB64_159
; %bb.111:
	v_div_scale_f64 v[4:5], s[14:15], v[2:3], v[2:3], v[0:1]
	v_rcp_f64_e32 v[12:13], v[4:5]
	v_div_scale_f64 v[14:15], vcc, v[0:1], v[2:3], v[0:1]
	s_mov_b32 s14, 0
	v_fma_f64 v[22:23], -v[4:5], v[12:13], 1.0
	v_fmac_f64_e32 v[12:13], v[12:13], v[22:23]
	v_fma_f64 v[22:23], -v[4:5], v[12:13], 1.0
	v_fmac_f64_e32 v[12:13], v[12:13], v[22:23]
	v_mul_f64 v[22:23], v[14:15], v[12:13]
	v_fma_f64 v[4:5], -v[4:5], v[22:23], v[14:15]
	v_div_fmas_f64 v[4:5], v[4:5], v[12:13], v[22:23]
	v_div_fixup_f64 v[4:5], v[4:5], v[2:3], v[0:1]
	v_fma_f64 v[4:5], v[4:5], v[4:5], 1.0
	s_brev_b32 s15, 8
	v_cmp_gt_f64_e32 vcc, s[14:15], v[4:5]
	s_and_b64 s[14:15], vcc, exec
	s_cselect_b32 s14, 0x100, 0
	v_ldexp_f64 v[4:5], v[4:5], s14
	v_rsq_f64_e32 v[12:13], v[4:5]
	s_cselect_b32 s14, 0xffffff80, 0
	v_mov_b32_e32 v11, 0x260
	v_cmp_class_f64_e32 vcc, v[4:5], v11
	v_mul_f64 v[14:15], v[4:5], v[12:13]
	v_mul_f64 v[12:13], v[12:13], 0.5
	v_fma_f64 v[22:23], -v[12:13], v[14:15], 0.5
	v_fmac_f64_e32 v[14:15], v[14:15], v[22:23]
	v_fma_f64 v[24:25], -v[14:15], v[14:15], v[4:5]
	v_fmac_f64_e32 v[12:13], v[12:13], v[22:23]
	v_fmac_f64_e32 v[14:15], v[24:25], v[12:13]
	v_fma_f64 v[22:23], -v[14:15], v[14:15], v[4:5]
	v_fmac_f64_e32 v[14:15], v[22:23], v[12:13]
	v_ldexp_f64 v[12:13], v[14:15], s14
	v_cndmask_b32_e32 v5, v13, v5, vcc
	v_cndmask_b32_e32 v4, v12, v4, vcc
	v_mul_f64 v[4:5], v[2:3], v[4:5]
	s_andn2_b64 vcc, exec, s[4:5]
	s_cbranch_vccz .LBB64_113
	s_branch .LBB64_114
.LBB64_112:
                                        ; implicit-def: $vgpr4_vgpr5
.LBB64_113:
	v_div_scale_f64 v[4:5], s[4:5], v[0:1], v[0:1], v[2:3]
	v_rcp_f64_e32 v[12:13], v[4:5]
	v_div_scale_f64 v[14:15], vcc, v[2:3], v[0:1], v[2:3]
	s_mov_b32 s4, 0
	v_fma_f64 v[22:23], -v[4:5], v[12:13], 1.0
	v_fmac_f64_e32 v[12:13], v[12:13], v[22:23]
	v_fma_f64 v[22:23], -v[4:5], v[12:13], 1.0
	v_fmac_f64_e32 v[12:13], v[12:13], v[22:23]
	v_mul_f64 v[22:23], v[14:15], v[12:13]
	v_fma_f64 v[4:5], -v[4:5], v[22:23], v[14:15]
	v_div_fmas_f64 v[4:5], v[4:5], v[12:13], v[22:23]
	v_div_fixup_f64 v[2:3], v[4:5], v[0:1], v[2:3]
	v_fma_f64 v[2:3], v[2:3], v[2:3], 1.0
	s_brev_b32 s5, 8
	v_cmp_gt_f64_e32 vcc, s[4:5], v[2:3]
	s_and_b64 s[4:5], vcc, exec
	s_cselect_b32 s4, 0x100, 0
	v_ldexp_f64 v[2:3], v[2:3], s4
	v_rsq_f64_e32 v[4:5], v[2:3]
	s_cselect_b32 s4, 0xffffff80, 0
	v_mov_b32_e32 v11, 0x260
	v_cmp_class_f64_e32 vcc, v[2:3], v11
	v_mul_f64 v[12:13], v[2:3], v[4:5]
	v_mul_f64 v[4:5], v[4:5], 0.5
	v_fma_f64 v[14:15], -v[4:5], v[12:13], 0.5
	v_fmac_f64_e32 v[12:13], v[12:13], v[14:15]
	v_fma_f64 v[22:23], -v[12:13], v[12:13], v[2:3]
	v_fmac_f64_e32 v[4:5], v[4:5], v[14:15]
	v_fmac_f64_e32 v[12:13], v[22:23], v[4:5]
	v_fma_f64 v[14:15], -v[12:13], v[12:13], v[2:3]
	v_fmac_f64_e32 v[12:13], v[14:15], v[4:5]
	v_ldexp_f64 v[4:5], v[12:13], s4
	v_cndmask_b32_e32 v3, v5, v3, vcc
	v_cndmask_b32_e32 v2, v4, v2, vcc
	v_mul_f64 v[4:5], v[0:1], v[2:3]
.LBB64_114:
	s_mov_b32 s4, 0
	s_brev_b32 s5, 8
	v_cmp_gt_f64_e32 vcc, s[4:5], v[4:5]
	s_and_b64 s[4:5], vcc, exec
	s_cselect_b32 s4, 0x100, 0
	v_ldexp_f64 v[0:1], v[4:5], s4
	v_rsq_f64_e32 v[2:3], v[0:1]
	s_cselect_b32 s4, 0xffffff80, 0
	v_mul_f64 v[4:5], v[0:1], v[2:3]
	v_mul_f64 v[2:3], v[2:3], 0.5
	v_fma_f64 v[12:13], -v[2:3], v[4:5], 0.5
	v_fmac_f64_e32 v[4:5], v[4:5], v[12:13]
	v_fmac_f64_e32 v[2:3], v[2:3], v[12:13]
	v_fma_f64 v[12:13], -v[4:5], v[4:5], v[0:1]
	v_fmac_f64_e32 v[4:5], v[12:13], v[2:3]
	v_fma_f64 v[12:13], -v[4:5], v[4:5], v[0:1]
	v_fmac_f64_e32 v[4:5], v[12:13], v[2:3]
	v_ldexp_f64 v[2:3], v[4:5], s4
	v_mov_b32_e32 v4, 0x260
	v_cmp_class_f64_e32 vcc, v[0:1], v4
	s_nop 1
	v_cndmask_b32_e32 v0, v2, v0, vcc
	v_mov_b32_e32 v2, 0
	v_cndmask_b32_e32 v1, v3, v1, vcc
	v_mov_b32_e32 v3, v2
	ds_write_b128 v2, v[0:3] offset:1728
.LBB64_115:
	s_or_b64 exec, exec, s[2:3]
	v_mov_b32_e32 v0, 0
	s_waitcnt lgkmcnt(0)
	ds_read_b128 v[0:3], v0 offset:1728
	v_mov_b32_e32 v4, 0x3ff00000
	s_waitcnt lgkmcnt(0)
	v_cmp_neq_f64_e32 vcc, 0, v[0:1]
	v_cmp_neq_f64_e64 s[2:3], 0, v[2:3]
	s_or_b64 vcc, vcc, s[2:3]
	v_cndmask_b32_e32 v1, v4, v1, vcc
	s_nor_b64 s[4:5], vcc, s[0:1]
	v_cndmask_b32_e32 v0, 0, v0, vcc
	v_cndmask_b32_e32 v3, 0, v3, vcc
	;; [unrolled: 1-line block ×3, first 2 shown]
	s_and_saveexec_b64 s[2:3], s[4:5]
	s_cbranch_execz .LBB64_119
; %bb.116:
	v_mbcnt_lo_u32_b32 v0, exec_lo, 0
	v_mbcnt_hi_u32_b32 v0, exec_hi, v0
	v_cmp_eq_u32_e32 vcc, 0, v0
	s_and_saveexec_b64 s[4:5], vcc
	s_cbranch_execz .LBB64_118
; %bb.117:
	v_mov_b32_e32 v0, 0
	v_mov_b32_e32 v1, s20
	global_atomic_smin v0, v1, s[10:11]
.LBB64_118:
	s_or_b64 exec, exec, s[4:5]
	v_mov_b64_e32 v[2:3], 0
	v_mov_b64_e32 v[0:1], 1.0
.LBB64_119:
	s_or_b64 exec, exec, s[2:3]
	v_cmp_lt_u32_e32 vcc, 3, v16
	s_and_saveexec_b64 s[2:3], vcc
	s_cbranch_execz .LBB64_121
; %bb.120:
	v_mul_f64 v[4:5], v[2:3], v[2:3]
	v_fmac_f64_e32 v[4:5], v[0:1], v[0:1]
	ds_read_b128 v[12:15], v8 offset:48
	ds_read_b128 v[22:25], v20 offset:48
	v_div_scale_f64 v[26:27], s[4:5], v[4:5], v[4:5], 1.0
	v_rcp_f64_e32 v[28:29], v[26:27]
	s_waitcnt lgkmcnt(0)
	v_add_f64 v[22:23], v[12:13], -v[22:23]
	v_add_f64 v[14:15], v[14:15], -v[24:25]
	v_fma_f64 v[12:13], -v[26:27], v[28:29], 1.0
	v_fmac_f64_e32 v[28:29], v[28:29], v[12:13]
	v_fma_f64 v[12:13], -v[26:27], v[28:29], 1.0
	v_fmac_f64_e32 v[28:29], v[28:29], v[12:13]
	v_div_scale_f64 v[12:13], vcc, 1.0, v[4:5], 1.0
	v_mul_f64 v[24:25], v[12:13], v[28:29]
	v_fma_f64 v[12:13], -v[26:27], v[24:25], v[12:13]
	s_nop 1
	v_div_fmas_f64 v[12:13], v[12:13], v[28:29], v[24:25]
	v_div_fixup_f64 v[4:5], v[12:13], v[4:5], 1.0
	v_mul_f64 v[12:13], v[2:3], v[14:15]
	v_mul_f64 v[2:3], v[2:3], -v[22:23]
	v_fmac_f64_e32 v[12:13], v[22:23], v[0:1]
	v_fmac_f64_e32 v[2:3], v[14:15], v[0:1]
	v_mul_f64 v[12:13], v[4:5], v[12:13]
	v_mul_f64 v[14:15], v[4:5], v[2:3]
	ds_write_b128 v8, v[12:15] offset:48
	s_waitcnt lgkmcnt(0)
	ds_read_b128 v[0:3], v10 offset:48
	ds_read_b128 v[22:25], v19
	s_waitcnt lgkmcnt(0)
	v_fmac_f64_e32 v[22:23], v[12:13], v[0:1]
	v_fmac_f64_e32 v[24:25], v[14:15], v[0:1]
	;; [unrolled: 1-line block ×3, first 2 shown]
	v_fma_f64 v[24:25], v[12:13], -v[2:3], v[24:25]
	ds_write_b128 v19, v[22:25]
.LBB64_121:
	s_or_b64 exec, exec, s[2:3]
	v_cmp_eq_u32_e32 vcc, 4, v16
	s_waitcnt lgkmcnt(0)
	s_and_saveexec_b64 s[2:3], vcc
	s_cbranch_execz .LBB64_128
; %bb.122:
	v_mov_b32_e32 v4, 0
	ds_read_b128 v[0:3], v4 offset:2528
	ds_read_b128 v[12:15], v4 offset:1856
	s_waitcnt lgkmcnt(0)
	v_add_f64 v[0:1], v[12:13], -v[0:1]
	v_add_f64 v[4:5], v[14:15], -v[2:3]
	v_xor_b32_e32 v2, 0x80000000, v1
	v_cmp_gt_f64_e32 vcc, 0, v[0:1]
	v_xor_b32_e32 v3, 0x80000000, v5
	s_nop 0
	v_cndmask_b32_e32 v1, v1, v2, vcc
	v_cmp_gt_f64_e32 vcc, 0, v[4:5]
	v_mov_b32_e32 v2, v4
	s_nop 0
	v_cndmask_b32_e32 v3, v5, v3, vcc
	v_cmp_gt_f64_e32 vcc, v[0:1], v[2:3]
	s_cbranch_vccnz .LBB64_125
; %bb.123:
	v_cmp_eq_f64_e32 vcc, 0, v[4:5]
	s_mov_b64 s[4:5], 0
	s_cbranch_vccnz .LBB64_160
; %bb.124:
	v_div_scale_f64 v[4:5], s[14:15], v[2:3], v[2:3], v[0:1]
	v_rcp_f64_e32 v[12:13], v[4:5]
	v_div_scale_f64 v[14:15], vcc, v[0:1], v[2:3], v[0:1]
	s_mov_b32 s14, 0
	v_fma_f64 v[22:23], -v[4:5], v[12:13], 1.0
	v_fmac_f64_e32 v[12:13], v[12:13], v[22:23]
	v_fma_f64 v[22:23], -v[4:5], v[12:13], 1.0
	v_fmac_f64_e32 v[12:13], v[12:13], v[22:23]
	v_mul_f64 v[22:23], v[14:15], v[12:13]
	v_fma_f64 v[4:5], -v[4:5], v[22:23], v[14:15]
	v_div_fmas_f64 v[4:5], v[4:5], v[12:13], v[22:23]
	v_div_fixup_f64 v[4:5], v[4:5], v[2:3], v[0:1]
	v_fma_f64 v[4:5], v[4:5], v[4:5], 1.0
	s_brev_b32 s15, 8
	v_cmp_gt_f64_e32 vcc, s[14:15], v[4:5]
	s_and_b64 s[14:15], vcc, exec
	s_cselect_b32 s14, 0x100, 0
	v_ldexp_f64 v[4:5], v[4:5], s14
	v_rsq_f64_e32 v[12:13], v[4:5]
	s_cselect_b32 s14, 0xffffff80, 0
	v_mov_b32_e32 v11, 0x260
	v_cmp_class_f64_e32 vcc, v[4:5], v11
	v_mul_f64 v[14:15], v[4:5], v[12:13]
	v_mul_f64 v[12:13], v[12:13], 0.5
	v_fma_f64 v[22:23], -v[12:13], v[14:15], 0.5
	v_fmac_f64_e32 v[14:15], v[14:15], v[22:23]
	v_fma_f64 v[24:25], -v[14:15], v[14:15], v[4:5]
	v_fmac_f64_e32 v[12:13], v[12:13], v[22:23]
	v_fmac_f64_e32 v[14:15], v[24:25], v[12:13]
	v_fma_f64 v[22:23], -v[14:15], v[14:15], v[4:5]
	v_fmac_f64_e32 v[14:15], v[22:23], v[12:13]
	v_ldexp_f64 v[12:13], v[14:15], s14
	v_cndmask_b32_e32 v5, v13, v5, vcc
	v_cndmask_b32_e32 v4, v12, v4, vcc
	v_mul_f64 v[4:5], v[2:3], v[4:5]
	s_andn2_b64 vcc, exec, s[4:5]
	s_cbranch_vccz .LBB64_126
	s_branch .LBB64_127
.LBB64_125:
                                        ; implicit-def: $vgpr4_vgpr5
.LBB64_126:
	v_div_scale_f64 v[4:5], s[4:5], v[0:1], v[0:1], v[2:3]
	v_rcp_f64_e32 v[12:13], v[4:5]
	v_div_scale_f64 v[14:15], vcc, v[2:3], v[0:1], v[2:3]
	s_mov_b32 s4, 0
	v_fma_f64 v[22:23], -v[4:5], v[12:13], 1.0
	v_fmac_f64_e32 v[12:13], v[12:13], v[22:23]
	v_fma_f64 v[22:23], -v[4:5], v[12:13], 1.0
	v_fmac_f64_e32 v[12:13], v[12:13], v[22:23]
	v_mul_f64 v[22:23], v[14:15], v[12:13]
	v_fma_f64 v[4:5], -v[4:5], v[22:23], v[14:15]
	v_div_fmas_f64 v[4:5], v[4:5], v[12:13], v[22:23]
	v_div_fixup_f64 v[2:3], v[4:5], v[0:1], v[2:3]
	v_fma_f64 v[2:3], v[2:3], v[2:3], 1.0
	s_brev_b32 s5, 8
	v_cmp_gt_f64_e32 vcc, s[4:5], v[2:3]
	s_and_b64 s[4:5], vcc, exec
	s_cselect_b32 s4, 0x100, 0
	v_ldexp_f64 v[2:3], v[2:3], s4
	v_rsq_f64_e32 v[4:5], v[2:3]
	s_cselect_b32 s4, 0xffffff80, 0
	v_mov_b32_e32 v11, 0x260
	v_cmp_class_f64_e32 vcc, v[2:3], v11
	v_mul_f64 v[12:13], v[2:3], v[4:5]
	v_mul_f64 v[4:5], v[4:5], 0.5
	v_fma_f64 v[14:15], -v[4:5], v[12:13], 0.5
	v_fmac_f64_e32 v[12:13], v[12:13], v[14:15]
	v_fma_f64 v[22:23], -v[12:13], v[12:13], v[2:3]
	v_fmac_f64_e32 v[4:5], v[4:5], v[14:15]
	v_fmac_f64_e32 v[12:13], v[22:23], v[4:5]
	v_fma_f64 v[14:15], -v[12:13], v[12:13], v[2:3]
	v_fmac_f64_e32 v[12:13], v[14:15], v[4:5]
	v_ldexp_f64 v[4:5], v[12:13], s4
	v_cndmask_b32_e32 v3, v5, v3, vcc
	v_cndmask_b32_e32 v2, v4, v2, vcc
	v_mul_f64 v[4:5], v[0:1], v[2:3]
.LBB64_127:
	s_mov_b32 s4, 0
	s_brev_b32 s5, 8
	v_cmp_gt_f64_e32 vcc, s[4:5], v[4:5]
	s_and_b64 s[4:5], vcc, exec
	s_cselect_b32 s4, 0x100, 0
	v_ldexp_f64 v[0:1], v[4:5], s4
	v_rsq_f64_e32 v[2:3], v[0:1]
	s_cselect_b32 s4, 0xffffff80, 0
	v_mul_f64 v[4:5], v[0:1], v[2:3]
	v_mul_f64 v[2:3], v[2:3], 0.5
	v_fma_f64 v[12:13], -v[2:3], v[4:5], 0.5
	v_fmac_f64_e32 v[4:5], v[4:5], v[12:13]
	v_fmac_f64_e32 v[2:3], v[2:3], v[12:13]
	v_fma_f64 v[12:13], -v[4:5], v[4:5], v[0:1]
	v_fmac_f64_e32 v[4:5], v[12:13], v[2:3]
	v_fma_f64 v[12:13], -v[4:5], v[4:5], v[0:1]
	v_fmac_f64_e32 v[4:5], v[12:13], v[2:3]
	v_ldexp_f64 v[2:3], v[4:5], s4
	v_mov_b32_e32 v4, 0x260
	v_cmp_class_f64_e32 vcc, v[0:1], v4
	s_nop 1
	v_cndmask_b32_e32 v0, v2, v0, vcc
	v_mov_b32_e32 v2, 0
	v_cndmask_b32_e32 v1, v3, v1, vcc
	v_mov_b32_e32 v3, v2
	ds_write_b128 v2, v[0:3] offset:1856
.LBB64_128:
	s_or_b64 exec, exec, s[2:3]
	v_mov_b32_e32 v0, 0
	s_waitcnt lgkmcnt(0)
	ds_read_b128 v[0:3], v0 offset:1856
	v_mov_b32_e32 v4, 0x3ff00000
	s_waitcnt lgkmcnt(0)
	v_cmp_neq_f64_e32 vcc, 0, v[0:1]
	v_cmp_neq_f64_e64 s[2:3], 0, v[2:3]
	s_or_b64 vcc, vcc, s[2:3]
	v_cndmask_b32_e32 v1, v4, v1, vcc
	s_nor_b64 s[4:5], vcc, s[0:1]
	v_cndmask_b32_e32 v0, 0, v0, vcc
	v_cndmask_b32_e32 v3, 0, v3, vcc
	;; [unrolled: 1-line block ×3, first 2 shown]
	s_and_saveexec_b64 s[2:3], s[4:5]
	s_cbranch_execz .LBB64_132
; %bb.129:
	v_mbcnt_lo_u32_b32 v0, exec_lo, 0
	v_mbcnt_hi_u32_b32 v0, exec_hi, v0
	v_cmp_eq_u32_e32 vcc, 0, v0
	s_and_saveexec_b64 s[4:5], vcc
	s_cbranch_execz .LBB64_131
; %bb.130:
	v_mov_b32_e32 v0, 0
	v_mov_b32_e32 v1, s20
	global_atomic_smin v0, v1, s[10:11]
.LBB64_131:
	s_or_b64 exec, exec, s[4:5]
	v_mov_b64_e32 v[2:3], 0
	v_mov_b64_e32 v[0:1], 1.0
.LBB64_132:
	s_or_b64 exec, exec, s[2:3]
	v_cmp_lt_u32_e32 vcc, 4, v16
	s_and_saveexec_b64 s[2:3], vcc
	s_cbranch_execz .LBB64_134
; %bb.133:
	v_mul_f64 v[4:5], v[2:3], v[2:3]
	v_fmac_f64_e32 v[4:5], v[0:1], v[0:1]
	ds_read_b128 v[12:15], v8 offset:64
	ds_read_b128 v[22:25], v20 offset:64
	v_div_scale_f64 v[26:27], s[4:5], v[4:5], v[4:5], 1.0
	v_rcp_f64_e32 v[28:29], v[26:27]
	s_waitcnt lgkmcnt(0)
	v_add_f64 v[22:23], v[12:13], -v[22:23]
	v_add_f64 v[14:15], v[14:15], -v[24:25]
	v_fma_f64 v[12:13], -v[26:27], v[28:29], 1.0
	v_fmac_f64_e32 v[28:29], v[28:29], v[12:13]
	v_fma_f64 v[12:13], -v[26:27], v[28:29], 1.0
	v_fmac_f64_e32 v[28:29], v[28:29], v[12:13]
	v_div_scale_f64 v[12:13], vcc, 1.0, v[4:5], 1.0
	v_mul_f64 v[24:25], v[12:13], v[28:29]
	v_fma_f64 v[12:13], -v[26:27], v[24:25], v[12:13]
	s_nop 1
	v_div_fmas_f64 v[12:13], v[12:13], v[28:29], v[24:25]
	v_div_fixup_f64 v[4:5], v[12:13], v[4:5], 1.0
	v_mul_f64 v[12:13], v[2:3], v[14:15]
	v_mul_f64 v[2:3], v[2:3], -v[22:23]
	v_fmac_f64_e32 v[12:13], v[22:23], v[0:1]
	v_fmac_f64_e32 v[2:3], v[14:15], v[0:1]
	v_mul_f64 v[12:13], v[4:5], v[12:13]
	v_mul_f64 v[14:15], v[4:5], v[2:3]
	ds_write_b128 v8, v[12:15] offset:64
	s_waitcnt lgkmcnt(0)
	ds_read_b128 v[0:3], v10 offset:64
	ds_read_b128 v[22:25], v19
	s_waitcnt lgkmcnt(0)
	v_fmac_f64_e32 v[22:23], v[12:13], v[0:1]
	v_fmac_f64_e32 v[24:25], v[14:15], v[0:1]
	;; [unrolled: 1-line block ×3, first 2 shown]
	v_fma_f64 v[24:25], v[12:13], -v[2:3], v[24:25]
	ds_write_b128 v19, v[22:25]
.LBB64_134:
	s_or_b64 exec, exec, s[2:3]
	v_cmp_eq_u32_e32 vcc, 5, v16
	s_waitcnt lgkmcnt(0)
	s_and_saveexec_b64 s[2:3], vcc
	s_cbranch_execz .LBB64_141
; %bb.135:
	v_mov_b32_e32 v4, 0
	ds_read_b128 v[0:3], v4 offset:2656
	ds_read_b128 v[12:15], v4 offset:1984
	s_waitcnt lgkmcnt(0)
	v_add_f64 v[0:1], v[12:13], -v[0:1]
	v_add_f64 v[4:5], v[14:15], -v[2:3]
	v_xor_b32_e32 v2, 0x80000000, v1
	v_cmp_gt_f64_e32 vcc, 0, v[0:1]
	v_xor_b32_e32 v3, 0x80000000, v5
	s_nop 0
	v_cndmask_b32_e32 v1, v1, v2, vcc
	v_cmp_gt_f64_e32 vcc, 0, v[4:5]
	v_mov_b32_e32 v2, v4
	s_nop 0
	v_cndmask_b32_e32 v3, v5, v3, vcc
	v_cmp_gt_f64_e32 vcc, v[0:1], v[2:3]
	s_cbranch_vccnz .LBB64_138
; %bb.136:
	v_cmp_eq_f64_e32 vcc, 0, v[4:5]
	s_mov_b64 s[4:5], 0
	s_cbranch_vccnz .LBB64_161
; %bb.137:
	v_div_scale_f64 v[4:5], s[14:15], v[2:3], v[2:3], v[0:1]
	v_rcp_f64_e32 v[12:13], v[4:5]
	v_div_scale_f64 v[14:15], vcc, v[0:1], v[2:3], v[0:1]
	s_mov_b32 s14, 0
	v_fma_f64 v[22:23], -v[4:5], v[12:13], 1.0
	v_fmac_f64_e32 v[12:13], v[12:13], v[22:23]
	v_fma_f64 v[22:23], -v[4:5], v[12:13], 1.0
	v_fmac_f64_e32 v[12:13], v[12:13], v[22:23]
	v_mul_f64 v[22:23], v[14:15], v[12:13]
	v_fma_f64 v[4:5], -v[4:5], v[22:23], v[14:15]
	v_div_fmas_f64 v[4:5], v[4:5], v[12:13], v[22:23]
	v_div_fixup_f64 v[4:5], v[4:5], v[2:3], v[0:1]
	v_fma_f64 v[4:5], v[4:5], v[4:5], 1.0
	s_brev_b32 s15, 8
	v_cmp_gt_f64_e32 vcc, s[14:15], v[4:5]
	s_and_b64 s[14:15], vcc, exec
	s_cselect_b32 s14, 0x100, 0
	v_ldexp_f64 v[4:5], v[4:5], s14
	v_rsq_f64_e32 v[12:13], v[4:5]
	s_cselect_b32 s14, 0xffffff80, 0
	v_mov_b32_e32 v11, 0x260
	v_cmp_class_f64_e32 vcc, v[4:5], v11
	v_mul_f64 v[14:15], v[4:5], v[12:13]
	v_mul_f64 v[12:13], v[12:13], 0.5
	v_fma_f64 v[22:23], -v[12:13], v[14:15], 0.5
	v_fmac_f64_e32 v[14:15], v[14:15], v[22:23]
	v_fma_f64 v[24:25], -v[14:15], v[14:15], v[4:5]
	v_fmac_f64_e32 v[12:13], v[12:13], v[22:23]
	v_fmac_f64_e32 v[14:15], v[24:25], v[12:13]
	v_fma_f64 v[22:23], -v[14:15], v[14:15], v[4:5]
	v_fmac_f64_e32 v[14:15], v[22:23], v[12:13]
	v_ldexp_f64 v[12:13], v[14:15], s14
	v_cndmask_b32_e32 v5, v13, v5, vcc
	v_cndmask_b32_e32 v4, v12, v4, vcc
	v_mul_f64 v[4:5], v[2:3], v[4:5]
	s_andn2_b64 vcc, exec, s[4:5]
	s_cbranch_vccz .LBB64_139
	s_branch .LBB64_140
.LBB64_138:
                                        ; implicit-def: $vgpr4_vgpr5
.LBB64_139:
	v_div_scale_f64 v[4:5], s[4:5], v[0:1], v[0:1], v[2:3]
	v_rcp_f64_e32 v[12:13], v[4:5]
	v_div_scale_f64 v[14:15], vcc, v[2:3], v[0:1], v[2:3]
	s_mov_b32 s4, 0
	v_fma_f64 v[22:23], -v[4:5], v[12:13], 1.0
	v_fmac_f64_e32 v[12:13], v[12:13], v[22:23]
	v_fma_f64 v[22:23], -v[4:5], v[12:13], 1.0
	v_fmac_f64_e32 v[12:13], v[12:13], v[22:23]
	v_mul_f64 v[22:23], v[14:15], v[12:13]
	v_fma_f64 v[4:5], -v[4:5], v[22:23], v[14:15]
	v_div_fmas_f64 v[4:5], v[4:5], v[12:13], v[22:23]
	v_div_fixup_f64 v[2:3], v[4:5], v[0:1], v[2:3]
	v_fma_f64 v[2:3], v[2:3], v[2:3], 1.0
	s_brev_b32 s5, 8
	v_cmp_gt_f64_e32 vcc, s[4:5], v[2:3]
	s_and_b64 s[4:5], vcc, exec
	s_cselect_b32 s4, 0x100, 0
	v_ldexp_f64 v[2:3], v[2:3], s4
	v_rsq_f64_e32 v[4:5], v[2:3]
	s_cselect_b32 s4, 0xffffff80, 0
	v_mov_b32_e32 v11, 0x260
	v_cmp_class_f64_e32 vcc, v[2:3], v11
	v_mul_f64 v[12:13], v[2:3], v[4:5]
	v_mul_f64 v[4:5], v[4:5], 0.5
	v_fma_f64 v[14:15], -v[4:5], v[12:13], 0.5
	v_fmac_f64_e32 v[12:13], v[12:13], v[14:15]
	v_fma_f64 v[22:23], -v[12:13], v[12:13], v[2:3]
	v_fmac_f64_e32 v[4:5], v[4:5], v[14:15]
	v_fmac_f64_e32 v[12:13], v[22:23], v[4:5]
	v_fma_f64 v[14:15], -v[12:13], v[12:13], v[2:3]
	v_fmac_f64_e32 v[12:13], v[14:15], v[4:5]
	v_ldexp_f64 v[4:5], v[12:13], s4
	v_cndmask_b32_e32 v3, v5, v3, vcc
	v_cndmask_b32_e32 v2, v4, v2, vcc
	v_mul_f64 v[4:5], v[0:1], v[2:3]
.LBB64_140:
	s_mov_b32 s4, 0
	s_brev_b32 s5, 8
	v_cmp_gt_f64_e32 vcc, s[4:5], v[4:5]
	s_and_b64 s[4:5], vcc, exec
	s_cselect_b32 s4, 0x100, 0
	v_ldexp_f64 v[0:1], v[4:5], s4
	v_rsq_f64_e32 v[2:3], v[0:1]
	s_cselect_b32 s4, 0xffffff80, 0
	v_mul_f64 v[4:5], v[0:1], v[2:3]
	v_mul_f64 v[2:3], v[2:3], 0.5
	v_fma_f64 v[12:13], -v[2:3], v[4:5], 0.5
	v_fmac_f64_e32 v[4:5], v[4:5], v[12:13]
	v_fmac_f64_e32 v[2:3], v[2:3], v[12:13]
	v_fma_f64 v[12:13], -v[4:5], v[4:5], v[0:1]
	v_fmac_f64_e32 v[4:5], v[12:13], v[2:3]
	v_fma_f64 v[12:13], -v[4:5], v[4:5], v[0:1]
	v_fmac_f64_e32 v[4:5], v[12:13], v[2:3]
	v_ldexp_f64 v[2:3], v[4:5], s4
	v_mov_b32_e32 v4, 0x260
	v_cmp_class_f64_e32 vcc, v[0:1], v4
	s_nop 1
	v_cndmask_b32_e32 v0, v2, v0, vcc
	v_mov_b32_e32 v2, 0
	v_cndmask_b32_e32 v1, v3, v1, vcc
	v_mov_b32_e32 v3, v2
	ds_write_b128 v2, v[0:3] offset:1984
.LBB64_141:
	s_or_b64 exec, exec, s[2:3]
	v_mov_b32_e32 v0, 0
	s_waitcnt lgkmcnt(0)
	ds_read_b128 v[0:3], v0 offset:1984
	v_mov_b32_e32 v4, 0x3ff00000
	s_waitcnt lgkmcnt(0)
	v_cmp_neq_f64_e32 vcc, 0, v[0:1]
	v_cmp_neq_f64_e64 s[2:3], 0, v[2:3]
	s_or_b64 vcc, vcc, s[2:3]
	v_cndmask_b32_e32 v1, v4, v1, vcc
	s_nor_b64 s[2:3], vcc, s[0:1]
	v_cndmask_b32_e32 v0, 0, v0, vcc
	v_cndmask_b32_e32 v3, 0, v3, vcc
	;; [unrolled: 1-line block ×3, first 2 shown]
	s_and_saveexec_b64 s[0:1], s[2:3]
	s_cbranch_execz .LBB64_154
; %bb.142:
	v_mbcnt_lo_u32_b32 v0, exec_lo, 0
	v_mbcnt_hi_u32_b32 v0, exec_hi, v0
	v_cmp_eq_u32_e32 vcc, 0, v0
	s_and_saveexec_b64 s[2:3], vcc
	s_cbranch_execz .LBB64_144
; %bb.143:
	v_mov_b32_e32 v0, 0
	v_mov_b32_e32 v1, s20
	global_atomic_smin v0, v1, s[10:11]
.LBB64_144:
	s_or_b64 exec, exec, s[2:3]
	v_mov_b64_e32 v[2:3], 0
	v_mov_b64_e32 v[0:1], 1.0
	s_or_b64 exec, exec, s[0:1]
	v_cmp_lt_u32_e32 vcc, 5, v16
	s_and_saveexec_b64 s[0:1], vcc
	s_cbranch_execnz .LBB64_155
.LBB64_145:
	s_or_b64 exec, exec, s[0:1]
	s_andn2_b64 vcc, exec, s[12:13]
	s_cbranch_vccnz .LBB64_147
.LBB64_146:
	v_mov_b32_e32 v17, v18
.LBB64_147:
	ds_read2_b64 v[0:3], v6 offset1:1
	v_add_u32_e32 v4, s30, v17
	v_ashrrev_i32_e32 v5, 31, v4
	v_lshl_add_u64 v[4:5], v[4:5], 4, s[18:19]
	v_cmp_eq_u32_e32 vcc, 0, v9
	s_waitcnt lgkmcnt(0)
	global_store_dwordx4 v[4:5], v[0:3], off
	s_and_saveexec_b64 s[0:1], vcc
	s_cbranch_execz .LBB64_149
; %bb.148:
	s_add_u32 s2, s6, s8
	s_addc_u32 s3, s7, s9
	v_mov_b32_e32 v0, 0
	v_mov_b32_e32 v1, 1
	buffer_wbl2 sc1
	s_waitcnt vmcnt(0)
	global_store_dword v0, v1, s[2:3] sc1
.LBB64_149:
	s_or_b64 exec, exec, s[0:1]
	s_branch .LBB64_72
.LBB64_150:
	v_or_b32_e32 v0, v7, v16
	v_cmp_eq_u32_e32 vcc, 0, v0
	s_and_saveexec_b64 s[0:1], vcc
	s_cbranch_execz .LBB64_72
; %bb.151:
	v_mbcnt_lo_u32_b32 v0, exec_lo, 0
	v_mbcnt_hi_u32_b32 v0, exec_hi, v0
	v_cmp_eq_u32_e32 vcc, 0, v0
	s_and_saveexec_b64 s[0:1], vcc
	s_cbranch_execz .LBB64_153
; %bb.152:
	s_add_i32 s2, s16, s17
	v_mov_b32_e32 v0, 0
	v_mov_b32_e32 v1, s2
	global_atomic_smin v0, v1, s[10:11]
.LBB64_153:
	s_or_b64 exec, exec, s[0:1]
	s_add_u32 s0, s6, s8
	s_addc_u32 s1, s7, s9
	v_mov_b32_e32 v0, 0
	v_mov_b32_e32 v1, 1
	buffer_wbl2 sc1
	s_waitcnt vmcnt(0)
	global_store_dword v0, v1, s[0:1] sc1
	s_endpgm
.LBB64_154:
	s_or_b64 exec, exec, s[0:1]
	v_cmp_lt_u32_e32 vcc, 5, v16
	s_and_saveexec_b64 s[0:1], vcc
	s_cbranch_execz .LBB64_145
.LBB64_155:
	v_mul_f64 v[4:5], v[2:3], v[2:3]
	v_fmac_f64_e32 v[4:5], v[0:1], v[0:1]
	ds_read_b128 v[12:15], v8 offset:80
	ds_read_b128 v[20:23], v20 offset:80
	v_div_scale_f64 v[24:25], s[2:3], v[4:5], v[4:5], 1.0
	v_rcp_f64_e32 v[26:27], v[24:25]
	s_waitcnt lgkmcnt(0)
	v_add_f64 v[20:21], v[12:13], -v[20:21]
	v_add_f64 v[14:15], v[14:15], -v[22:23]
	v_fma_f64 v[12:13], -v[24:25], v[26:27], 1.0
	v_fmac_f64_e32 v[26:27], v[26:27], v[12:13]
	v_fma_f64 v[12:13], -v[24:25], v[26:27], 1.0
	v_fmac_f64_e32 v[26:27], v[26:27], v[12:13]
	v_div_scale_f64 v[12:13], vcc, 1.0, v[4:5], 1.0
	v_mul_f64 v[22:23], v[12:13], v[26:27]
	v_fma_f64 v[12:13], -v[24:25], v[22:23], v[12:13]
	s_nop 1
	v_div_fmas_f64 v[12:13], v[12:13], v[26:27], v[22:23]
	v_div_fixup_f64 v[4:5], v[12:13], v[4:5], 1.0
	v_mul_f64 v[12:13], v[2:3], v[14:15]
	v_mul_f64 v[2:3], v[2:3], -v[20:21]
	v_fmac_f64_e32 v[12:13], v[20:21], v[0:1]
	v_fmac_f64_e32 v[2:3], v[14:15], v[0:1]
	v_mul_f64 v[12:13], v[4:5], v[12:13]
	v_mul_f64 v[14:15], v[4:5], v[2:3]
	ds_write_b128 v8, v[12:15] offset:80
	s_waitcnt lgkmcnt(0)
	ds_read_b128 v[0:3], v10 offset:80
	ds_read_b128 v[20:23], v19
	s_waitcnt lgkmcnt(0)
	v_fmac_f64_e32 v[20:21], v[12:13], v[0:1]
	v_fmac_f64_e32 v[22:23], v[14:15], v[0:1]
	;; [unrolled: 1-line block ×3, first 2 shown]
	v_fma_f64 v[22:23], v[12:13], -v[2:3], v[22:23]
	ds_write_b128 v19, v[20:23]
	s_or_b64 exec, exec, s[0:1]
	s_andn2_b64 vcc, exec, s[12:13]
	s_waitcnt lgkmcnt(0)
	s_cbranch_vccz .LBB64_146
	s_branch .LBB64_147
.LBB64_156:
	v_mov_b64_e32 v[4:5], 0
	s_andn2_b64 vcc, exec, s[4:5]
	s_cbranch_vccz .LBB64_74
	s_branch .LBB64_75
.LBB64_157:
	v_mov_b64_e32 v[4:5], 0
	s_andn2_b64 vcc, exec, s[4:5]
	s_cbranch_vccz .LBB64_87
	s_branch .LBB64_88
.LBB64_158:
	v_mov_b64_e32 v[4:5], 0
	s_andn2_b64 vcc, exec, s[4:5]
	s_cbranch_vccz .LBB64_100
	s_branch .LBB64_101
.LBB64_159:
	v_mov_b64_e32 v[4:5], 0
	s_andn2_b64 vcc, exec, s[4:5]
	s_cbranch_vccz .LBB64_113
	s_branch .LBB64_114
.LBB64_160:
	v_mov_b64_e32 v[4:5], 0
	s_andn2_b64 vcc, exec, s[4:5]
	s_cbranch_vccz .LBB64_126
	s_branch .LBB64_127
.LBB64_161:
	v_mov_b64_e32 v[4:5], 0
	s_andn2_b64 vcc, exec, s[4:5]
	s_cbranch_vccz .LBB64_139
	s_branch .LBB64_140
	.section	.rodata,"a",@progbits
	.p2align	6, 0x0
	.amdhsa_kernel _ZN9rocsparseL26bsric0_2_8_unrolled_kernelILi36ELi32ELi6E21rocsparse_complex_numIdEEEv20rocsparse_direction_iiPKiS5_PT2_S5_PiS5_S8_21rocsparse_index_base_
		.amdhsa_group_segment_fixed_size 3072
		.amdhsa_private_segment_fixed_size 0
		.amdhsa_kernarg_size 76
		.amdhsa_user_sgpr_count 2
		.amdhsa_user_sgpr_dispatch_ptr 0
		.amdhsa_user_sgpr_queue_ptr 0
		.amdhsa_user_sgpr_kernarg_segment_ptr 1
		.amdhsa_user_sgpr_dispatch_id 0
		.amdhsa_user_sgpr_kernarg_preload_length 0
		.amdhsa_user_sgpr_kernarg_preload_offset 0
		.amdhsa_user_sgpr_private_segment_size 0
		.amdhsa_uses_dynamic_stack 0
		.amdhsa_enable_private_segment 0
		.amdhsa_system_sgpr_workgroup_id_x 1
		.amdhsa_system_sgpr_workgroup_id_y 0
		.amdhsa_system_sgpr_workgroup_id_z 0
		.amdhsa_system_sgpr_workgroup_info 0
		.amdhsa_system_vgpr_workitem_id 1
		.amdhsa_next_free_vgpr 78
		.amdhsa_next_free_sgpr 40
		.amdhsa_accum_offset 80
		.amdhsa_reserve_vcc 1
		.amdhsa_float_round_mode_32 0
		.amdhsa_float_round_mode_16_64 0
		.amdhsa_float_denorm_mode_32 3
		.amdhsa_float_denorm_mode_16_64 3
		.amdhsa_dx10_clamp 1
		.amdhsa_ieee_mode 1
		.amdhsa_fp16_overflow 0
		.amdhsa_tg_split 0
		.amdhsa_exception_fp_ieee_invalid_op 0
		.amdhsa_exception_fp_denorm_src 0
		.amdhsa_exception_fp_ieee_div_zero 0
		.amdhsa_exception_fp_ieee_overflow 0
		.amdhsa_exception_fp_ieee_underflow 0
		.amdhsa_exception_fp_ieee_inexact 0
		.amdhsa_exception_int_div_zero 0
	.end_amdhsa_kernel
	.section	.text._ZN9rocsparseL26bsric0_2_8_unrolled_kernelILi36ELi32ELi6E21rocsparse_complex_numIdEEEv20rocsparse_direction_iiPKiS5_PT2_S5_PiS5_S8_21rocsparse_index_base_,"axG",@progbits,_ZN9rocsparseL26bsric0_2_8_unrolled_kernelILi36ELi32ELi6E21rocsparse_complex_numIdEEEv20rocsparse_direction_iiPKiS5_PT2_S5_PiS5_S8_21rocsparse_index_base_,comdat
.Lfunc_end64:
	.size	_ZN9rocsparseL26bsric0_2_8_unrolled_kernelILi36ELi32ELi6E21rocsparse_complex_numIdEEEv20rocsparse_direction_iiPKiS5_PT2_S5_PiS5_S8_21rocsparse_index_base_, .Lfunc_end64-_ZN9rocsparseL26bsric0_2_8_unrolled_kernelILi36ELi32ELi6E21rocsparse_complex_numIdEEEv20rocsparse_direction_iiPKiS5_PT2_S5_PiS5_S8_21rocsparse_index_base_
                                        ; -- End function
	.set _ZN9rocsparseL26bsric0_2_8_unrolled_kernelILi36ELi32ELi6E21rocsparse_complex_numIdEEEv20rocsparse_direction_iiPKiS5_PT2_S5_PiS5_S8_21rocsparse_index_base_.num_vgpr, 78
	.set _ZN9rocsparseL26bsric0_2_8_unrolled_kernelILi36ELi32ELi6E21rocsparse_complex_numIdEEEv20rocsparse_direction_iiPKiS5_PT2_S5_PiS5_S8_21rocsparse_index_base_.num_agpr, 0
	.set _ZN9rocsparseL26bsric0_2_8_unrolled_kernelILi36ELi32ELi6E21rocsparse_complex_numIdEEEv20rocsparse_direction_iiPKiS5_PT2_S5_PiS5_S8_21rocsparse_index_base_.numbered_sgpr, 40
	.set _ZN9rocsparseL26bsric0_2_8_unrolled_kernelILi36ELi32ELi6E21rocsparse_complex_numIdEEEv20rocsparse_direction_iiPKiS5_PT2_S5_PiS5_S8_21rocsparse_index_base_.num_named_barrier, 0
	.set _ZN9rocsparseL26bsric0_2_8_unrolled_kernelILi36ELi32ELi6E21rocsparse_complex_numIdEEEv20rocsparse_direction_iiPKiS5_PT2_S5_PiS5_S8_21rocsparse_index_base_.private_seg_size, 0
	.set _ZN9rocsparseL26bsric0_2_8_unrolled_kernelILi36ELi32ELi6E21rocsparse_complex_numIdEEEv20rocsparse_direction_iiPKiS5_PT2_S5_PiS5_S8_21rocsparse_index_base_.uses_vcc, 1
	.set _ZN9rocsparseL26bsric0_2_8_unrolled_kernelILi36ELi32ELi6E21rocsparse_complex_numIdEEEv20rocsparse_direction_iiPKiS5_PT2_S5_PiS5_S8_21rocsparse_index_base_.uses_flat_scratch, 0
	.set _ZN9rocsparseL26bsric0_2_8_unrolled_kernelILi36ELi32ELi6E21rocsparse_complex_numIdEEEv20rocsparse_direction_iiPKiS5_PT2_S5_PiS5_S8_21rocsparse_index_base_.has_dyn_sized_stack, 0
	.set _ZN9rocsparseL26bsric0_2_8_unrolled_kernelILi36ELi32ELi6E21rocsparse_complex_numIdEEEv20rocsparse_direction_iiPKiS5_PT2_S5_PiS5_S8_21rocsparse_index_base_.has_recursion, 0
	.set _ZN9rocsparseL26bsric0_2_8_unrolled_kernelILi36ELi32ELi6E21rocsparse_complex_numIdEEEv20rocsparse_direction_iiPKiS5_PT2_S5_PiS5_S8_21rocsparse_index_base_.has_indirect_call, 0
	.section	.AMDGPU.csdata,"",@progbits
; Kernel info:
; codeLenInByte = 12812
; TotalNumSgprs: 46
; NumVgprs: 78
; NumAgprs: 0
; TotalNumVgprs: 78
; ScratchSize: 0
; MemoryBound: 1
; FloatMode: 240
; IeeeMode: 1
; LDSByteSize: 3072 bytes/workgroup (compile time only)
; SGPRBlocks: 5
; VGPRBlocks: 9
; NumSGPRsForWavesPerEU: 46
; NumVGPRsForWavesPerEU: 78
; AccumOffset: 80
; Occupancy: 6
; WaveLimiterHint : 1
; COMPUTE_PGM_RSRC2:SCRATCH_EN: 0
; COMPUTE_PGM_RSRC2:USER_SGPR: 2
; COMPUTE_PGM_RSRC2:TRAP_HANDLER: 0
; COMPUTE_PGM_RSRC2:TGID_X_EN: 1
; COMPUTE_PGM_RSRC2:TGID_Y_EN: 0
; COMPUTE_PGM_RSRC2:TGID_Z_EN: 0
; COMPUTE_PGM_RSRC2:TIDIG_COMP_CNT: 1
; COMPUTE_PGM_RSRC3_GFX90A:ACCUM_OFFSET: 19
; COMPUTE_PGM_RSRC3_GFX90A:TG_SPLIT: 0
	.section	.text._ZN9rocsparseL26bsric0_2_8_unrolled_kernelILi49ELi32ELi7E21rocsparse_complex_numIdEEEv20rocsparse_direction_iiPKiS5_PT2_S5_PiS5_S8_21rocsparse_index_base_,"axG",@progbits,_ZN9rocsparseL26bsric0_2_8_unrolled_kernelILi49ELi32ELi7E21rocsparse_complex_numIdEEEv20rocsparse_direction_iiPKiS5_PT2_S5_PiS5_S8_21rocsparse_index_base_,comdat
	.globl	_ZN9rocsparseL26bsric0_2_8_unrolled_kernelILi49ELi32ELi7E21rocsparse_complex_numIdEEEv20rocsparse_direction_iiPKiS5_PT2_S5_PiS5_S8_21rocsparse_index_base_ ; -- Begin function _ZN9rocsparseL26bsric0_2_8_unrolled_kernelILi49ELi32ELi7E21rocsparse_complex_numIdEEEv20rocsparse_direction_iiPKiS5_PT2_S5_PiS5_S8_21rocsparse_index_base_
	.p2align	8
	.type	_ZN9rocsparseL26bsric0_2_8_unrolled_kernelILi49ELi32ELi7E21rocsparse_complex_numIdEEEv20rocsparse_direction_iiPKiS5_PT2_S5_PiS5_S8_21rocsparse_index_base_,@function
_ZN9rocsparseL26bsric0_2_8_unrolled_kernelILi49ELi32ELi7E21rocsparse_complex_numIdEEEv20rocsparse_direction_iiPKiS5_PT2_S5_PiS5_S8_21rocsparse_index_base_: ; @_ZN9rocsparseL26bsric0_2_8_unrolled_kernelILi49ELi32ELi7E21rocsparse_complex_numIdEEEv20rocsparse_direction_iiPKiS5_PT2_S5_PiS5_S8_21rocsparse_index_base_
; %bb.0:
	s_load_dwordx8 s[4:11], s[0:1], 0x28
	s_mov_b32 s3, 0
	s_lshl_b64 s[2:3], s[2:3], 2
	v_and_b32_e32 v7, 0x3ff, v0
	v_bfe_u32 v16, v0, 10, 10
	s_waitcnt lgkmcnt(0)
	s_add_u32 s2, s8, s2
	s_addc_u32 s3, s9, s3
	s_load_dword s16, s[2:3], 0x0
	s_waitcnt lgkmcnt(0)
	s_ashr_i32 s17, s16, 31
	s_lshl_b64 s[8:9], s[16:17], 2
	s_add_u32 s2, s4, s8
	s_addc_u32 s3, s5, s9
	s_load_dword s30, s[2:3], 0x0
	s_load_dword s17, s[0:1], 0x48
	s_waitcnt lgkmcnt(0)
	s_cmp_lg_u32 s30, -1
	s_cbranch_scc0 .LBB65_75
; %bb.1:
	s_load_dwordx4 s[12:15], s[0:1], 0x10
	s_load_dwordx2 s[18:19], s[0:1], 0x20
	v_mad_u32_u24 v17, v16, 7, v7
	v_mul_u32_u24_e32 v21, 7, v16
	s_waitcnt lgkmcnt(0)
	s_add_u32 s2, s12, s8
	s_addc_u32 s3, s13, s9
	s_load_dword s26, s[2:3], 0x0
	s_waitcnt lgkmcnt(0)
	s_sub_i32 s31, s26, s17
	v_add_u32_e32 v0, s31, v17
	v_cmp_ge_i32_e32 vcc, s30, v0
	s_and_saveexec_b64 s[20:21], vcc
	s_cbranch_execz .LBB65_14
; %bb.2:
	v_add_u32_e32 v1, s26, v7
	v_add_u32_e32 v2, v1, v21
	v_subrev_u32_e32 v2, s17, v2
	v_add_u32_e32 v2, 49, v2
	s_add_i32 s2, s30, 1
	v_max_i32_e32 v2, s2, v2
	v_add_u32_e32 v2, s17, v2
	v_sub_u32_e32 v1, v2, v1
	v_subrev_u32_e32 v1, 49, v1
	v_cmp_ne_u32_e32 vcc, v1, v21
	s_mov_b64 s[22:23], -1
	s_nop 0
	v_addc_co_u32_e64 v2, s[2:3], 0, v21, vcc
	v_sub_u32_e32 v1, v1, v2
	s_mov_b32 s2, 0x5397829d
	v_mul_hi_u32 v1, v1, s2
	v_lshrrev_b32_e32 v1, 4, v1
	v_addc_co_u32_e32 v4, vcc, 0, v1, vcc
	v_cmp_ne_u32_e32 vcc, 0, v4
	s_and_saveexec_b64 s[2:3], vcc
	s_cbranch_execz .LBB65_11
; %bb.3:
	v_add_u32_e32 v2, -1, v4
	v_add_u32_e32 v1, 49, v0
	v_lshrrev_b32_e32 v2, 1, v2
	v_add_u32_e32 v5, 1, v2
	v_cmp_lt_u32_e32 vcc, 14, v4
	v_mov_b64_e32 v[2:3], v[0:1]
	s_and_saveexec_b64 s[22:23], vcc
	s_cbranch_execz .LBB65_7
; %bb.4:
	v_and_b32_e32 v6, -8, v5
	s_mov_b64 s[24:25], 0
	v_mov_b64_e32 v[2:3], v[0:1]
.LBB65_5:                               ; =>This Inner Loop Header: Depth=1
	v_ashrrev_i32_e32 v9, 31, v3
	v_mov_b32_e32 v8, v3
	v_ashrrev_i32_e32 v11, 31, v2
	v_mov_b32_e32 v10, v2
	v_add_u32_e32 v12, 0x62, v2
	v_add_u32_e32 v14, 0x62, v3
	;; [unrolled: 1-line block ×14, first 2 shown]
	v_lshl_add_u64 v[10:11], v[10:11], 2, s[14:15]
	v_lshl_add_u64 v[8:9], v[8:9], 2, s[14:15]
	v_ashrrev_i32_e32 v15, 31, v14
	v_ashrrev_i32_e32 v13, 31, v12
	v_ashrrev_i32_e32 v23, 31, v22
	v_ashrrev_i32_e32 v19, 31, v18
	v_ashrrev_i32_e32 v27, 31, v26
	v_ashrrev_i32_e32 v25, 31, v24
	v_ashrrev_i32_e32 v31, 31, v30
	v_ashrrev_i32_e32 v29, 31, v28
	v_ashrrev_i32_e32 v35, 31, v34
	v_ashrrev_i32_e32 v33, 31, v32
	v_ashrrev_i32_e32 v39, 31, v38
	v_ashrrev_i32_e32 v37, 31, v36
	v_ashrrev_i32_e32 v43, 31, v42
	v_ashrrev_i32_e32 v41, 31, v40
	v_lshl_add_u64 v[44:45], v[12:13], 2, s[14:15]
	v_lshl_add_u64 v[46:47], v[14:15], 2, s[14:15]
	;; [unrolled: 1-line block ×14, first 2 shown]
	global_load_dword v1, v[10:11], off
	global_load_dword v13, v[8:9], off
	;; [unrolled: 1-line block ×15, first 2 shown]
                                        ; kill: killed $vgpr54_vgpr55
                                        ; kill: killed $vgpr56_vgpr57
                                        ; kill: killed $vgpr50_vgpr51
                                        ; kill: killed $vgpr52_vgpr53
                                        ; kill: killed $vgpr46_vgpr47
                                        ; kill: killed $vgpr48_vgpr49
                                        ; kill: killed $vgpr44_vgpr45
                                        ; kill: killed $vgpr66_vgpr67
                                        ; kill: killed $vgpr68_vgpr69
                                        ; kill: killed $vgpr62_vgpr63
                                        ; kill: killed $vgpr64_vgpr65
                                        ; kill: killed $vgpr8_vgpr9
                                        ; kill: killed $vgpr58_vgpr59
                                        ; kill: killed $vgpr60_vgpr61
                                        ; kill: killed $vgpr10_vgpr11
	global_load_dword v8, v[70:71], off
	v_subrev_u32_e32 v9, s31, v3
	v_subrev_u32_e32 v10, s31, v2
	v_add_u32_e32 v6, -8, v6
	v_lshlrev_b32_e32 v10, 2, v10
	v_lshlrev_b32_e32 v9, 2, v9
	v_subrev_u32_e32 v12, s31, v12
	v_cmp_eq_u32_e32 vcc, 0, v6
	v_add_u32_e32 v3, 0x310, v3
	v_add_u32_e32 v2, 0x310, v2
	v_subrev_u32_e32 v11, s31, v14
	v_subrev_u32_e32 v14, s31, v22
	;; [unrolled: 1-line block ×13, first 2 shown]
	v_lshlrev_b32_e32 v12, 2, v12
	s_or_b64 s[24:25], vcc, s[24:25]
	v_lshlrev_b32_e32 v11, 2, v11
	v_lshlrev_b32_e32 v18, 2, v18
	;; [unrolled: 1-line block ×13, first 2 shown]
	s_waitcnt vmcnt(15)
	v_subrev_u32_e32 v1, s17, v1
	s_waitcnt vmcnt(14)
	v_subrev_u32_e32 v13, s17, v13
	ds_write_b32 v10, v1 offset:3840
	ds_write_b32 v9, v13 offset:3840
	s_waitcnt vmcnt(13)
	v_subrev_u32_e32 v1, s17, v15
	s_waitcnt vmcnt(12)
	v_subrev_u32_e32 v10, s17, v19
	;; [unrolled: 2-line block ×5, first 2 shown]
	v_subrev_u32_e32 v19, s17, v20
	s_waitcnt vmcnt(7)
	v_subrev_u32_e32 v20, s17, v29
	s_waitcnt vmcnt(5)
	;; [unrolled: 2-line block ×6, first 2 shown]
	v_subrev_u32_e32 v29, s17, v41
	v_subrev_u32_e32 v31, s17, v31
	s_waitcnt vmcnt(0)
	v_subrev_u32_e32 v8, s17, v8
	ds_write_b32 v12, v9 offset:3840
	ds_write_b32 v11, v1 offset:3840
	;; [unrolled: 1-line block ×14, first 2 shown]
	s_andn2_b64 exec, exec, s[24:25]
	s_cbranch_execnz .LBB65_5
; %bb.6:
	s_or_b64 exec, exec, s[24:25]
.LBB65_7:
	s_or_b64 exec, exec, s[22:23]
	v_and_b32_e32 v1, 7, v5
	v_cmp_ne_u32_e32 vcc, 0, v1
	s_and_saveexec_b64 s[22:23], vcc
	s_cbranch_execz .LBB65_10
; %bb.8:
	v_sub_u32_e32 v1, 0, v1
	s_mov_b64 s[24:25], 0
.LBB65_9:                               ; =>This Inner Loop Header: Depth=1
	v_ashrrev_i32_e32 v9, 31, v3
	v_mov_b32_e32 v8, v3
	v_ashrrev_i32_e32 v11, 31, v2
	v_mov_b32_e32 v10, v2
	v_lshl_add_u64 v[8:9], v[8:9], 2, s[14:15]
	v_lshl_add_u64 v[10:11], v[10:11], 2, s[14:15]
	global_load_dword v5, v[8:9], off
	global_load_dword v6, v[10:11], off
	v_subrev_u32_e32 v9, s31, v2
	v_add_co_u32_e32 v1, vcc, 1, v1
	v_subrev_u32_e32 v8, s31, v3
	v_add_u32_e32 v3, 0x62, v3
	v_add_u32_e32 v2, 0x62, v2
	v_lshlrev_b32_e32 v9, 2, v9
	s_or_b64 s[24:25], vcc, s[24:25]
	v_lshlrev_b32_e32 v8, 2, v8
	s_waitcnt vmcnt(1)
	v_subrev_u32_e32 v5, s17, v5
	s_waitcnt vmcnt(0)
	v_subrev_u32_e32 v6, s17, v6
	ds_write_b32 v9, v6 offset:3840
	ds_write_b32 v8, v5 offset:3840
	s_andn2_b64 exec, exec, s[24:25]
	s_cbranch_execnz .LBB65_9
.LBB65_10:
	s_or_b64 exec, exec, s[22:23]
	v_add_u32_e32 v2, 1, v4
	v_and_b32_e32 v3, 0x1ffffffe, v2
	v_mad_u64_u32 v[0:1], s[22:23], v3, 49, v[0:1]
	v_cmp_ne_u32_e32 vcc, v2, v3
	s_orn2_b64 s[22:23], vcc, exec
.LBB65_11:
	s_or_b64 exec, exec, s[2:3]
	s_and_b64 exec, exec, s[22:23]
	s_cbranch_execz .LBB65_14
; %bb.12:
	v_add_u32_e32 v1, s17, v0
	v_subrev_u32_e32 v1, s26, v1
	v_mov_b32_e32 v2, 0xf00
	v_lshl_add_u32 v4, v1, 2, v2
	v_ashrrev_i32_e32 v1, 31, v0
	v_lshl_add_u64 v[2:3], v[0:1], 2, s[14:15]
	s_mov_b64 s[2:3], 0
	s_mov_b64 s[22:23], 0xc4
.LBB65_13:                              ; =>This Inner Loop Header: Depth=1
	global_load_dword v1, v[2:3], off
	v_add_u32_e32 v0, 49, v0
	v_cmp_lt_i32_e32 vcc, s30, v0
	v_lshl_add_u64 v[2:3], v[2:3], 0, s[22:23]
	s_or_b64 s[2:3], vcc, s[2:3]
	s_waitcnt vmcnt(0)
	v_subrev_u32_e32 v1, s17, v1
	ds_write_b32 v4, v1
	v_add_u32_e32 v4, 0xc4, v4
	s_andn2_b64 exec, exec, s[2:3]
	s_cbranch_execnz .LBB65_13
.LBB65_14:
	s_or_b64 exec, exec, s[20:21]
	s_load_dword s33, s[0:1], 0x0
	v_mov_b32_e32 v0, 0xa80
	v_lshl_add_u32 v20, v16, 7, v0
	v_mov_b32_e32 v0, 0
	v_lshl_add_u32 v19, v7, 4, v20
	v_mov_b32_e32 v1, v0
	v_mov_b32_e32 v2, v0
	v_mov_b32_e32 v3, v0
	s_cmp_ge_i32 s31, s30
	v_mad_u32_u24 v18, v7, 7, v16
	ds_write_b128 v19, v[0:3]
	s_waitcnt lgkmcnt(0)
	s_cbranch_scc1 .LBB65_69
; %bb.15:
	s_cmp_lg_u32 s33, 0
	v_lshlrev_b32_e32 v3, 7, v16
	v_lshlrev_b32_e32 v4, 4, v7
	s_cselect_b64 s[20:21], -1, 0
	s_cmp_eq_u32 s33, 0
	v_add_u32_e32 v22, 0x700, v3
	v_add_u32_e32 v24, v3, v4
	;; [unrolled: 1-line block ×3, first 2 shown]
	v_mov_b32_e32 v3, 0x700
	v_mad_u32_u24 v2, v7, 7, v16
	v_lshl_add_u32 v27, v7, 7, v3
	v_or_b32_e32 v3, v7, v16
	s_cselect_b64 vcc, -1, 0
	v_mul_u32_u24_e32 v1, 7, v7
	v_add_u32_e32 v23, v22, v4
	v_add_u32_e32 v26, v25, v4
	v_cmp_ne_u32_e64 s[0:1], 0, v3
	v_cndmask_b32_e32 v6, v2, v17, vcc
	v_mov_b32_e32 v28, 0x3ff00000
	s_mov_b32 s22, s31
	s_branch .LBB65_18
.LBB65_16:                              ;   in Loop: Header=BB65_18 Depth=1
	s_or_b64 exec, exec, s[24:25]
	v_mov_b64_e32 v[12:13], 0
	v_mov_b64_e32 v[10:11], 1.0
.LBB65_17:                              ;   in Loop: Header=BB65_18 Depth=1
	s_or_b64 exec, exec, s[2:3]
	ds_read_b128 v[30:33], v0 offset:848
	ds_read_b128 v[34:37], v22 offset:80
	;; [unrolled: 1-line block ×5, first 2 shown]
	ds_read_b128 v[50:53], v22
	ds_read_b128 v[54:57], v0 offset:768
	ds_read_b128 v[58:61], v25 offset:96
	;; [unrolled: 1-line block ×7, first 2 shown]
	s_waitcnt lgkmcnt(5)
	v_fmac_f64_e32 v[60:61], v[56:57], v[50:51]
	v_fma_f64 v[14:15], v[54:55], -v[52:53], v[60:61]
	v_fmac_f64_e32 v[58:59], v[54:55], v[50:51]
	s_waitcnt lgkmcnt(2)
	v_fmac_f64_e32 v[14:15], v[44:45], v[70:71]
	v_fmac_f64_e32 v[58:59], v[56:57], v[52:53]
	v_fma_f64 v[14:15], v[42:43], -v[72:73], v[14:15]
	v_fmac_f64_e32 v[58:59], v[42:43], v[70:71]
	s_waitcnt lgkmcnt(1)
	v_fmac_f64_e32 v[14:15], v[48:49], v[74:75]
	;; [unrolled: 5-line block ×3, first 2 shown]
	v_fmac_f64_e32 v[58:59], v[48:49], v[76:77]
	v_fma_f64 v[14:15], v[66:67], -v[80:81], v[14:15]
	v_fmac_f64_e32 v[58:59], v[66:67], v[78:79]
	v_fmac_f64_e32 v[14:15], v[64:65], v[38:39]
	;; [unrolled: 1-line block ×3, first 2 shown]
	v_fma_f64 v[14:15], v[62:63], -v[40:41], v[14:15]
	v_fmac_f64_e32 v[58:59], v[62:63], v[38:39]
	v_fmac_f64_e32 v[14:15], v[32:33], v[34:35]
	;; [unrolled: 1-line block ×3, first 2 shown]
	v_fma_f64 v[14:15], v[30:31], -v[36:37], v[14:15]
	v_fmac_f64_e32 v[58:59], v[30:31], v[34:35]
	v_mul_f64 v[30:31], v[12:13], v[12:13]
	v_fmac_f64_e32 v[30:31], v[10:11], v[10:11]
	v_div_scale_f64 v[34:35], s[2:3], v[30:31], v[30:31], 1.0
	v_rcp_f64_e32 v[38:39], v[34:35]
	v_fmac_f64_e32 v[58:59], v[32:33], v[36:37]
	v_add_f64 v[32:33], v[2:3], -v[58:59]
	v_add_f64 v[4:5], v[4:5], -v[14:15]
	v_fma_f64 v[2:3], -v[34:35], v[38:39], 1.0
	v_fmac_f64_e32 v[38:39], v[38:39], v[2:3]
	v_fma_f64 v[2:3], -v[34:35], v[38:39], 1.0
	v_fmac_f64_e32 v[38:39], v[38:39], v[2:3]
	v_div_scale_f64 v[2:3], vcc, 1.0, v[30:31], 1.0
	v_mul_f64 v[14:15], v[2:3], v[38:39]
	v_fma_f64 v[2:3], -v[34:35], v[14:15], v[2:3]
	s_add_i32 s22, s22, 1
	s_nop 0
	v_div_fmas_f64 v[2:3], v[2:3], v[38:39], v[14:15]
	v_div_fixup_f64 v[14:15], v[2:3], v[30:31], 1.0
	v_mul_f64 v[2:3], v[12:13], v[4:5]
	v_mul_f64 v[12:13], v[12:13], -v[32:33]
	v_fmac_f64_e32 v[2:3], v[32:33], v[10:11]
	v_fmac_f64_e32 v[12:13], v[4:5], v[10:11]
	v_mul_f64 v[2:3], v[14:15], v[2:3]
	v_mul_f64 v[4:5], v[14:15], v[12:13]
	ds_write_b128 v22, v[2:5] offset:96
	s_waitcnt lgkmcnt(0)
	ds_read_b128 v[10:13], v27 offset:96
	ds_read_b128 v[30:33], v19
	s_cmp_ge_i32 s22, s30
	s_cselect_b64 s[2:3], -1, 0
	s_waitcnt lgkmcnt(0)
	v_fmac_f64_e32 v[30:31], v[2:3], v[10:11]
	v_fmac_f64_e32 v[32:33], v[4:5], v[10:11]
	;; [unrolled: 1-line block ×3, first 2 shown]
	v_fma_f64 v[32:33], v[2:3], -v[12:13], v[32:33]
	ds_write_b128 v19, v[30:33]
	s_waitcnt lgkmcnt(0)
	ds_read2_b64 v[2:5], v23 offset1:1
	s_waitcnt lgkmcnt(0)
	global_store_dwordx4 v[8:9], v[2:5], off
	buffer_wbl2 sc1
	s_waitcnt vmcnt(0)
	buffer_inv sc1
	s_and_b64 vcc, exec, s[2:3]
	s_cbranch_vccnz .LBB65_69
.LBB65_18:                              ; =>This Loop Header: Depth=1
                                        ;     Child Loop BB65_21 Depth 2
                                        ;     Child Loop BB65_32 Depth 2
	;; [unrolled: 1-line block ×3, first 2 shown]
	s_ashr_i32 s23, s22, 31
	s_lshl_b64 s[2:3], s[22:23], 2
	s_add_u32 s2, s14, s2
	s_addc_u32 s3, s15, s3
	s_load_dword s23, s[2:3], 0x0
	s_waitcnt lgkmcnt(0)
	s_sub_i32 s24, s23, s17
	s_ashr_i32 s25, s24, 31
	s_lshl_b64 s[2:3], s[24:25], 2
	s_add_u32 s26, s4, s2
	s_addc_u32 s27, s5, s3
	s_load_dword s25, s[26:27], 0x0
	s_waitcnt lgkmcnt(0)
	s_cmp_eq_u32 s25, -1
	s_cbranch_scc1 .LBB65_68
; %bb.19:                               ;   in Loop: Header=BB65_18 Depth=1
	v_mad_u64_u32 v[2:3], s[26:27], s22, 49, v[6:7]
	v_ashrrev_i32_e32 v3, 31, v2
	v_lshl_add_u64 v[8:9], v[2:3], 4, s[18:19]
	global_load_dwordx4 v[2:5], v[8:9], off
	s_add_u32 s26, s12, s2
	s_addc_u32 s27, s13, s3
	s_load_dword s26, s[26:27], 0x0
	ds_read_b32 v10, v0 offset:3840
	s_mov_b32 s27, 0
	s_waitcnt lgkmcnt(0)
	s_sub_i32 s26, s26, s17
	s_cmp_le_i32 s26, s25
	v_cmp_ge_i32_e32 vcc, s24, v10
	s_cselect_b64 s[28:29], -1, 0
	s_and_b64 s[28:29], s[28:29], vcc
	s_andn2_b64 vcc, exec, s[28:29]
	s_waitcnt vmcnt(0)
	ds_write2_b64 v23, v[2:3], v[4:5] offset1:1
	s_cbranch_vccnz .LBB65_31
; %bb.20:                               ;   in Loop: Header=BB65_18 Depth=1
	s_mov_b32 s34, 0
	s_mov_b32 s35, 0
.LBB65_21:                              ;   Parent Loop BB65_18 Depth=1
                                        ; =>  This Inner Loop Header: Depth=2
	s_ashr_i32 s27, s26, 31
	s_lshl_b64 s[28:29], s[26:27], 2
	s_add_u32 s28, s14, s28
	s_addc_u32 s29, s15, s29
	s_load_dword s27, s[28:29], 0x0
	s_lshl_b32 s28, s35, 2
	v_mov_b32_e32 v2, s28
	ds_read_b32 v2, v2 offset:3840
	s_mov_b64 s[28:29], -1
	s_waitcnt lgkmcnt(0)
	s_sub_i32 s39, s27, s17
                                        ; implicit-def: $sgpr27
                                        ; implicit-def: $sgpr38
                                        ; implicit-def: $sgpr37
	v_cmp_ge_i32_e32 vcc, s39, v2
	v_readfirstlane_b32 s36, v2
	s_cbranch_vccz .LBB65_27
; %bb.22:                               ;   in Loop: Header=BB65_21 Depth=2
	s_cmp_le_i32 s39, s36
                                        ; implicit-def: $sgpr27
                                        ; implicit-def: $sgpr38
                                        ; implicit-def: $sgpr37
	s_cbranch_scc0 .LBB65_24
; %bb.23:                               ;   in Loop: Header=BB65_21 Depth=2
	s_add_i32 s27, s35, s31
	s_mul_i32 s27, s27, 49
	s_lshl_b32 s28, s34, 2
	v_mov_b32_e32 v2, s28
	v_mov_b32_e32 v3, s27
	s_mul_i32 s27, s26, 49
	v_mov_b32_e32 v4, s27
	v_add_u32_e32 v2, 0xc00, v2
	ds_write2_b32 v2, v4, v3 offset0:128 offset1:160
	s_add_i32 s37, s35, 1
	s_add_i32 s38, s26, 1
	;; [unrolled: 1-line block ×3, first 2 shown]
	s_mov_b64 s[28:29], 0
.LBB65_24:                              ;   in Loop: Header=BB65_21 Depth=2
	s_andn2_b64 vcc, exec, s[28:29]
	s_cbranch_vccnz .LBB65_26
; %bb.25:                               ;   in Loop: Header=BB65_21 Depth=2
	s_add_i32 s37, s35, 1
	s_mov_b32 s27, s34
	s_mov_b32 s38, s26
.LBB65_26:                              ;   in Loop: Header=BB65_21 Depth=2
	s_mov_b64 s[28:29], 0
.LBB65_27:                              ;   in Loop: Header=BB65_21 Depth=2
	s_andn2_b64 vcc, exec, s[28:29]
	s_cbranch_vccnz .LBB65_29
; %bb.28:                               ;   in Loop: Header=BB65_21 Depth=2
	s_add_i32 s38, s26, 1
	s_mov_b32 s37, s35
	s_mov_b32 s27, s34
.LBB65_29:                              ;   in Loop: Header=BB65_21 Depth=2
	s_cmp_le_i32 s38, s25
	s_cselect_b64 s[28:29], -1, 0
	s_cmp_le_i32 s36, s24
	s_cselect_b64 s[34:35], -1, 0
	s_and_b64 s[28:29], s[28:29], s[34:35]
	s_and_b64 vcc, exec, s[28:29]
	s_cbranch_vccz .LBB65_31
; %bb.30:                               ;   in Loop: Header=BB65_21 Depth=2
	s_mov_b32 s34, s27
	s_mov_b32 s26, s38
	;; [unrolled: 1-line block ×3, first 2 shown]
	s_branch .LBB65_21
.LBB65_31:                              ;   in Loop: Header=BB65_18 Depth=1
	s_add_u32 s2, s6, s2
	s_addc_u32 s3, s7, s3
	s_waitcnt lgkmcnt(0)
.LBB65_32:                              ;   Parent Loop BB65_18 Depth=1
                                        ; =>  This Inner Loop Header: Depth=2
	global_load_dword v2, v0, s[2:3] sc1
	s_waitcnt vmcnt(0)
	v_cmp_eq_u32_e32 vcc, 0, v2
	s_cbranch_vccnz .LBB65_32
; %bb.33:                               ;   in Loop: Header=BB65_18 Depth=1
	v_mad_u64_u32 v[2:3], s[2:3], s25, 49, v[6:7]
	v_ashrrev_i32_e32 v3, 31, v2
	v_lshl_add_u64 v[2:3], v[2:3], 4, s[18:19]
	buffer_inv sc1
	global_load_dwordx4 v[10:13], v[2:3], off
	v_mov_b64_e32 v[4:5], 0
	s_cmp_lt_i32 s27, 2
	v_mov_b64_e32 v[2:3], 0
	s_waitcnt vmcnt(0)
	ds_write2_b64 v24, v[10:11], v[12:13] offset1:1
	s_waitcnt lgkmcnt(0)
	s_cbranch_scc1 .LBB65_41
; %bb.34:                               ;   in Loop: Header=BB65_18 Depth=1
	s_add_i32 s24, s27, -1
	v_mov_b64_e32 v[12:13], 0
	s_movk_i32 s25, 0xe00
	v_mov_b64_e32 v[10:11], 0
.LBB65_35:                              ;   Parent Loop BB65_18 Depth=1
                                        ; =>  This Inner Loop Header: Depth=2
	v_mov_b32_e32 v2, s25
	s_waitcnt lgkmcnt(0)
	ds_read2_b32 v[14:15], v2 offset1:32
	s_mov_b64 s[2:3], -1
	s_and_b64 vcc, exec, s[20:21]
                                        ; implicit-def: $vgpr4_vgpr5
	s_cbranch_vccz .LBB65_38
; %bb.36:                               ;   in Loop: Header=BB65_35 Depth=2
	s_waitcnt lgkmcnt(0)
	v_add_u32_e32 v2, v14, v7
	v_ashrrev_i32_e32 v3, 31, v2
	v_add_u32_e32 v78, v15, v16
	v_lshl_add_u64 v[4:5], v[2:3], 4, s[18:19]
	v_ashrrev_i32_e32 v79, 31, v78
	v_lshl_add_u64 v[38:39], v[78:79], 4, s[18:19]
	global_load_dwordx4 v[30:33], v[4:5], off
	global_load_dwordx4 v[34:37], v[38:39], off
	v_add_u32_e32 v4, 7, v2
	v_ashrrev_i32_e32 v5, 31, v4
	v_add_u32_e32 v38, 7, v78
	v_lshl_add_u64 v[4:5], v[4:5], 4, s[18:19]
	v_ashrrev_i32_e32 v39, 31, v38
	v_lshl_add_u64 v[46:47], v[38:39], 4, s[18:19]
	global_load_dwordx4 v[38:41], v[4:5], off
	global_load_dwordx4 v[42:45], v[46:47], off
	;; [unrolled: 8-line block ×5, first 2 shown]
	v_add_u32_e32 v4, 35, v2
	v_ashrrev_i32_e32 v5, 31, v4
	v_add_u32_e32 v70, 35, v78
	v_lshl_add_u64 v[4:5], v[4:5], 4, s[18:19]
	v_ashrrev_i32_e32 v71, 31, v70
	v_add_u32_e32 v2, 42, v2
	v_lshl_add_u64 v[80:81], v[70:71], 4, s[18:19]
	global_load_dwordx4 v[70:73], v[4:5], off
	global_load_dwordx4 v[74:77], v[80:81], off
	v_ashrrev_i32_e32 v3, 31, v2
	v_add_u32_e32 v4, 42, v78
	v_lshl_add_u64 v[2:3], v[2:3], 4, s[18:19]
	v_ashrrev_i32_e32 v5, 31, v4
	v_lshl_add_u64 v[4:5], v[4:5], 4, s[18:19]
	global_load_dwordx4 v[78:81], v[2:3], off
	global_load_dwordx4 v[82:85], v[4:5], off
	s_waitcnt vmcnt(12)
	v_fma_f64 v[2:3], v[30:31], v[34:35], v[10:11]
	v_fma_f64 v[4:5], v[32:33], v[34:35], v[12:13]
	v_fmac_f64_e32 v[2:3], v[32:33], v[36:37]
	v_fma_f64 v[4:5], v[30:31], -v[36:37], v[4:5]
	s_waitcnt vmcnt(10)
	v_fmac_f64_e32 v[2:3], v[38:39], v[42:43]
	v_fmac_f64_e32 v[4:5], v[40:41], v[42:43]
	v_fmac_f64_e32 v[2:3], v[40:41], v[44:45]
	v_fma_f64 v[4:5], v[38:39], -v[44:45], v[4:5]
	s_waitcnt vmcnt(8)
	v_fmac_f64_e32 v[2:3], v[46:47], v[50:51]
	v_fmac_f64_e32 v[4:5], v[48:49], v[50:51]
	;; [unrolled: 5-line block ×6, first 2 shown]
	v_fmac_f64_e32 v[2:3], v[80:81], v[84:85]
	v_fma_f64 v[4:5], v[78:79], -v[84:85], v[4:5]
	s_cbranch_execz .LBB65_39
.LBB65_37:                              ;   in Loop: Header=BB65_35 Depth=2
	s_add_i32 s24, s24, -1
	s_add_i32 s25, s25, 4
	s_cmp_eq_u32 s24, 0
	s_cbranch_scc0 .LBB65_40
	s_branch .LBB65_41
.LBB65_38:                              ;   in Loop: Header=BB65_35 Depth=2
	s_andn2_b64 vcc, exec, s[2:3]
	s_cbranch_vccnz .LBB65_37
.LBB65_39:                              ;   in Loop: Header=BB65_35 Depth=2
	s_waitcnt lgkmcnt(0)
	v_add_u32_e32 v2, v14, v1
	v_ashrrev_i32_e32 v3, 31, v2
	v_lshl_add_u64 v[82:83], v[2:3], 4, s[18:19]
	v_add_u32_e32 v2, v15, v21
	v_ashrrev_i32_e32 v3, 31, v2
	v_lshl_add_u64 v[14:15], v[2:3], 4, s[18:19]
	global_load_dwordx4 v[2:5], v[14:15], off
	global_load_dwordx4 v[30:33], v[82:83], off
	global_load_dwordx4 v[34:37], v[82:83], off offset:16
	global_load_dwordx4 v[38:41], v[14:15], off offset:16
	;; [unrolled: 1-line block ×12, first 2 shown]
	s_waitcnt vmcnt(12)
	v_fmac_f64_e32 v[10:11], v[30:31], v[2:3]
	v_fmac_f64_e32 v[12:13], v[32:33], v[2:3]
	v_fmac_f64_e32 v[10:11], v[32:33], v[4:5]
	v_fma_f64 v[2:3], v[30:31], -v[4:5], v[12:13]
	s_waitcnt vmcnt(10)
	v_fmac_f64_e32 v[10:11], v[34:35], v[38:39]
	v_fmac_f64_e32 v[2:3], v[36:37], v[38:39]
	v_fmac_f64_e32 v[10:11], v[36:37], v[40:41]
	v_fma_f64 v[2:3], v[34:35], -v[40:41], v[2:3]
	s_waitcnt vmcnt(8)
	v_fmac_f64_e32 v[10:11], v[46:47], v[42:43]
	v_fmac_f64_e32 v[2:3], v[48:49], v[42:43]
	v_fmac_f64_e32 v[10:11], v[48:49], v[44:45]
	v_fma_f64 v[2:3], v[46:47], -v[44:45], v[2:3]
	s_waitcnt vmcnt(6)
	v_fmac_f64_e32 v[10:11], v[50:51], v[54:55]
	v_fmac_f64_e32 v[2:3], v[52:53], v[54:55]
	v_fmac_f64_e32 v[10:11], v[52:53], v[56:57]
	v_fma_f64 v[2:3], v[50:51], -v[56:57], v[2:3]
	s_waitcnt vmcnt(4)
	v_fmac_f64_e32 v[10:11], v[62:63], v[58:59]
	v_fmac_f64_e32 v[2:3], v[64:65], v[58:59]
	v_fmac_f64_e32 v[10:11], v[64:65], v[60:61]
	v_fma_f64 v[2:3], v[62:63], -v[60:61], v[2:3]
	s_waitcnt vmcnt(2)
	v_fmac_f64_e32 v[10:11], v[66:67], v[70:71]
	v_fmac_f64_e32 v[2:3], v[68:69], v[70:71]
	v_fmac_f64_e32 v[10:11], v[68:69], v[72:73]
	v_fma_f64 v[2:3], v[66:67], -v[72:73], v[2:3]
	s_waitcnt vmcnt(0)
	v_fmac_f64_e32 v[10:11], v[74:75], v[78:79]
	v_fmac_f64_e32 v[2:3], v[76:77], v[78:79]
	v_fmac_f64_e32 v[10:11], v[76:77], v[80:81]
	v_fma_f64 v[4:5], v[74:75], -v[80:81], v[2:3]
	v_mov_b64_e32 v[2:3], v[10:11]
	s_add_i32 s24, s24, -1
	s_add_i32 s25, s25, 4
	s_cmp_eq_u32 s24, 0
	s_cbranch_scc1 .LBB65_41
.LBB65_40:                              ;   in Loop: Header=BB65_35 Depth=2
	v_mov_b64_e32 v[12:13], v[4:5]
	v_mov_b64_e32 v[10:11], v[2:3]
	s_branch .LBB65_35
.LBB65_41:                              ;   in Loop: Header=BB65_18 Depth=1
	ds_write_b128 v26, v[2:5]
	s_waitcnt lgkmcnt(0)
	ds_read_b128 v[10:13], v0
	ds_read_b128 v[2:5], v22
	s_waitcnt lgkmcnt(1)
	v_cmp_neq_f64_e32 vcc, 0, v[10:11]
	v_cmp_neq_f64_e64 s[2:3], 0, v[12:13]
	s_or_b64 vcc, vcc, s[2:3]
	v_cndmask_b32_e32 v11, v28, v11, vcc
	s_nor_b64 s[24:25], vcc, s[0:1]
	v_cndmask_b32_e32 v10, 0, v10, vcc
	v_cndmask_b32_e32 v13, 0, v13, vcc
	v_cndmask_b32_e32 v12, 0, v12, vcc
	s_and_saveexec_b64 s[2:3], s[24:25]
	s_cbranch_execz .LBB65_45
; %bb.42:                               ;   in Loop: Header=BB65_18 Depth=1
	v_mbcnt_lo_u32_b32 v10, exec_lo, 0
	v_mbcnt_hi_u32_b32 v10, exec_hi, v10
	v_cmp_eq_u32_e32 vcc, 0, v10
	s_and_saveexec_b64 s[24:25], vcc
	s_cbranch_execz .LBB65_44
; %bb.43:                               ;   in Loop: Header=BB65_18 Depth=1
	v_mov_b32_e32 v10, s23
	global_atomic_smin v0, v10, s[10:11]
.LBB65_44:                              ;   in Loop: Header=BB65_18 Depth=1
	s_or_b64 exec, exec, s[24:25]
	v_mov_b64_e32 v[12:13], 0
	v_mov_b64_e32 v[10:11], 1.0
.LBB65_45:                              ;   in Loop: Header=BB65_18 Depth=1
	s_or_b64 exec, exec, s[2:3]
	v_mul_f64 v[14:15], v[12:13], v[12:13]
	v_fmac_f64_e32 v[14:15], v[10:11], v[10:11]
	ds_read_b128 v[30:33], v25
	v_div_scale_f64 v[34:35], s[2:3], v[14:15], v[14:15], 1.0
	v_rcp_f64_e32 v[36:37], v[34:35]
	s_waitcnt lgkmcnt(0)
	v_add_f64 v[30:31], v[2:3], -v[30:31]
	v_add_f64 v[4:5], v[4:5], -v[32:33]
	v_fma_f64 v[2:3], -v[34:35], v[36:37], 1.0
	v_fmac_f64_e32 v[36:37], v[36:37], v[2:3]
	v_fma_f64 v[2:3], -v[34:35], v[36:37], 1.0
	v_fmac_f64_e32 v[36:37], v[36:37], v[2:3]
	v_div_scale_f64 v[2:3], vcc, 1.0, v[14:15], 1.0
	v_mul_f64 v[32:33], v[2:3], v[36:37]
	v_fma_f64 v[2:3], -v[34:35], v[32:33], v[2:3]
	s_nop 1
	v_div_fmas_f64 v[2:3], v[2:3], v[36:37], v[32:33]
	v_div_fixup_f64 v[14:15], v[2:3], v[14:15], 1.0
	v_mul_f64 v[2:3], v[12:13], v[4:5]
	v_mul_f64 v[12:13], v[12:13], -v[30:31]
	v_fmac_f64_e32 v[2:3], v[30:31], v[10:11]
	v_fmac_f64_e32 v[12:13], v[4:5], v[10:11]
	v_mul_f64 v[2:3], v[14:15], v[2:3]
	v_mul_f64 v[4:5], v[14:15], v[12:13]
	ds_write_b128 v22, v[2:5]
	s_waitcnt lgkmcnt(0)
	ds_read_b128 v[10:13], v27
	ds_read_b128 v[30:33], v19
	s_waitcnt lgkmcnt(0)
	v_fmac_f64_e32 v[30:31], v[2:3], v[10:11]
	v_fmac_f64_e32 v[32:33], v[4:5], v[10:11]
	;; [unrolled: 1-line block ×3, first 2 shown]
	v_fma_f64 v[32:33], v[2:3], -v[12:13], v[32:33]
	ds_write_b128 v19, v[30:33]
	s_waitcnt lgkmcnt(0)
	ds_read_b128 v[10:13], v0 offset:144
	ds_read_b128 v[2:5], v22 offset:16
	s_waitcnt lgkmcnt(1)
	v_cmp_neq_f64_e32 vcc, 0, v[10:11]
	v_cmp_neq_f64_e64 s[2:3], 0, v[12:13]
	s_or_b64 vcc, vcc, s[2:3]
	v_cndmask_b32_e32 v11, v28, v11, vcc
	s_nor_b64 s[24:25], vcc, s[0:1]
	v_cndmask_b32_e32 v10, 0, v10, vcc
	v_cndmask_b32_e32 v13, 0, v13, vcc
	;; [unrolled: 1-line block ×3, first 2 shown]
	s_and_saveexec_b64 s[2:3], s[24:25]
	s_cbranch_execz .LBB65_49
; %bb.46:                               ;   in Loop: Header=BB65_18 Depth=1
	v_mbcnt_lo_u32_b32 v10, exec_lo, 0
	v_mbcnt_hi_u32_b32 v10, exec_hi, v10
	v_cmp_eq_u32_e32 vcc, 0, v10
	s_and_saveexec_b64 s[24:25], vcc
	s_cbranch_execz .LBB65_48
; %bb.47:                               ;   in Loop: Header=BB65_18 Depth=1
	v_mov_b32_e32 v10, s23
	global_atomic_smin v0, v10, s[10:11]
.LBB65_48:                              ;   in Loop: Header=BB65_18 Depth=1
	s_or_b64 exec, exec, s[24:25]
	v_mov_b64_e32 v[12:13], 0
	v_mov_b64_e32 v[10:11], 1.0
.LBB65_49:                              ;   in Loop: Header=BB65_18 Depth=1
	s_or_b64 exec, exec, s[2:3]
	ds_read_b128 v[30:33], v0 offset:128
	ds_read_b128 v[34:37], v22
	ds_read_b128 v[38:41], v25 offset:16
	v_mul_f64 v[14:15], v[12:13], v[12:13]
	v_fmac_f64_e32 v[14:15], v[10:11], v[10:11]
	s_waitcnt lgkmcnt(0)
	v_fmac_f64_e32 v[40:41], v[32:33], v[34:35]
	v_fmac_f64_e32 v[38:39], v[30:31], v[34:35]
	v_div_scale_f64 v[34:35], s[2:3], v[14:15], v[14:15], 1.0
	v_fma_f64 v[30:31], v[30:31], -v[36:37], v[40:41]
	v_rcp_f64_e32 v[40:41], v[34:35]
	v_fmac_f64_e32 v[38:39], v[32:33], v[36:37]
	v_add_f64 v[32:33], v[2:3], -v[38:39]
	v_add_f64 v[4:5], v[4:5], -v[30:31]
	v_fma_f64 v[2:3], -v[34:35], v[40:41], 1.0
	v_fmac_f64_e32 v[40:41], v[40:41], v[2:3]
	v_fma_f64 v[2:3], -v[34:35], v[40:41], 1.0
	v_fmac_f64_e32 v[40:41], v[40:41], v[2:3]
	v_div_scale_f64 v[2:3], vcc, 1.0, v[14:15], 1.0
	v_mul_f64 v[30:31], v[2:3], v[40:41]
	v_fma_f64 v[2:3], -v[34:35], v[30:31], v[2:3]
	s_nop 1
	v_div_fmas_f64 v[2:3], v[2:3], v[40:41], v[30:31]
	v_div_fixup_f64 v[14:15], v[2:3], v[14:15], 1.0
	v_mul_f64 v[2:3], v[12:13], v[4:5]
	v_mul_f64 v[12:13], v[12:13], -v[32:33]
	v_fmac_f64_e32 v[2:3], v[32:33], v[10:11]
	v_fmac_f64_e32 v[12:13], v[4:5], v[10:11]
	v_mul_f64 v[2:3], v[14:15], v[2:3]
	v_mul_f64 v[4:5], v[14:15], v[12:13]
	ds_write_b128 v22, v[2:5] offset:16
	s_waitcnt lgkmcnt(0)
	ds_read_b128 v[10:13], v27 offset:16
	ds_read_b128 v[30:33], v19
	s_waitcnt lgkmcnt(0)
	v_fmac_f64_e32 v[30:31], v[2:3], v[10:11]
	v_fmac_f64_e32 v[32:33], v[4:5], v[10:11]
	v_fmac_f64_e32 v[30:31], v[4:5], v[12:13]
	v_fma_f64 v[32:33], v[2:3], -v[12:13], v[32:33]
	ds_write_b128 v19, v[30:33]
	s_waitcnt lgkmcnt(0)
	ds_read_b128 v[10:13], v0 offset:288
	ds_read_b128 v[2:5], v22 offset:32
	s_waitcnt lgkmcnt(1)
	v_cmp_neq_f64_e32 vcc, 0, v[10:11]
	v_cmp_neq_f64_e64 s[2:3], 0, v[12:13]
	s_or_b64 vcc, vcc, s[2:3]
	v_cndmask_b32_e32 v11, v28, v11, vcc
	s_nor_b64 s[24:25], vcc, s[0:1]
	v_cndmask_b32_e32 v10, 0, v10, vcc
	v_cndmask_b32_e32 v13, 0, v13, vcc
	;; [unrolled: 1-line block ×3, first 2 shown]
	s_and_saveexec_b64 s[2:3], s[24:25]
	s_cbranch_execz .LBB65_53
; %bb.50:                               ;   in Loop: Header=BB65_18 Depth=1
	v_mbcnt_lo_u32_b32 v10, exec_lo, 0
	v_mbcnt_hi_u32_b32 v10, exec_hi, v10
	v_cmp_eq_u32_e32 vcc, 0, v10
	s_and_saveexec_b64 s[24:25], vcc
	s_cbranch_execz .LBB65_52
; %bb.51:                               ;   in Loop: Header=BB65_18 Depth=1
	v_mov_b32_e32 v10, s23
	global_atomic_smin v0, v10, s[10:11]
.LBB65_52:                              ;   in Loop: Header=BB65_18 Depth=1
	s_or_b64 exec, exec, s[24:25]
	v_mov_b64_e32 v[12:13], 0
	v_mov_b64_e32 v[10:11], 1.0
.LBB65_53:                              ;   in Loop: Header=BB65_18 Depth=1
	s_or_b64 exec, exec, s[2:3]
	ds_read_b128 v[30:33], v22
	ds_read_b128 v[34:37], v0 offset:256
	ds_read_b128 v[38:41], v25 offset:32
	ds_read_b128 v[42:45], v0 offset:272
	ds_read_b128 v[46:49], v22 offset:16
	s_waitcnt lgkmcnt(2)
	v_fmac_f64_e32 v[40:41], v[36:37], v[30:31]
	v_fmac_f64_e32 v[38:39], v[34:35], v[30:31]
	v_mul_f64 v[30:31], v[12:13], v[12:13]
	v_fmac_f64_e32 v[30:31], v[10:11], v[10:11]
	v_fma_f64 v[14:15], v[34:35], -v[32:33], v[40:41]
	v_fmac_f64_e32 v[38:39], v[36:37], v[32:33]
	v_div_scale_f64 v[32:33], s[2:3], v[30:31], v[30:31], 1.0
	v_rcp_f64_e32 v[34:35], v[32:33]
	s_waitcnt lgkmcnt(0)
	v_fmac_f64_e32 v[38:39], v[42:43], v[46:47]
	v_fmac_f64_e32 v[38:39], v[44:45], v[48:49]
	v_add_f64 v[36:37], v[2:3], -v[38:39]
	v_fma_f64 v[2:3], -v[32:33], v[34:35], 1.0
	v_fmac_f64_e32 v[34:35], v[34:35], v[2:3]
	v_fmac_f64_e32 v[14:15], v[44:45], v[46:47]
	v_fma_f64 v[2:3], -v[32:33], v[34:35], 1.0
	v_fma_f64 v[14:15], v[42:43], -v[48:49], v[14:15]
	v_fmac_f64_e32 v[34:35], v[34:35], v[2:3]
	v_div_scale_f64 v[2:3], vcc, 1.0, v[30:31], 1.0
	v_add_f64 v[4:5], v[4:5], -v[14:15]
	v_mul_f64 v[14:15], v[2:3], v[34:35]
	v_fma_f64 v[2:3], -v[32:33], v[14:15], v[2:3]
	s_nop 0
	v_div_fmas_f64 v[2:3], v[2:3], v[34:35], v[14:15]
	v_div_fixup_f64 v[14:15], v[2:3], v[30:31], 1.0
	v_mul_f64 v[2:3], v[12:13], v[4:5]
	v_mul_f64 v[12:13], v[12:13], -v[36:37]
	v_fmac_f64_e32 v[2:3], v[36:37], v[10:11]
	v_fmac_f64_e32 v[12:13], v[4:5], v[10:11]
	v_mul_f64 v[2:3], v[14:15], v[2:3]
	v_mul_f64 v[4:5], v[14:15], v[12:13]
	ds_write_b128 v22, v[2:5] offset:32
	s_waitcnt lgkmcnt(0)
	ds_read_b128 v[10:13], v27 offset:32
	ds_read_b128 v[30:33], v19
	s_waitcnt lgkmcnt(0)
	v_fmac_f64_e32 v[30:31], v[2:3], v[10:11]
	v_fmac_f64_e32 v[32:33], v[4:5], v[10:11]
	v_fmac_f64_e32 v[30:31], v[4:5], v[12:13]
	v_fma_f64 v[32:33], v[2:3], -v[12:13], v[32:33]
	ds_write_b128 v19, v[30:33]
	s_waitcnt lgkmcnt(0)
	ds_read_b128 v[10:13], v0 offset:432
	ds_read_b128 v[2:5], v22 offset:48
	s_waitcnt lgkmcnt(1)
	v_cmp_neq_f64_e32 vcc, 0, v[10:11]
	v_cmp_neq_f64_e64 s[2:3], 0, v[12:13]
	s_or_b64 vcc, vcc, s[2:3]
	v_cndmask_b32_e32 v11, v28, v11, vcc
	s_nor_b64 s[24:25], vcc, s[0:1]
	v_cndmask_b32_e32 v10, 0, v10, vcc
	v_cndmask_b32_e32 v13, 0, v13, vcc
	;; [unrolled: 1-line block ×3, first 2 shown]
	s_and_saveexec_b64 s[2:3], s[24:25]
	s_cbranch_execz .LBB65_57
; %bb.54:                               ;   in Loop: Header=BB65_18 Depth=1
	v_mbcnt_lo_u32_b32 v10, exec_lo, 0
	v_mbcnt_hi_u32_b32 v10, exec_hi, v10
	v_cmp_eq_u32_e32 vcc, 0, v10
	s_and_saveexec_b64 s[24:25], vcc
	s_cbranch_execz .LBB65_56
; %bb.55:                               ;   in Loop: Header=BB65_18 Depth=1
	v_mov_b32_e32 v10, s23
	global_atomic_smin v0, v10, s[10:11]
.LBB65_56:                              ;   in Loop: Header=BB65_18 Depth=1
	s_or_b64 exec, exec, s[24:25]
	v_mov_b64_e32 v[12:13], 0
	v_mov_b64_e32 v[10:11], 1.0
.LBB65_57:                              ;   in Loop: Header=BB65_18 Depth=1
	s_or_b64 exec, exec, s[2:3]
	ds_read_b128 v[30:33], v22
	ds_read_b128 v[34:37], v25 offset:48
	ds_read_b128 v[38:41], v0 offset:384
	;; [unrolled: 1-line block ×6, first 2 shown]
	s_waitcnt lgkmcnt(4)
	v_fmac_f64_e32 v[36:37], v[40:41], v[30:31]
	v_fmac_f64_e32 v[34:35], v[38:39], v[30:31]
	v_mul_f64 v[30:31], v[12:13], v[12:13]
	v_fmac_f64_e32 v[30:31], v[10:11], v[10:11]
	v_fma_f64 v[14:15], v[38:39], -v[32:33], v[36:37]
	v_fmac_f64_e32 v[34:35], v[40:41], v[32:33]
	v_div_scale_f64 v[32:33], s[2:3], v[30:31], v[30:31], 1.0
	s_waitcnt lgkmcnt(2)
	v_fmac_f64_e32 v[34:35], v[42:43], v[46:47]
	v_rcp_f64_e32 v[36:37], v[32:33]
	v_fmac_f64_e32 v[34:35], v[44:45], v[48:49]
	s_waitcnt lgkmcnt(0)
	v_fmac_f64_e32 v[34:35], v[54:55], v[50:51]
	v_fmac_f64_e32 v[34:35], v[56:57], v[52:53]
	;; [unrolled: 1-line block ×3, first 2 shown]
	v_add_f64 v[34:35], v[2:3], -v[34:35]
	v_fma_f64 v[2:3], -v[32:33], v[36:37], 1.0
	v_fma_f64 v[14:15], v[42:43], -v[48:49], v[14:15]
	v_fmac_f64_e32 v[36:37], v[36:37], v[2:3]
	v_fmac_f64_e32 v[14:15], v[56:57], v[50:51]
	v_fma_f64 v[2:3], -v[32:33], v[36:37], 1.0
	v_fma_f64 v[14:15], v[54:55], -v[52:53], v[14:15]
	v_fmac_f64_e32 v[36:37], v[36:37], v[2:3]
	v_div_scale_f64 v[2:3], vcc, 1.0, v[30:31], 1.0
	v_add_f64 v[4:5], v[4:5], -v[14:15]
	v_mul_f64 v[14:15], v[2:3], v[36:37]
	v_fma_f64 v[2:3], -v[32:33], v[14:15], v[2:3]
	s_nop 0
	v_div_fmas_f64 v[2:3], v[2:3], v[36:37], v[14:15]
	v_div_fixup_f64 v[14:15], v[2:3], v[30:31], 1.0
	v_mul_f64 v[2:3], v[12:13], v[4:5]
	v_mul_f64 v[12:13], v[12:13], -v[34:35]
	v_fmac_f64_e32 v[2:3], v[34:35], v[10:11]
	v_fmac_f64_e32 v[12:13], v[4:5], v[10:11]
	v_mul_f64 v[2:3], v[14:15], v[2:3]
	v_mul_f64 v[4:5], v[14:15], v[12:13]
	ds_write_b128 v22, v[2:5] offset:48
	s_waitcnt lgkmcnt(0)
	ds_read_b128 v[10:13], v27 offset:48
	ds_read_b128 v[30:33], v19
	s_waitcnt lgkmcnt(0)
	v_fmac_f64_e32 v[30:31], v[2:3], v[10:11]
	v_fmac_f64_e32 v[32:33], v[4:5], v[10:11]
	;; [unrolled: 1-line block ×3, first 2 shown]
	v_fma_f64 v[32:33], v[2:3], -v[12:13], v[32:33]
	ds_write_b128 v19, v[30:33]
	s_waitcnt lgkmcnt(0)
	ds_read_b128 v[10:13], v0 offset:576
	ds_read_b128 v[2:5], v22 offset:64
	s_waitcnt lgkmcnt(1)
	v_cmp_neq_f64_e32 vcc, 0, v[10:11]
	v_cmp_neq_f64_e64 s[2:3], 0, v[12:13]
	s_or_b64 vcc, vcc, s[2:3]
	v_cndmask_b32_e32 v11, v28, v11, vcc
	s_nor_b64 s[24:25], vcc, s[0:1]
	v_cndmask_b32_e32 v10, 0, v10, vcc
	v_cndmask_b32_e32 v13, 0, v13, vcc
	;; [unrolled: 1-line block ×3, first 2 shown]
	s_and_saveexec_b64 s[2:3], s[24:25]
	s_cbranch_execz .LBB65_61
; %bb.58:                               ;   in Loop: Header=BB65_18 Depth=1
	v_mbcnt_lo_u32_b32 v10, exec_lo, 0
	v_mbcnt_hi_u32_b32 v10, exec_hi, v10
	v_cmp_eq_u32_e32 vcc, 0, v10
	s_and_saveexec_b64 s[24:25], vcc
	s_cbranch_execz .LBB65_60
; %bb.59:                               ;   in Loop: Header=BB65_18 Depth=1
	v_mov_b32_e32 v10, s23
	global_atomic_smin v0, v10, s[10:11]
.LBB65_60:                              ;   in Loop: Header=BB65_18 Depth=1
	s_or_b64 exec, exec, s[24:25]
	v_mov_b64_e32 v[12:13], 0
	v_mov_b64_e32 v[10:11], 1.0
.LBB65_61:                              ;   in Loop: Header=BB65_18 Depth=1
	s_or_b64 exec, exec, s[2:3]
	ds_read_b128 v[30:33], v0 offset:528
	ds_read_b128 v[34:37], v0 offset:544
	ds_read_b128 v[38:41], v22
	ds_read_b128 v[42:45], v0 offset:512
	ds_read_b128 v[46:49], v25 offset:64
	;; [unrolled: 1-line block ×6, first 2 shown]
	s_waitcnt lgkmcnt(4)
	v_fmac_f64_e32 v[48:49], v[44:45], v[38:39]
	v_fma_f64 v[14:15], v[42:43], -v[40:41], v[48:49]
	v_fmac_f64_e32 v[46:47], v[42:43], v[38:39]
	s_waitcnt lgkmcnt(2)
	v_fmac_f64_e32 v[14:15], v[32:33], v[54:55]
	v_fmac_f64_e32 v[46:47], v[44:45], v[40:41]
	v_fma_f64 v[14:15], v[30:31], -v[56:57], v[14:15]
	v_fmac_f64_e32 v[46:47], v[30:31], v[54:55]
	v_mul_f64 v[30:31], v[12:13], v[12:13]
	v_fmac_f64_e32 v[30:31], v[10:11], v[10:11]
	s_waitcnt lgkmcnt(1)
	v_fmac_f64_e32 v[14:15], v[36:37], v[58:59]
	v_fmac_f64_e32 v[46:47], v[32:33], v[56:57]
	v_div_scale_f64 v[32:33], s[2:3], v[30:31], v[30:31], 1.0
	v_fma_f64 v[14:15], v[34:35], -v[60:61], v[14:15]
	v_fmac_f64_e32 v[46:47], v[34:35], v[58:59]
	v_rcp_f64_e32 v[34:35], v[32:33]
	v_fmac_f64_e32 v[46:47], v[36:37], v[60:61]
	s_waitcnt lgkmcnt(0)
	v_fmac_f64_e32 v[46:47], v[50:51], v[62:63]
	v_fmac_f64_e32 v[46:47], v[52:53], v[64:65]
	v_add_f64 v[36:37], v[2:3], -v[46:47]
	v_fma_f64 v[2:3], -v[32:33], v[34:35], 1.0
	v_fmac_f64_e32 v[34:35], v[34:35], v[2:3]
	v_fmac_f64_e32 v[14:15], v[52:53], v[62:63]
	v_fma_f64 v[2:3], -v[32:33], v[34:35], 1.0
	v_fma_f64 v[14:15], v[50:51], -v[64:65], v[14:15]
	v_fmac_f64_e32 v[34:35], v[34:35], v[2:3]
	v_div_scale_f64 v[2:3], vcc, 1.0, v[30:31], 1.0
	v_add_f64 v[4:5], v[4:5], -v[14:15]
	v_mul_f64 v[14:15], v[2:3], v[34:35]
	v_fma_f64 v[2:3], -v[32:33], v[14:15], v[2:3]
	s_nop 0
	v_div_fmas_f64 v[2:3], v[2:3], v[34:35], v[14:15]
	v_div_fixup_f64 v[14:15], v[2:3], v[30:31], 1.0
	v_mul_f64 v[2:3], v[12:13], v[4:5]
	v_mul_f64 v[12:13], v[12:13], -v[36:37]
	v_fmac_f64_e32 v[2:3], v[36:37], v[10:11]
	v_fmac_f64_e32 v[12:13], v[4:5], v[10:11]
	v_mul_f64 v[2:3], v[14:15], v[2:3]
	v_mul_f64 v[4:5], v[14:15], v[12:13]
	ds_write_b128 v22, v[2:5] offset:64
	s_waitcnt lgkmcnt(0)
	ds_read_b128 v[10:13], v27 offset:64
	ds_read_b128 v[30:33], v19
	s_waitcnt lgkmcnt(0)
	v_fmac_f64_e32 v[30:31], v[2:3], v[10:11]
	v_fmac_f64_e32 v[32:33], v[4:5], v[10:11]
	v_fmac_f64_e32 v[30:31], v[4:5], v[12:13]
	v_fma_f64 v[32:33], v[2:3], -v[12:13], v[32:33]
	ds_write_b128 v19, v[30:33]
	s_waitcnt lgkmcnt(0)
	ds_read_b128 v[10:13], v0 offset:720
	ds_read_b128 v[2:5], v22 offset:80
	s_waitcnt lgkmcnt(1)
	v_cmp_neq_f64_e32 vcc, 0, v[10:11]
	v_cmp_neq_f64_e64 s[2:3], 0, v[12:13]
	s_or_b64 vcc, vcc, s[2:3]
	v_cndmask_b32_e32 v11, v28, v11, vcc
	s_nor_b64 s[24:25], vcc, s[0:1]
	v_cndmask_b32_e32 v10, 0, v10, vcc
	v_cndmask_b32_e32 v13, 0, v13, vcc
	;; [unrolled: 1-line block ×3, first 2 shown]
	s_and_saveexec_b64 s[2:3], s[24:25]
	s_cbranch_execz .LBB65_65
; %bb.62:                               ;   in Loop: Header=BB65_18 Depth=1
	v_mbcnt_lo_u32_b32 v10, exec_lo, 0
	v_mbcnt_hi_u32_b32 v10, exec_hi, v10
	v_cmp_eq_u32_e32 vcc, 0, v10
	s_and_saveexec_b64 s[24:25], vcc
	s_cbranch_execz .LBB65_64
; %bb.63:                               ;   in Loop: Header=BB65_18 Depth=1
	v_mov_b32_e32 v10, s23
	global_atomic_smin v0, v10, s[10:11]
.LBB65_64:                              ;   in Loop: Header=BB65_18 Depth=1
	s_or_b64 exec, exec, s[24:25]
	v_mov_b64_e32 v[12:13], 0
	v_mov_b64_e32 v[10:11], 1.0
.LBB65_65:                              ;   in Loop: Header=BB65_18 Depth=1
	s_or_b64 exec, exec, s[2:3]
	ds_read_b128 v[30:33], v0 offset:704
	ds_read_b128 v[34:37], v0 offset:640
	;; [unrolled: 1-line block ×3, first 2 shown]
	ds_read_b128 v[42:45], v22
	ds_read_b128 v[46:49], v22 offset:64
	ds_read_b128 v[50:53], v25 offset:80
	;; [unrolled: 1-line block ×7, first 2 shown]
	s_waitcnt lgkmcnt(5)
	v_fmac_f64_e32 v[52:53], v[36:37], v[42:43]
	v_fma_f64 v[14:15], v[34:35], -v[44:45], v[52:53]
	v_fmac_f64_e32 v[50:51], v[34:35], v[42:43]
	s_waitcnt lgkmcnt(2)
	v_fmac_f64_e32 v[14:15], v[40:41], v[62:63]
	v_fmac_f64_e32 v[50:51], v[36:37], v[44:45]
	v_fma_f64 v[14:15], v[38:39], -v[64:65], v[14:15]
	v_fmac_f64_e32 v[50:51], v[38:39], v[62:63]
	s_waitcnt lgkmcnt(1)
	v_fmac_f64_e32 v[14:15], v[56:57], v[66:67]
	;; [unrolled: 5-line block ×3, first 2 shown]
	v_fmac_f64_e32 v[50:51], v[56:57], v[68:69]
	v_fma_f64 v[14:15], v[58:59], -v[72:73], v[14:15]
	v_fmac_f64_e32 v[50:51], v[58:59], v[70:71]
	v_fmac_f64_e32 v[14:15], v[32:33], v[46:47]
	v_fmac_f64_e32 v[50:51], v[60:61], v[72:73]
	v_fma_f64 v[14:15], v[30:31], -v[48:49], v[14:15]
	v_fmac_f64_e32 v[50:51], v[30:31], v[46:47]
	v_mul_f64 v[30:31], v[12:13], v[12:13]
	v_fmac_f64_e32 v[30:31], v[10:11], v[10:11]
	v_div_scale_f64 v[34:35], s[2:3], v[30:31], v[30:31], 1.0
	v_rcp_f64_e32 v[36:37], v[34:35]
	v_fmac_f64_e32 v[50:51], v[32:33], v[48:49]
	v_add_f64 v[32:33], v[2:3], -v[50:51]
	v_add_f64 v[4:5], v[4:5], -v[14:15]
	v_fma_f64 v[2:3], -v[34:35], v[36:37], 1.0
	v_fmac_f64_e32 v[36:37], v[36:37], v[2:3]
	v_fma_f64 v[2:3], -v[34:35], v[36:37], 1.0
	v_fmac_f64_e32 v[36:37], v[36:37], v[2:3]
	v_div_scale_f64 v[2:3], vcc, 1.0, v[30:31], 1.0
	v_mul_f64 v[14:15], v[2:3], v[36:37]
	v_fma_f64 v[2:3], -v[34:35], v[14:15], v[2:3]
	s_nop 1
	v_div_fmas_f64 v[2:3], v[2:3], v[36:37], v[14:15]
	v_div_fixup_f64 v[14:15], v[2:3], v[30:31], 1.0
	v_mul_f64 v[2:3], v[12:13], v[4:5]
	v_mul_f64 v[12:13], v[12:13], -v[32:33]
	v_fmac_f64_e32 v[2:3], v[32:33], v[10:11]
	v_fmac_f64_e32 v[12:13], v[4:5], v[10:11]
	v_mul_f64 v[2:3], v[14:15], v[2:3]
	v_mul_f64 v[4:5], v[14:15], v[12:13]
	ds_write_b128 v22, v[2:5] offset:80
	s_waitcnt lgkmcnt(0)
	ds_read_b128 v[10:13], v27 offset:80
	ds_read_b128 v[30:33], v19
	s_waitcnt lgkmcnt(0)
	v_fmac_f64_e32 v[30:31], v[2:3], v[10:11]
	v_fmac_f64_e32 v[32:33], v[4:5], v[10:11]
	;; [unrolled: 1-line block ×3, first 2 shown]
	v_fma_f64 v[32:33], v[2:3], -v[12:13], v[32:33]
	ds_write_b128 v19, v[30:33]
	s_waitcnt lgkmcnt(0)
	ds_read_b128 v[10:13], v0 offset:864
	ds_read_b128 v[2:5], v22 offset:96
	s_waitcnt lgkmcnt(1)
	v_cmp_neq_f64_e32 vcc, 0, v[10:11]
	v_cmp_neq_f64_e64 s[2:3], 0, v[12:13]
	s_or_b64 vcc, vcc, s[2:3]
	v_cndmask_b32_e32 v11, v28, v11, vcc
	s_nor_b64 s[24:25], vcc, s[0:1]
	v_cndmask_b32_e32 v10, 0, v10, vcc
	v_cndmask_b32_e32 v13, 0, v13, vcc
	;; [unrolled: 1-line block ×3, first 2 shown]
	s_and_saveexec_b64 s[2:3], s[24:25]
	s_cbranch_execz .LBB65_17
; %bb.66:                               ;   in Loop: Header=BB65_18 Depth=1
	v_mbcnt_lo_u32_b32 v10, exec_lo, 0
	v_mbcnt_hi_u32_b32 v10, exec_hi, v10
	v_cmp_eq_u32_e32 vcc, 0, v10
	s_and_saveexec_b64 s[24:25], vcc
	s_cbranch_execz .LBB65_16
; %bb.67:                               ;   in Loop: Header=BB65_18 Depth=1
	v_mov_b32_e32 v10, s23
	global_atomic_smin v0, v10, s[10:11]
	s_branch .LBB65_16
.LBB65_68:                              ;   in Loop: Header=BB65_18 Depth=1
                                        ; implicit-def: $sgpr22
	s_cbranch_execz .LBB65_18
.LBB65_69:
	s_cmp_lg_u32 s33, 0
	s_cselect_b64 s[12:13], -1, 0
	s_cmp_eq_u32 s33, 0
	v_mov_b32_e32 v0, v17
	s_cbranch_scc1 .LBB65_71
; %bb.70:
	v_mad_u32_u24 v0, v7, 7, v16
.LBB65_71:
	s_mul_i32 s30, s30, 49
	v_add_u32_e32 v0, s30, v0
	v_ashrrev_i32_e32 v1, 31, v0
	v_lshl_add_u64 v[0:1], v[0:1], 4, s[18:19]
	global_load_dwordx4 v[0:3], v[0:1], off
	v_mov_b32_e32 v4, 0x700
	v_lshl_add_u32 v8, v16, 7, v4
	v_cmp_ne_u32_e64 s[2:3], 0, v16
	v_lshl_add_u32 v6, v7, 4, v8
	v_cmp_eq_u32_e32 vcc, 0, v16
	s_waitcnt vmcnt(0)
	ds_write2_b64 v6, v[0:1], v[2:3] offset1:1
	s_waitcnt lgkmcnt(0)
	s_and_saveexec_b64 s[0:1], vcc
	s_cbranch_execz .LBB65_80
; %bb.72:
	v_mov_b32_e32 v4, 0
	ds_read_b128 v[0:3], v4 offset:2688
	ds_read_b128 v[10:13], v4 offset:1792
	s_waitcnt lgkmcnt(0)
	v_add_f64 v[0:1], v[10:11], -v[0:1]
	v_add_f64 v[4:5], v[12:13], -v[2:3]
	v_xor_b32_e32 v2, 0x80000000, v1
	v_cmp_gt_f64_e32 vcc, 0, v[0:1]
	v_xor_b32_e32 v3, 0x80000000, v5
	s_nop 0
	v_cndmask_b32_e32 v1, v1, v2, vcc
	v_cmp_gt_f64_e32 vcc, 0, v[4:5]
	v_mov_b32_e32 v2, v4
	s_nop 0
	v_cndmask_b32_e32 v3, v5, v3, vcc
	v_cmp_ngt_f64_e32 vcc, v[0:1], v[2:3]
	s_cbranch_vccz .LBB65_77
; %bb.73:
	v_cmp_eq_f64_e32 vcc, 0, v[4:5]
	s_mov_b64 s[4:5], 0
	s_cbranch_vccnz .LBB65_173
; %bb.74:
	v_div_scale_f64 v[4:5], s[14:15], v[2:3], v[2:3], v[0:1]
	v_rcp_f64_e32 v[10:11], v[4:5]
	v_div_scale_f64 v[12:13], vcc, v[0:1], v[2:3], v[0:1]
	s_mov_b32 s14, 0
	v_fma_f64 v[14:15], -v[4:5], v[10:11], 1.0
	v_fmac_f64_e32 v[10:11], v[10:11], v[14:15]
	v_fma_f64 v[14:15], -v[4:5], v[10:11], 1.0
	v_fmac_f64_e32 v[10:11], v[10:11], v[14:15]
	v_mul_f64 v[14:15], v[12:13], v[10:11]
	v_fma_f64 v[4:5], -v[4:5], v[14:15], v[12:13]
	v_div_fmas_f64 v[4:5], v[4:5], v[10:11], v[14:15]
	v_div_fixup_f64 v[4:5], v[4:5], v[2:3], v[0:1]
	v_fma_f64 v[4:5], v[4:5], v[4:5], 1.0
	s_brev_b32 s15, 8
	v_cmp_gt_f64_e32 vcc, s[14:15], v[4:5]
	s_and_b64 s[14:15], vcc, exec
	s_cselect_b32 s14, 0x100, 0
	v_ldexp_f64 v[4:5], v[4:5], s14
	v_rsq_f64_e32 v[10:11], v[4:5]
	s_cselect_b32 s14, 0xffffff80, 0
	v_mov_b32_e32 v9, 0x260
	v_cmp_class_f64_e32 vcc, v[4:5], v9
	v_mul_f64 v[12:13], v[4:5], v[10:11]
	v_mul_f64 v[10:11], v[10:11], 0.5
	v_fma_f64 v[14:15], -v[10:11], v[12:13], 0.5
	v_fmac_f64_e32 v[12:13], v[12:13], v[14:15]
	v_fma_f64 v[22:23], -v[12:13], v[12:13], v[4:5]
	v_fmac_f64_e32 v[10:11], v[10:11], v[14:15]
	v_fmac_f64_e32 v[12:13], v[22:23], v[10:11]
	v_fma_f64 v[14:15], -v[12:13], v[12:13], v[4:5]
	v_fmac_f64_e32 v[12:13], v[14:15], v[10:11]
	v_ldexp_f64 v[10:11], v[12:13], s14
	v_cndmask_b32_e32 v5, v11, v5, vcc
	v_cndmask_b32_e32 v4, v10, v4, vcc
	v_mul_f64 v[4:5], v[2:3], v[4:5]
	s_andn2_b64 vcc, exec, s[4:5]
	s_cbranch_vccz .LBB65_78
	s_branch .LBB65_79
.LBB65_75:
	s_cbranch_execnz .LBB65_167
.LBB65_76:
	s_endpgm
.LBB65_77:
                                        ; implicit-def: $vgpr4_vgpr5
.LBB65_78:
	v_div_scale_f64 v[4:5], s[4:5], v[0:1], v[0:1], v[2:3]
	v_rcp_f64_e32 v[10:11], v[4:5]
	v_div_scale_f64 v[12:13], vcc, v[2:3], v[0:1], v[2:3]
	s_mov_b32 s4, 0
	v_fma_f64 v[14:15], -v[4:5], v[10:11], 1.0
	v_fmac_f64_e32 v[10:11], v[10:11], v[14:15]
	v_fma_f64 v[14:15], -v[4:5], v[10:11], 1.0
	v_fmac_f64_e32 v[10:11], v[10:11], v[14:15]
	v_mul_f64 v[14:15], v[12:13], v[10:11]
	v_fma_f64 v[4:5], -v[4:5], v[14:15], v[12:13]
	v_div_fmas_f64 v[4:5], v[4:5], v[10:11], v[14:15]
	v_div_fixup_f64 v[2:3], v[4:5], v[0:1], v[2:3]
	v_fma_f64 v[2:3], v[2:3], v[2:3], 1.0
	s_brev_b32 s5, 8
	v_cmp_gt_f64_e32 vcc, s[4:5], v[2:3]
	s_and_b64 s[4:5], vcc, exec
	s_cselect_b32 s4, 0x100, 0
	v_ldexp_f64 v[2:3], v[2:3], s4
	v_rsq_f64_e32 v[4:5], v[2:3]
	s_cselect_b32 s4, 0xffffff80, 0
	v_mov_b32_e32 v9, 0x260
	v_cmp_class_f64_e32 vcc, v[2:3], v9
	v_mul_f64 v[10:11], v[2:3], v[4:5]
	v_mul_f64 v[4:5], v[4:5], 0.5
	v_fma_f64 v[12:13], -v[4:5], v[10:11], 0.5
	v_fmac_f64_e32 v[10:11], v[10:11], v[12:13]
	v_fma_f64 v[14:15], -v[10:11], v[10:11], v[2:3]
	v_fmac_f64_e32 v[4:5], v[4:5], v[12:13]
	v_fmac_f64_e32 v[10:11], v[14:15], v[4:5]
	v_fma_f64 v[12:13], -v[10:11], v[10:11], v[2:3]
	v_fmac_f64_e32 v[10:11], v[12:13], v[4:5]
	v_ldexp_f64 v[4:5], v[10:11], s4
	v_cndmask_b32_e32 v3, v5, v3, vcc
	v_cndmask_b32_e32 v2, v4, v2, vcc
	v_mul_f64 v[4:5], v[0:1], v[2:3]
.LBB65_79:
	s_mov_b32 s4, 0
	s_brev_b32 s5, 8
	v_cmp_gt_f64_e32 vcc, s[4:5], v[4:5]
	s_and_b64 s[4:5], vcc, exec
	s_cselect_b32 s4, 0x100, 0
	v_ldexp_f64 v[0:1], v[4:5], s4
	v_rsq_f64_e32 v[2:3], v[0:1]
	s_cselect_b32 s4, 0xffffff80, 0
	v_mul_f64 v[4:5], v[0:1], v[2:3]
	v_mul_f64 v[2:3], v[2:3], 0.5
	v_fma_f64 v[10:11], -v[2:3], v[4:5], 0.5
	v_fmac_f64_e32 v[4:5], v[4:5], v[10:11]
	v_fmac_f64_e32 v[2:3], v[2:3], v[10:11]
	v_fma_f64 v[10:11], -v[4:5], v[4:5], v[0:1]
	v_fmac_f64_e32 v[4:5], v[10:11], v[2:3]
	v_fma_f64 v[10:11], -v[4:5], v[4:5], v[0:1]
	v_fmac_f64_e32 v[4:5], v[10:11], v[2:3]
	v_ldexp_f64 v[2:3], v[4:5], s4
	v_mov_b32_e32 v4, 0x260
	v_cmp_class_f64_e32 vcc, v[0:1], v4
	s_nop 1
	v_cndmask_b32_e32 v0, v2, v0, vcc
	v_mov_b32_e32 v2, 0
	v_cndmask_b32_e32 v1, v3, v1, vcc
	v_mov_b32_e32 v3, v2
	ds_write_b128 v2, v[0:3] offset:1792
.LBB65_80:
	s_or_b64 exec, exec, s[0:1]
	v_mov_b32_e32 v0, 0
	s_waitcnt lgkmcnt(0)
	ds_read_b128 v[0:3], v0 offset:1792
	v_or_b32_e32 v9, v7, v16
	v_cmp_ne_u32_e64 s[0:1], 0, v9
	v_mov_b32_e32 v4, 0x3ff00000
	s_add_i32 s20, s16, s17
	s_waitcnt lgkmcnt(0)
	v_cmp_neq_f64_e32 vcc, 0, v[0:1]
	v_cmp_neq_f64_e64 s[4:5], 0, v[2:3]
	s_or_b64 vcc, vcc, s[4:5]
	v_cndmask_b32_e32 v1, v4, v1, vcc
	s_nor_b64 s[14:15], vcc, s[0:1]
	v_cndmask_b32_e32 v0, 0, v0, vcc
	v_cndmask_b32_e32 v3, 0, v3, vcc
	;; [unrolled: 1-line block ×3, first 2 shown]
	s_and_saveexec_b64 s[4:5], s[14:15]
	s_cbranch_execz .LBB65_84
; %bb.81:
	v_mbcnt_lo_u32_b32 v0, exec_lo, 0
	v_mbcnt_hi_u32_b32 v0, exec_hi, v0
	v_cmp_eq_u32_e32 vcc, 0, v0
	s_and_saveexec_b64 s[14:15], vcc
	s_cbranch_execz .LBB65_83
; %bb.82:
	v_mov_b32_e32 v0, 0
	v_mov_b32_e32 v1, s20
	global_atomic_smin v0, v1, s[10:11]
.LBB65_83:
	s_or_b64 exec, exec, s[14:15]
	v_mov_b64_e32 v[2:3], 0
	v_mov_b64_e32 v[0:1], 1.0
.LBB65_84:
	s_or_b64 exec, exec, s[4:5]
	v_mov_b32_e32 v4, 0x700
	v_lshl_add_u32 v10, v7, 7, v4
	s_and_saveexec_b64 s[4:5], s[2:3]
	s_cbranch_execz .LBB65_86
; %bb.85:
	v_mul_f64 v[4:5], v[2:3], v[2:3]
	v_fmac_f64_e32 v[4:5], v[0:1], v[0:1]
	ds_read_b128 v[12:15], v8
	ds_read_b128 v[22:25], v20
	v_div_scale_f64 v[26:27], s[2:3], v[4:5], v[4:5], 1.0
	v_rcp_f64_e32 v[28:29], v[26:27]
	s_waitcnt lgkmcnt(0)
	v_add_f64 v[22:23], v[12:13], -v[22:23]
	v_add_f64 v[14:15], v[14:15], -v[24:25]
	v_fma_f64 v[12:13], -v[26:27], v[28:29], 1.0
	v_fmac_f64_e32 v[28:29], v[28:29], v[12:13]
	v_fma_f64 v[12:13], -v[26:27], v[28:29], 1.0
	v_fmac_f64_e32 v[28:29], v[28:29], v[12:13]
	v_div_scale_f64 v[12:13], vcc, 1.0, v[4:5], 1.0
	v_mul_f64 v[24:25], v[12:13], v[28:29]
	v_fma_f64 v[12:13], -v[26:27], v[24:25], v[12:13]
	s_nop 1
	v_div_fmas_f64 v[12:13], v[12:13], v[28:29], v[24:25]
	v_div_fixup_f64 v[4:5], v[12:13], v[4:5], 1.0
	v_mul_f64 v[12:13], v[2:3], v[14:15]
	v_mul_f64 v[2:3], v[2:3], -v[22:23]
	v_fmac_f64_e32 v[12:13], v[22:23], v[0:1]
	v_fmac_f64_e32 v[2:3], v[14:15], v[0:1]
	v_mul_f64 v[12:13], v[4:5], v[12:13]
	v_mul_f64 v[14:15], v[4:5], v[2:3]
	ds_write_b128 v8, v[12:15]
	s_waitcnt lgkmcnt(0)
	ds_read_b128 v[0:3], v10
	ds_read_b128 v[22:25], v19
	s_waitcnt lgkmcnt(0)
	v_fmac_f64_e32 v[22:23], v[12:13], v[0:1]
	v_fmac_f64_e32 v[24:25], v[14:15], v[0:1]
	;; [unrolled: 1-line block ×3, first 2 shown]
	v_fma_f64 v[24:25], v[12:13], -v[2:3], v[24:25]
	ds_write_b128 v19, v[22:25]
.LBB65_86:
	s_or_b64 exec, exec, s[4:5]
	v_cmp_eq_u32_e32 vcc, 1, v16
	s_waitcnt lgkmcnt(0)
	s_and_saveexec_b64 s[2:3], vcc
	s_cbranch_execz .LBB65_93
; %bb.87:
	v_mov_b32_e32 v4, 0
	ds_read_b128 v[0:3], v4 offset:2832
	ds_read_b128 v[12:15], v4 offset:1936
	s_waitcnt lgkmcnt(0)
	v_add_f64 v[0:1], v[12:13], -v[0:1]
	v_add_f64 v[4:5], v[14:15], -v[2:3]
	v_xor_b32_e32 v2, 0x80000000, v1
	v_cmp_gt_f64_e32 vcc, 0, v[0:1]
	v_xor_b32_e32 v3, 0x80000000, v5
	s_nop 0
	v_cndmask_b32_e32 v1, v1, v2, vcc
	v_cmp_gt_f64_e32 vcc, 0, v[4:5]
	v_mov_b32_e32 v2, v4
	s_nop 0
	v_cndmask_b32_e32 v3, v5, v3, vcc
	v_cmp_gt_f64_e32 vcc, v[0:1], v[2:3]
	s_cbranch_vccnz .LBB65_90
; %bb.88:
	v_cmp_eq_f64_e32 vcc, 0, v[4:5]
	s_mov_b64 s[4:5], 0
	s_cbranch_vccnz .LBB65_174
; %bb.89:
	v_div_scale_f64 v[4:5], s[14:15], v[2:3], v[2:3], v[0:1]
	v_rcp_f64_e32 v[12:13], v[4:5]
	v_div_scale_f64 v[14:15], vcc, v[0:1], v[2:3], v[0:1]
	s_mov_b32 s14, 0
	v_fma_f64 v[22:23], -v[4:5], v[12:13], 1.0
	v_fmac_f64_e32 v[12:13], v[12:13], v[22:23]
	v_fma_f64 v[22:23], -v[4:5], v[12:13], 1.0
	v_fmac_f64_e32 v[12:13], v[12:13], v[22:23]
	v_mul_f64 v[22:23], v[14:15], v[12:13]
	v_fma_f64 v[4:5], -v[4:5], v[22:23], v[14:15]
	v_div_fmas_f64 v[4:5], v[4:5], v[12:13], v[22:23]
	v_div_fixup_f64 v[4:5], v[4:5], v[2:3], v[0:1]
	v_fma_f64 v[4:5], v[4:5], v[4:5], 1.0
	s_brev_b32 s15, 8
	v_cmp_gt_f64_e32 vcc, s[14:15], v[4:5]
	s_and_b64 s[14:15], vcc, exec
	s_cselect_b32 s14, 0x100, 0
	v_ldexp_f64 v[4:5], v[4:5], s14
	v_rsq_f64_e32 v[12:13], v[4:5]
	s_cselect_b32 s14, 0xffffff80, 0
	v_mov_b32_e32 v11, 0x260
	v_cmp_class_f64_e32 vcc, v[4:5], v11
	v_mul_f64 v[14:15], v[4:5], v[12:13]
	v_mul_f64 v[12:13], v[12:13], 0.5
	v_fma_f64 v[22:23], -v[12:13], v[14:15], 0.5
	v_fmac_f64_e32 v[14:15], v[14:15], v[22:23]
	v_fma_f64 v[24:25], -v[14:15], v[14:15], v[4:5]
	v_fmac_f64_e32 v[12:13], v[12:13], v[22:23]
	v_fmac_f64_e32 v[14:15], v[24:25], v[12:13]
	v_fma_f64 v[22:23], -v[14:15], v[14:15], v[4:5]
	v_fmac_f64_e32 v[14:15], v[22:23], v[12:13]
	v_ldexp_f64 v[12:13], v[14:15], s14
	v_cndmask_b32_e32 v5, v13, v5, vcc
	v_cndmask_b32_e32 v4, v12, v4, vcc
	v_mul_f64 v[4:5], v[2:3], v[4:5]
	s_andn2_b64 vcc, exec, s[4:5]
	s_cbranch_vccz .LBB65_91
	s_branch .LBB65_92
.LBB65_90:
                                        ; implicit-def: $vgpr4_vgpr5
.LBB65_91:
	v_div_scale_f64 v[4:5], s[4:5], v[0:1], v[0:1], v[2:3]
	v_rcp_f64_e32 v[12:13], v[4:5]
	v_div_scale_f64 v[14:15], vcc, v[2:3], v[0:1], v[2:3]
	s_mov_b32 s4, 0
	v_fma_f64 v[22:23], -v[4:5], v[12:13], 1.0
	v_fmac_f64_e32 v[12:13], v[12:13], v[22:23]
	v_fma_f64 v[22:23], -v[4:5], v[12:13], 1.0
	v_fmac_f64_e32 v[12:13], v[12:13], v[22:23]
	v_mul_f64 v[22:23], v[14:15], v[12:13]
	v_fma_f64 v[4:5], -v[4:5], v[22:23], v[14:15]
	v_div_fmas_f64 v[4:5], v[4:5], v[12:13], v[22:23]
	v_div_fixup_f64 v[2:3], v[4:5], v[0:1], v[2:3]
	v_fma_f64 v[2:3], v[2:3], v[2:3], 1.0
	s_brev_b32 s5, 8
	v_cmp_gt_f64_e32 vcc, s[4:5], v[2:3]
	s_and_b64 s[4:5], vcc, exec
	s_cselect_b32 s4, 0x100, 0
	v_ldexp_f64 v[2:3], v[2:3], s4
	v_rsq_f64_e32 v[4:5], v[2:3]
	s_cselect_b32 s4, 0xffffff80, 0
	v_mov_b32_e32 v11, 0x260
	v_cmp_class_f64_e32 vcc, v[2:3], v11
	v_mul_f64 v[12:13], v[2:3], v[4:5]
	v_mul_f64 v[4:5], v[4:5], 0.5
	v_fma_f64 v[14:15], -v[4:5], v[12:13], 0.5
	v_fmac_f64_e32 v[12:13], v[12:13], v[14:15]
	v_fma_f64 v[22:23], -v[12:13], v[12:13], v[2:3]
	v_fmac_f64_e32 v[4:5], v[4:5], v[14:15]
	v_fmac_f64_e32 v[12:13], v[22:23], v[4:5]
	v_fma_f64 v[14:15], -v[12:13], v[12:13], v[2:3]
	v_fmac_f64_e32 v[12:13], v[14:15], v[4:5]
	v_ldexp_f64 v[4:5], v[12:13], s4
	v_cndmask_b32_e32 v3, v5, v3, vcc
	v_cndmask_b32_e32 v2, v4, v2, vcc
	v_mul_f64 v[4:5], v[0:1], v[2:3]
.LBB65_92:
	s_mov_b32 s4, 0
	s_brev_b32 s5, 8
	v_cmp_gt_f64_e32 vcc, s[4:5], v[4:5]
	s_and_b64 s[4:5], vcc, exec
	s_cselect_b32 s4, 0x100, 0
	v_ldexp_f64 v[0:1], v[4:5], s4
	v_rsq_f64_e32 v[2:3], v[0:1]
	s_cselect_b32 s4, 0xffffff80, 0
	v_mul_f64 v[4:5], v[0:1], v[2:3]
	v_mul_f64 v[2:3], v[2:3], 0.5
	v_fma_f64 v[12:13], -v[2:3], v[4:5], 0.5
	v_fmac_f64_e32 v[4:5], v[4:5], v[12:13]
	v_fmac_f64_e32 v[2:3], v[2:3], v[12:13]
	v_fma_f64 v[12:13], -v[4:5], v[4:5], v[0:1]
	v_fmac_f64_e32 v[4:5], v[12:13], v[2:3]
	v_fma_f64 v[12:13], -v[4:5], v[4:5], v[0:1]
	v_fmac_f64_e32 v[4:5], v[12:13], v[2:3]
	v_ldexp_f64 v[2:3], v[4:5], s4
	v_mov_b32_e32 v4, 0x260
	v_cmp_class_f64_e32 vcc, v[0:1], v4
	s_nop 1
	v_cndmask_b32_e32 v0, v2, v0, vcc
	v_mov_b32_e32 v2, 0
	v_cndmask_b32_e32 v1, v3, v1, vcc
	v_mov_b32_e32 v3, v2
	ds_write_b128 v2, v[0:3] offset:1936
.LBB65_93:
	s_or_b64 exec, exec, s[2:3]
	v_mov_b32_e32 v0, 0
	s_waitcnt lgkmcnt(0)
	ds_read_b128 v[0:3], v0 offset:1936
	v_mov_b32_e32 v4, 0x3ff00000
	s_waitcnt lgkmcnt(0)
	v_cmp_neq_f64_e32 vcc, 0, v[0:1]
	v_cmp_neq_f64_e64 s[2:3], 0, v[2:3]
	s_or_b64 vcc, vcc, s[2:3]
	v_cndmask_b32_e32 v1, v4, v1, vcc
	s_nor_b64 s[4:5], vcc, s[0:1]
	v_cndmask_b32_e32 v0, 0, v0, vcc
	v_cndmask_b32_e32 v3, 0, v3, vcc
	;; [unrolled: 1-line block ×3, first 2 shown]
	s_and_saveexec_b64 s[2:3], s[4:5]
	s_cbranch_execz .LBB65_97
; %bb.94:
	v_mbcnt_lo_u32_b32 v0, exec_lo, 0
	v_mbcnt_hi_u32_b32 v0, exec_hi, v0
	v_cmp_eq_u32_e32 vcc, 0, v0
	s_and_saveexec_b64 s[4:5], vcc
	s_cbranch_execz .LBB65_96
; %bb.95:
	v_mov_b32_e32 v0, 0
	v_mov_b32_e32 v1, s20
	global_atomic_smin v0, v1, s[10:11]
.LBB65_96:
	s_or_b64 exec, exec, s[4:5]
	v_mov_b64_e32 v[2:3], 0
	v_mov_b64_e32 v[0:1], 1.0
.LBB65_97:
	s_or_b64 exec, exec, s[2:3]
	v_cmp_lt_u32_e32 vcc, 1, v16
	s_and_saveexec_b64 s[2:3], vcc
	s_cbranch_execz .LBB65_99
; %bb.98:
	v_mul_f64 v[4:5], v[2:3], v[2:3]
	v_fmac_f64_e32 v[4:5], v[0:1], v[0:1]
	ds_read_b128 v[12:15], v8 offset:16
	ds_read_b128 v[22:25], v20 offset:16
	v_div_scale_f64 v[26:27], s[4:5], v[4:5], v[4:5], 1.0
	v_rcp_f64_e32 v[28:29], v[26:27]
	s_waitcnt lgkmcnt(0)
	v_add_f64 v[22:23], v[12:13], -v[22:23]
	v_add_f64 v[14:15], v[14:15], -v[24:25]
	v_fma_f64 v[12:13], -v[26:27], v[28:29], 1.0
	v_fmac_f64_e32 v[28:29], v[28:29], v[12:13]
	v_fma_f64 v[12:13], -v[26:27], v[28:29], 1.0
	v_fmac_f64_e32 v[28:29], v[28:29], v[12:13]
	v_div_scale_f64 v[12:13], vcc, 1.0, v[4:5], 1.0
	v_mul_f64 v[24:25], v[12:13], v[28:29]
	v_fma_f64 v[12:13], -v[26:27], v[24:25], v[12:13]
	s_nop 1
	v_div_fmas_f64 v[12:13], v[12:13], v[28:29], v[24:25]
	v_div_fixup_f64 v[4:5], v[12:13], v[4:5], 1.0
	v_mul_f64 v[12:13], v[2:3], v[14:15]
	v_mul_f64 v[2:3], v[2:3], -v[22:23]
	v_fmac_f64_e32 v[12:13], v[22:23], v[0:1]
	v_fmac_f64_e32 v[2:3], v[14:15], v[0:1]
	v_mul_f64 v[12:13], v[4:5], v[12:13]
	v_mul_f64 v[14:15], v[4:5], v[2:3]
	ds_write_b128 v8, v[12:15] offset:16
	s_waitcnt lgkmcnt(0)
	ds_read_b128 v[0:3], v10 offset:16
	ds_read_b128 v[22:25], v19
	s_waitcnt lgkmcnt(0)
	v_fmac_f64_e32 v[22:23], v[12:13], v[0:1]
	v_fmac_f64_e32 v[24:25], v[14:15], v[0:1]
	;; [unrolled: 1-line block ×3, first 2 shown]
	v_fma_f64 v[24:25], v[12:13], -v[2:3], v[24:25]
	ds_write_b128 v19, v[22:25]
.LBB65_99:
	s_or_b64 exec, exec, s[2:3]
	v_cmp_eq_u32_e32 vcc, 2, v16
	s_waitcnt lgkmcnt(0)
	s_and_saveexec_b64 s[2:3], vcc
	s_cbranch_execz .LBB65_106
; %bb.100:
	v_mov_b32_e32 v4, 0
	ds_read_b128 v[0:3], v4 offset:2976
	ds_read_b128 v[12:15], v4 offset:2080
	s_waitcnt lgkmcnt(0)
	v_add_f64 v[0:1], v[12:13], -v[0:1]
	v_add_f64 v[4:5], v[14:15], -v[2:3]
	v_xor_b32_e32 v2, 0x80000000, v1
	v_cmp_gt_f64_e32 vcc, 0, v[0:1]
	v_xor_b32_e32 v3, 0x80000000, v5
	s_nop 0
	v_cndmask_b32_e32 v1, v1, v2, vcc
	v_cmp_gt_f64_e32 vcc, 0, v[4:5]
	v_mov_b32_e32 v2, v4
	s_nop 0
	v_cndmask_b32_e32 v3, v5, v3, vcc
	v_cmp_gt_f64_e32 vcc, v[0:1], v[2:3]
	s_cbranch_vccnz .LBB65_103
; %bb.101:
	v_cmp_eq_f64_e32 vcc, 0, v[4:5]
	s_mov_b64 s[4:5], 0
	s_cbranch_vccnz .LBB65_175
; %bb.102:
	v_div_scale_f64 v[4:5], s[14:15], v[2:3], v[2:3], v[0:1]
	v_rcp_f64_e32 v[12:13], v[4:5]
	v_div_scale_f64 v[14:15], vcc, v[0:1], v[2:3], v[0:1]
	s_mov_b32 s14, 0
	v_fma_f64 v[22:23], -v[4:5], v[12:13], 1.0
	v_fmac_f64_e32 v[12:13], v[12:13], v[22:23]
	v_fma_f64 v[22:23], -v[4:5], v[12:13], 1.0
	v_fmac_f64_e32 v[12:13], v[12:13], v[22:23]
	v_mul_f64 v[22:23], v[14:15], v[12:13]
	v_fma_f64 v[4:5], -v[4:5], v[22:23], v[14:15]
	v_div_fmas_f64 v[4:5], v[4:5], v[12:13], v[22:23]
	v_div_fixup_f64 v[4:5], v[4:5], v[2:3], v[0:1]
	v_fma_f64 v[4:5], v[4:5], v[4:5], 1.0
	s_brev_b32 s15, 8
	v_cmp_gt_f64_e32 vcc, s[14:15], v[4:5]
	s_and_b64 s[14:15], vcc, exec
	s_cselect_b32 s14, 0x100, 0
	v_ldexp_f64 v[4:5], v[4:5], s14
	v_rsq_f64_e32 v[12:13], v[4:5]
	s_cselect_b32 s14, 0xffffff80, 0
	v_mov_b32_e32 v11, 0x260
	v_cmp_class_f64_e32 vcc, v[4:5], v11
	v_mul_f64 v[14:15], v[4:5], v[12:13]
	v_mul_f64 v[12:13], v[12:13], 0.5
	v_fma_f64 v[22:23], -v[12:13], v[14:15], 0.5
	v_fmac_f64_e32 v[14:15], v[14:15], v[22:23]
	v_fma_f64 v[24:25], -v[14:15], v[14:15], v[4:5]
	v_fmac_f64_e32 v[12:13], v[12:13], v[22:23]
	v_fmac_f64_e32 v[14:15], v[24:25], v[12:13]
	v_fma_f64 v[22:23], -v[14:15], v[14:15], v[4:5]
	v_fmac_f64_e32 v[14:15], v[22:23], v[12:13]
	v_ldexp_f64 v[12:13], v[14:15], s14
	v_cndmask_b32_e32 v5, v13, v5, vcc
	v_cndmask_b32_e32 v4, v12, v4, vcc
	v_mul_f64 v[4:5], v[2:3], v[4:5]
	s_andn2_b64 vcc, exec, s[4:5]
	s_cbranch_vccz .LBB65_104
	s_branch .LBB65_105
.LBB65_103:
                                        ; implicit-def: $vgpr4_vgpr5
.LBB65_104:
	v_div_scale_f64 v[4:5], s[4:5], v[0:1], v[0:1], v[2:3]
	v_rcp_f64_e32 v[12:13], v[4:5]
	v_div_scale_f64 v[14:15], vcc, v[2:3], v[0:1], v[2:3]
	s_mov_b32 s4, 0
	v_fma_f64 v[22:23], -v[4:5], v[12:13], 1.0
	v_fmac_f64_e32 v[12:13], v[12:13], v[22:23]
	v_fma_f64 v[22:23], -v[4:5], v[12:13], 1.0
	v_fmac_f64_e32 v[12:13], v[12:13], v[22:23]
	v_mul_f64 v[22:23], v[14:15], v[12:13]
	v_fma_f64 v[4:5], -v[4:5], v[22:23], v[14:15]
	v_div_fmas_f64 v[4:5], v[4:5], v[12:13], v[22:23]
	v_div_fixup_f64 v[2:3], v[4:5], v[0:1], v[2:3]
	v_fma_f64 v[2:3], v[2:3], v[2:3], 1.0
	s_brev_b32 s5, 8
	v_cmp_gt_f64_e32 vcc, s[4:5], v[2:3]
	s_and_b64 s[4:5], vcc, exec
	s_cselect_b32 s4, 0x100, 0
	v_ldexp_f64 v[2:3], v[2:3], s4
	v_rsq_f64_e32 v[4:5], v[2:3]
	s_cselect_b32 s4, 0xffffff80, 0
	v_mov_b32_e32 v11, 0x260
	v_cmp_class_f64_e32 vcc, v[2:3], v11
	v_mul_f64 v[12:13], v[2:3], v[4:5]
	v_mul_f64 v[4:5], v[4:5], 0.5
	v_fma_f64 v[14:15], -v[4:5], v[12:13], 0.5
	v_fmac_f64_e32 v[12:13], v[12:13], v[14:15]
	v_fma_f64 v[22:23], -v[12:13], v[12:13], v[2:3]
	v_fmac_f64_e32 v[4:5], v[4:5], v[14:15]
	v_fmac_f64_e32 v[12:13], v[22:23], v[4:5]
	v_fma_f64 v[14:15], -v[12:13], v[12:13], v[2:3]
	v_fmac_f64_e32 v[12:13], v[14:15], v[4:5]
	v_ldexp_f64 v[4:5], v[12:13], s4
	v_cndmask_b32_e32 v3, v5, v3, vcc
	v_cndmask_b32_e32 v2, v4, v2, vcc
	v_mul_f64 v[4:5], v[0:1], v[2:3]
.LBB65_105:
	s_mov_b32 s4, 0
	s_brev_b32 s5, 8
	v_cmp_gt_f64_e32 vcc, s[4:5], v[4:5]
	s_and_b64 s[4:5], vcc, exec
	s_cselect_b32 s4, 0x100, 0
	v_ldexp_f64 v[0:1], v[4:5], s4
	v_rsq_f64_e32 v[2:3], v[0:1]
	s_cselect_b32 s4, 0xffffff80, 0
	v_mul_f64 v[4:5], v[0:1], v[2:3]
	v_mul_f64 v[2:3], v[2:3], 0.5
	v_fma_f64 v[12:13], -v[2:3], v[4:5], 0.5
	v_fmac_f64_e32 v[4:5], v[4:5], v[12:13]
	v_fmac_f64_e32 v[2:3], v[2:3], v[12:13]
	v_fma_f64 v[12:13], -v[4:5], v[4:5], v[0:1]
	v_fmac_f64_e32 v[4:5], v[12:13], v[2:3]
	v_fma_f64 v[12:13], -v[4:5], v[4:5], v[0:1]
	v_fmac_f64_e32 v[4:5], v[12:13], v[2:3]
	v_ldexp_f64 v[2:3], v[4:5], s4
	v_mov_b32_e32 v4, 0x260
	v_cmp_class_f64_e32 vcc, v[0:1], v4
	s_nop 1
	v_cndmask_b32_e32 v0, v2, v0, vcc
	v_mov_b32_e32 v2, 0
	v_cndmask_b32_e32 v1, v3, v1, vcc
	v_mov_b32_e32 v3, v2
	ds_write_b128 v2, v[0:3] offset:2080
.LBB65_106:
	s_or_b64 exec, exec, s[2:3]
	v_mov_b32_e32 v0, 0
	s_waitcnt lgkmcnt(0)
	ds_read_b128 v[0:3], v0 offset:2080
	v_mov_b32_e32 v4, 0x3ff00000
	s_waitcnt lgkmcnt(0)
	v_cmp_neq_f64_e32 vcc, 0, v[0:1]
	v_cmp_neq_f64_e64 s[2:3], 0, v[2:3]
	s_or_b64 vcc, vcc, s[2:3]
	v_cndmask_b32_e32 v1, v4, v1, vcc
	s_nor_b64 s[4:5], vcc, s[0:1]
	v_cndmask_b32_e32 v0, 0, v0, vcc
	v_cndmask_b32_e32 v3, 0, v3, vcc
	;; [unrolled: 1-line block ×3, first 2 shown]
	s_and_saveexec_b64 s[2:3], s[4:5]
	s_cbranch_execz .LBB65_110
; %bb.107:
	v_mbcnt_lo_u32_b32 v0, exec_lo, 0
	v_mbcnt_hi_u32_b32 v0, exec_hi, v0
	v_cmp_eq_u32_e32 vcc, 0, v0
	s_and_saveexec_b64 s[4:5], vcc
	s_cbranch_execz .LBB65_109
; %bb.108:
	v_mov_b32_e32 v0, 0
	v_mov_b32_e32 v1, s20
	global_atomic_smin v0, v1, s[10:11]
.LBB65_109:
	s_or_b64 exec, exec, s[4:5]
	v_mov_b64_e32 v[2:3], 0
	v_mov_b64_e32 v[0:1], 1.0
.LBB65_110:
	s_or_b64 exec, exec, s[2:3]
	v_cmp_lt_u32_e32 vcc, 2, v16
	s_and_saveexec_b64 s[2:3], vcc
	s_cbranch_execz .LBB65_112
; %bb.111:
	v_mul_f64 v[4:5], v[2:3], v[2:3]
	v_fmac_f64_e32 v[4:5], v[0:1], v[0:1]
	ds_read_b128 v[12:15], v8 offset:32
	ds_read_b128 v[22:25], v20 offset:32
	v_div_scale_f64 v[26:27], s[4:5], v[4:5], v[4:5], 1.0
	v_rcp_f64_e32 v[28:29], v[26:27]
	s_waitcnt lgkmcnt(0)
	v_add_f64 v[22:23], v[12:13], -v[22:23]
	v_add_f64 v[14:15], v[14:15], -v[24:25]
	v_fma_f64 v[12:13], -v[26:27], v[28:29], 1.0
	v_fmac_f64_e32 v[28:29], v[28:29], v[12:13]
	v_fma_f64 v[12:13], -v[26:27], v[28:29], 1.0
	v_fmac_f64_e32 v[28:29], v[28:29], v[12:13]
	v_div_scale_f64 v[12:13], vcc, 1.0, v[4:5], 1.0
	v_mul_f64 v[24:25], v[12:13], v[28:29]
	v_fma_f64 v[12:13], -v[26:27], v[24:25], v[12:13]
	s_nop 1
	v_div_fmas_f64 v[12:13], v[12:13], v[28:29], v[24:25]
	v_div_fixup_f64 v[4:5], v[12:13], v[4:5], 1.0
	v_mul_f64 v[12:13], v[2:3], v[14:15]
	v_mul_f64 v[2:3], v[2:3], -v[22:23]
	v_fmac_f64_e32 v[12:13], v[22:23], v[0:1]
	v_fmac_f64_e32 v[2:3], v[14:15], v[0:1]
	v_mul_f64 v[12:13], v[4:5], v[12:13]
	v_mul_f64 v[14:15], v[4:5], v[2:3]
	ds_write_b128 v8, v[12:15] offset:32
	s_waitcnt lgkmcnt(0)
	ds_read_b128 v[0:3], v10 offset:32
	ds_read_b128 v[22:25], v19
	s_waitcnt lgkmcnt(0)
	v_fmac_f64_e32 v[22:23], v[12:13], v[0:1]
	v_fmac_f64_e32 v[24:25], v[14:15], v[0:1]
	;; [unrolled: 1-line block ×3, first 2 shown]
	v_fma_f64 v[24:25], v[12:13], -v[2:3], v[24:25]
	ds_write_b128 v19, v[22:25]
.LBB65_112:
	s_or_b64 exec, exec, s[2:3]
	v_cmp_eq_u32_e32 vcc, 3, v16
	s_waitcnt lgkmcnt(0)
	s_and_saveexec_b64 s[2:3], vcc
	s_cbranch_execz .LBB65_119
; %bb.113:
	v_mov_b32_e32 v4, 0
	ds_read_b128 v[0:3], v4 offset:3120
	ds_read_b128 v[12:15], v4 offset:2224
	s_waitcnt lgkmcnt(0)
	v_add_f64 v[0:1], v[12:13], -v[0:1]
	v_add_f64 v[4:5], v[14:15], -v[2:3]
	v_xor_b32_e32 v2, 0x80000000, v1
	v_cmp_gt_f64_e32 vcc, 0, v[0:1]
	v_xor_b32_e32 v3, 0x80000000, v5
	s_nop 0
	v_cndmask_b32_e32 v1, v1, v2, vcc
	v_cmp_gt_f64_e32 vcc, 0, v[4:5]
	v_mov_b32_e32 v2, v4
	s_nop 0
	v_cndmask_b32_e32 v3, v5, v3, vcc
	v_cmp_gt_f64_e32 vcc, v[0:1], v[2:3]
	s_cbranch_vccnz .LBB65_116
; %bb.114:
	v_cmp_eq_f64_e32 vcc, 0, v[4:5]
	s_mov_b64 s[4:5], 0
	s_cbranch_vccnz .LBB65_176
; %bb.115:
	v_div_scale_f64 v[4:5], s[14:15], v[2:3], v[2:3], v[0:1]
	v_rcp_f64_e32 v[12:13], v[4:5]
	v_div_scale_f64 v[14:15], vcc, v[0:1], v[2:3], v[0:1]
	s_mov_b32 s14, 0
	v_fma_f64 v[22:23], -v[4:5], v[12:13], 1.0
	v_fmac_f64_e32 v[12:13], v[12:13], v[22:23]
	v_fma_f64 v[22:23], -v[4:5], v[12:13], 1.0
	v_fmac_f64_e32 v[12:13], v[12:13], v[22:23]
	v_mul_f64 v[22:23], v[14:15], v[12:13]
	v_fma_f64 v[4:5], -v[4:5], v[22:23], v[14:15]
	v_div_fmas_f64 v[4:5], v[4:5], v[12:13], v[22:23]
	v_div_fixup_f64 v[4:5], v[4:5], v[2:3], v[0:1]
	v_fma_f64 v[4:5], v[4:5], v[4:5], 1.0
	s_brev_b32 s15, 8
	v_cmp_gt_f64_e32 vcc, s[14:15], v[4:5]
	s_and_b64 s[14:15], vcc, exec
	s_cselect_b32 s14, 0x100, 0
	v_ldexp_f64 v[4:5], v[4:5], s14
	v_rsq_f64_e32 v[12:13], v[4:5]
	s_cselect_b32 s14, 0xffffff80, 0
	v_mov_b32_e32 v11, 0x260
	v_cmp_class_f64_e32 vcc, v[4:5], v11
	v_mul_f64 v[14:15], v[4:5], v[12:13]
	v_mul_f64 v[12:13], v[12:13], 0.5
	v_fma_f64 v[22:23], -v[12:13], v[14:15], 0.5
	v_fmac_f64_e32 v[14:15], v[14:15], v[22:23]
	v_fma_f64 v[24:25], -v[14:15], v[14:15], v[4:5]
	v_fmac_f64_e32 v[12:13], v[12:13], v[22:23]
	v_fmac_f64_e32 v[14:15], v[24:25], v[12:13]
	v_fma_f64 v[22:23], -v[14:15], v[14:15], v[4:5]
	v_fmac_f64_e32 v[14:15], v[22:23], v[12:13]
	v_ldexp_f64 v[12:13], v[14:15], s14
	v_cndmask_b32_e32 v5, v13, v5, vcc
	v_cndmask_b32_e32 v4, v12, v4, vcc
	v_mul_f64 v[4:5], v[2:3], v[4:5]
	s_andn2_b64 vcc, exec, s[4:5]
	s_cbranch_vccz .LBB65_117
	s_branch .LBB65_118
.LBB65_116:
                                        ; implicit-def: $vgpr4_vgpr5
.LBB65_117:
	v_div_scale_f64 v[4:5], s[4:5], v[0:1], v[0:1], v[2:3]
	v_rcp_f64_e32 v[12:13], v[4:5]
	v_div_scale_f64 v[14:15], vcc, v[2:3], v[0:1], v[2:3]
	s_mov_b32 s4, 0
	v_fma_f64 v[22:23], -v[4:5], v[12:13], 1.0
	v_fmac_f64_e32 v[12:13], v[12:13], v[22:23]
	v_fma_f64 v[22:23], -v[4:5], v[12:13], 1.0
	v_fmac_f64_e32 v[12:13], v[12:13], v[22:23]
	v_mul_f64 v[22:23], v[14:15], v[12:13]
	v_fma_f64 v[4:5], -v[4:5], v[22:23], v[14:15]
	v_div_fmas_f64 v[4:5], v[4:5], v[12:13], v[22:23]
	v_div_fixup_f64 v[2:3], v[4:5], v[0:1], v[2:3]
	v_fma_f64 v[2:3], v[2:3], v[2:3], 1.0
	s_brev_b32 s5, 8
	v_cmp_gt_f64_e32 vcc, s[4:5], v[2:3]
	s_and_b64 s[4:5], vcc, exec
	s_cselect_b32 s4, 0x100, 0
	v_ldexp_f64 v[2:3], v[2:3], s4
	v_rsq_f64_e32 v[4:5], v[2:3]
	s_cselect_b32 s4, 0xffffff80, 0
	v_mov_b32_e32 v11, 0x260
	v_cmp_class_f64_e32 vcc, v[2:3], v11
	v_mul_f64 v[12:13], v[2:3], v[4:5]
	v_mul_f64 v[4:5], v[4:5], 0.5
	v_fma_f64 v[14:15], -v[4:5], v[12:13], 0.5
	v_fmac_f64_e32 v[12:13], v[12:13], v[14:15]
	v_fma_f64 v[22:23], -v[12:13], v[12:13], v[2:3]
	v_fmac_f64_e32 v[4:5], v[4:5], v[14:15]
	v_fmac_f64_e32 v[12:13], v[22:23], v[4:5]
	v_fma_f64 v[14:15], -v[12:13], v[12:13], v[2:3]
	v_fmac_f64_e32 v[12:13], v[14:15], v[4:5]
	v_ldexp_f64 v[4:5], v[12:13], s4
	v_cndmask_b32_e32 v3, v5, v3, vcc
	v_cndmask_b32_e32 v2, v4, v2, vcc
	v_mul_f64 v[4:5], v[0:1], v[2:3]
.LBB65_118:
	s_mov_b32 s4, 0
	s_brev_b32 s5, 8
	v_cmp_gt_f64_e32 vcc, s[4:5], v[4:5]
	s_and_b64 s[4:5], vcc, exec
	s_cselect_b32 s4, 0x100, 0
	v_ldexp_f64 v[0:1], v[4:5], s4
	v_rsq_f64_e32 v[2:3], v[0:1]
	s_cselect_b32 s4, 0xffffff80, 0
	v_mul_f64 v[4:5], v[0:1], v[2:3]
	v_mul_f64 v[2:3], v[2:3], 0.5
	v_fma_f64 v[12:13], -v[2:3], v[4:5], 0.5
	v_fmac_f64_e32 v[4:5], v[4:5], v[12:13]
	v_fmac_f64_e32 v[2:3], v[2:3], v[12:13]
	v_fma_f64 v[12:13], -v[4:5], v[4:5], v[0:1]
	v_fmac_f64_e32 v[4:5], v[12:13], v[2:3]
	v_fma_f64 v[12:13], -v[4:5], v[4:5], v[0:1]
	v_fmac_f64_e32 v[4:5], v[12:13], v[2:3]
	v_ldexp_f64 v[2:3], v[4:5], s4
	v_mov_b32_e32 v4, 0x260
	v_cmp_class_f64_e32 vcc, v[0:1], v4
	s_nop 1
	v_cndmask_b32_e32 v0, v2, v0, vcc
	v_mov_b32_e32 v2, 0
	v_cndmask_b32_e32 v1, v3, v1, vcc
	v_mov_b32_e32 v3, v2
	ds_write_b128 v2, v[0:3] offset:2224
.LBB65_119:
	s_or_b64 exec, exec, s[2:3]
	v_mov_b32_e32 v0, 0
	s_waitcnt lgkmcnt(0)
	ds_read_b128 v[0:3], v0 offset:2224
	v_mov_b32_e32 v4, 0x3ff00000
	s_waitcnt lgkmcnt(0)
	v_cmp_neq_f64_e32 vcc, 0, v[0:1]
	v_cmp_neq_f64_e64 s[2:3], 0, v[2:3]
	s_or_b64 vcc, vcc, s[2:3]
	v_cndmask_b32_e32 v1, v4, v1, vcc
	s_nor_b64 s[4:5], vcc, s[0:1]
	v_cndmask_b32_e32 v0, 0, v0, vcc
	v_cndmask_b32_e32 v3, 0, v3, vcc
	;; [unrolled: 1-line block ×3, first 2 shown]
	s_and_saveexec_b64 s[2:3], s[4:5]
	s_cbranch_execz .LBB65_123
; %bb.120:
	v_mbcnt_lo_u32_b32 v0, exec_lo, 0
	v_mbcnt_hi_u32_b32 v0, exec_hi, v0
	v_cmp_eq_u32_e32 vcc, 0, v0
	s_and_saveexec_b64 s[4:5], vcc
	s_cbranch_execz .LBB65_122
; %bb.121:
	v_mov_b32_e32 v0, 0
	v_mov_b32_e32 v1, s20
	global_atomic_smin v0, v1, s[10:11]
.LBB65_122:
	s_or_b64 exec, exec, s[4:5]
	v_mov_b64_e32 v[2:3], 0
	v_mov_b64_e32 v[0:1], 1.0
.LBB65_123:
	s_or_b64 exec, exec, s[2:3]
	v_cmp_lt_u32_e32 vcc, 3, v16
	s_and_saveexec_b64 s[2:3], vcc
	s_cbranch_execz .LBB65_125
; %bb.124:
	v_mul_f64 v[4:5], v[2:3], v[2:3]
	v_fmac_f64_e32 v[4:5], v[0:1], v[0:1]
	ds_read_b128 v[12:15], v8 offset:48
	ds_read_b128 v[22:25], v20 offset:48
	v_div_scale_f64 v[26:27], s[4:5], v[4:5], v[4:5], 1.0
	v_rcp_f64_e32 v[28:29], v[26:27]
	s_waitcnt lgkmcnt(0)
	v_add_f64 v[22:23], v[12:13], -v[22:23]
	v_add_f64 v[14:15], v[14:15], -v[24:25]
	v_fma_f64 v[12:13], -v[26:27], v[28:29], 1.0
	v_fmac_f64_e32 v[28:29], v[28:29], v[12:13]
	v_fma_f64 v[12:13], -v[26:27], v[28:29], 1.0
	v_fmac_f64_e32 v[28:29], v[28:29], v[12:13]
	v_div_scale_f64 v[12:13], vcc, 1.0, v[4:5], 1.0
	v_mul_f64 v[24:25], v[12:13], v[28:29]
	v_fma_f64 v[12:13], -v[26:27], v[24:25], v[12:13]
	s_nop 1
	v_div_fmas_f64 v[12:13], v[12:13], v[28:29], v[24:25]
	v_div_fixup_f64 v[4:5], v[12:13], v[4:5], 1.0
	v_mul_f64 v[12:13], v[2:3], v[14:15]
	v_mul_f64 v[2:3], v[2:3], -v[22:23]
	v_fmac_f64_e32 v[12:13], v[22:23], v[0:1]
	v_fmac_f64_e32 v[2:3], v[14:15], v[0:1]
	v_mul_f64 v[12:13], v[4:5], v[12:13]
	v_mul_f64 v[14:15], v[4:5], v[2:3]
	ds_write_b128 v8, v[12:15] offset:48
	s_waitcnt lgkmcnt(0)
	ds_read_b128 v[0:3], v10 offset:48
	ds_read_b128 v[22:25], v19
	s_waitcnt lgkmcnt(0)
	v_fmac_f64_e32 v[22:23], v[12:13], v[0:1]
	v_fmac_f64_e32 v[24:25], v[14:15], v[0:1]
	v_fmac_f64_e32 v[22:23], v[14:15], v[2:3]
	v_fma_f64 v[24:25], v[12:13], -v[2:3], v[24:25]
	ds_write_b128 v19, v[22:25]
.LBB65_125:
	s_or_b64 exec, exec, s[2:3]
	v_cmp_eq_u32_e32 vcc, 4, v16
	s_waitcnt lgkmcnt(0)
	s_and_saveexec_b64 s[2:3], vcc
	s_cbranch_execz .LBB65_132
; %bb.126:
	v_mov_b32_e32 v4, 0
	ds_read_b128 v[0:3], v4 offset:3264
	ds_read_b128 v[12:15], v4 offset:2368
	s_waitcnt lgkmcnt(0)
	v_add_f64 v[0:1], v[12:13], -v[0:1]
	v_add_f64 v[4:5], v[14:15], -v[2:3]
	v_xor_b32_e32 v2, 0x80000000, v1
	v_cmp_gt_f64_e32 vcc, 0, v[0:1]
	v_xor_b32_e32 v3, 0x80000000, v5
	s_nop 0
	v_cndmask_b32_e32 v1, v1, v2, vcc
	v_cmp_gt_f64_e32 vcc, 0, v[4:5]
	v_mov_b32_e32 v2, v4
	s_nop 0
	v_cndmask_b32_e32 v3, v5, v3, vcc
	v_cmp_gt_f64_e32 vcc, v[0:1], v[2:3]
	s_cbranch_vccnz .LBB65_129
; %bb.127:
	v_cmp_eq_f64_e32 vcc, 0, v[4:5]
	s_mov_b64 s[4:5], 0
	s_cbranch_vccnz .LBB65_177
; %bb.128:
	v_div_scale_f64 v[4:5], s[14:15], v[2:3], v[2:3], v[0:1]
	v_rcp_f64_e32 v[12:13], v[4:5]
	v_div_scale_f64 v[14:15], vcc, v[0:1], v[2:3], v[0:1]
	s_mov_b32 s14, 0
	v_fma_f64 v[22:23], -v[4:5], v[12:13], 1.0
	v_fmac_f64_e32 v[12:13], v[12:13], v[22:23]
	v_fma_f64 v[22:23], -v[4:5], v[12:13], 1.0
	v_fmac_f64_e32 v[12:13], v[12:13], v[22:23]
	v_mul_f64 v[22:23], v[14:15], v[12:13]
	v_fma_f64 v[4:5], -v[4:5], v[22:23], v[14:15]
	v_div_fmas_f64 v[4:5], v[4:5], v[12:13], v[22:23]
	v_div_fixup_f64 v[4:5], v[4:5], v[2:3], v[0:1]
	v_fma_f64 v[4:5], v[4:5], v[4:5], 1.0
	s_brev_b32 s15, 8
	v_cmp_gt_f64_e32 vcc, s[14:15], v[4:5]
	s_and_b64 s[14:15], vcc, exec
	s_cselect_b32 s14, 0x100, 0
	v_ldexp_f64 v[4:5], v[4:5], s14
	v_rsq_f64_e32 v[12:13], v[4:5]
	s_cselect_b32 s14, 0xffffff80, 0
	v_mov_b32_e32 v11, 0x260
	v_cmp_class_f64_e32 vcc, v[4:5], v11
	v_mul_f64 v[14:15], v[4:5], v[12:13]
	v_mul_f64 v[12:13], v[12:13], 0.5
	v_fma_f64 v[22:23], -v[12:13], v[14:15], 0.5
	v_fmac_f64_e32 v[14:15], v[14:15], v[22:23]
	v_fma_f64 v[24:25], -v[14:15], v[14:15], v[4:5]
	v_fmac_f64_e32 v[12:13], v[12:13], v[22:23]
	v_fmac_f64_e32 v[14:15], v[24:25], v[12:13]
	v_fma_f64 v[22:23], -v[14:15], v[14:15], v[4:5]
	v_fmac_f64_e32 v[14:15], v[22:23], v[12:13]
	v_ldexp_f64 v[12:13], v[14:15], s14
	v_cndmask_b32_e32 v5, v13, v5, vcc
	v_cndmask_b32_e32 v4, v12, v4, vcc
	v_mul_f64 v[4:5], v[2:3], v[4:5]
	s_andn2_b64 vcc, exec, s[4:5]
	s_cbranch_vccz .LBB65_130
	s_branch .LBB65_131
.LBB65_129:
                                        ; implicit-def: $vgpr4_vgpr5
.LBB65_130:
	v_div_scale_f64 v[4:5], s[4:5], v[0:1], v[0:1], v[2:3]
	v_rcp_f64_e32 v[12:13], v[4:5]
	v_div_scale_f64 v[14:15], vcc, v[2:3], v[0:1], v[2:3]
	s_mov_b32 s4, 0
	v_fma_f64 v[22:23], -v[4:5], v[12:13], 1.0
	v_fmac_f64_e32 v[12:13], v[12:13], v[22:23]
	v_fma_f64 v[22:23], -v[4:5], v[12:13], 1.0
	v_fmac_f64_e32 v[12:13], v[12:13], v[22:23]
	v_mul_f64 v[22:23], v[14:15], v[12:13]
	v_fma_f64 v[4:5], -v[4:5], v[22:23], v[14:15]
	v_div_fmas_f64 v[4:5], v[4:5], v[12:13], v[22:23]
	v_div_fixup_f64 v[2:3], v[4:5], v[0:1], v[2:3]
	v_fma_f64 v[2:3], v[2:3], v[2:3], 1.0
	s_brev_b32 s5, 8
	v_cmp_gt_f64_e32 vcc, s[4:5], v[2:3]
	s_and_b64 s[4:5], vcc, exec
	s_cselect_b32 s4, 0x100, 0
	v_ldexp_f64 v[2:3], v[2:3], s4
	v_rsq_f64_e32 v[4:5], v[2:3]
	s_cselect_b32 s4, 0xffffff80, 0
	v_mov_b32_e32 v11, 0x260
	v_cmp_class_f64_e32 vcc, v[2:3], v11
	v_mul_f64 v[12:13], v[2:3], v[4:5]
	v_mul_f64 v[4:5], v[4:5], 0.5
	v_fma_f64 v[14:15], -v[4:5], v[12:13], 0.5
	v_fmac_f64_e32 v[12:13], v[12:13], v[14:15]
	v_fma_f64 v[22:23], -v[12:13], v[12:13], v[2:3]
	v_fmac_f64_e32 v[4:5], v[4:5], v[14:15]
	v_fmac_f64_e32 v[12:13], v[22:23], v[4:5]
	v_fma_f64 v[14:15], -v[12:13], v[12:13], v[2:3]
	v_fmac_f64_e32 v[12:13], v[14:15], v[4:5]
	v_ldexp_f64 v[4:5], v[12:13], s4
	v_cndmask_b32_e32 v3, v5, v3, vcc
	v_cndmask_b32_e32 v2, v4, v2, vcc
	v_mul_f64 v[4:5], v[0:1], v[2:3]
.LBB65_131:
	s_mov_b32 s4, 0
	s_brev_b32 s5, 8
	v_cmp_gt_f64_e32 vcc, s[4:5], v[4:5]
	s_and_b64 s[4:5], vcc, exec
	s_cselect_b32 s4, 0x100, 0
	v_ldexp_f64 v[0:1], v[4:5], s4
	v_rsq_f64_e32 v[2:3], v[0:1]
	s_cselect_b32 s4, 0xffffff80, 0
	v_mul_f64 v[4:5], v[0:1], v[2:3]
	v_mul_f64 v[2:3], v[2:3], 0.5
	v_fma_f64 v[12:13], -v[2:3], v[4:5], 0.5
	v_fmac_f64_e32 v[4:5], v[4:5], v[12:13]
	v_fmac_f64_e32 v[2:3], v[2:3], v[12:13]
	v_fma_f64 v[12:13], -v[4:5], v[4:5], v[0:1]
	v_fmac_f64_e32 v[4:5], v[12:13], v[2:3]
	v_fma_f64 v[12:13], -v[4:5], v[4:5], v[0:1]
	v_fmac_f64_e32 v[4:5], v[12:13], v[2:3]
	v_ldexp_f64 v[2:3], v[4:5], s4
	v_mov_b32_e32 v4, 0x260
	v_cmp_class_f64_e32 vcc, v[0:1], v4
	s_nop 1
	v_cndmask_b32_e32 v0, v2, v0, vcc
	v_mov_b32_e32 v2, 0
	v_cndmask_b32_e32 v1, v3, v1, vcc
	v_mov_b32_e32 v3, v2
	ds_write_b128 v2, v[0:3] offset:2368
.LBB65_132:
	s_or_b64 exec, exec, s[2:3]
	v_mov_b32_e32 v0, 0
	s_waitcnt lgkmcnt(0)
	ds_read_b128 v[0:3], v0 offset:2368
	v_mov_b32_e32 v4, 0x3ff00000
	s_waitcnt lgkmcnt(0)
	v_cmp_neq_f64_e32 vcc, 0, v[0:1]
	v_cmp_neq_f64_e64 s[2:3], 0, v[2:3]
	s_or_b64 vcc, vcc, s[2:3]
	v_cndmask_b32_e32 v1, v4, v1, vcc
	s_nor_b64 s[4:5], vcc, s[0:1]
	v_cndmask_b32_e32 v0, 0, v0, vcc
	v_cndmask_b32_e32 v3, 0, v3, vcc
	;; [unrolled: 1-line block ×3, first 2 shown]
	s_and_saveexec_b64 s[2:3], s[4:5]
	s_cbranch_execz .LBB65_136
; %bb.133:
	v_mbcnt_lo_u32_b32 v0, exec_lo, 0
	v_mbcnt_hi_u32_b32 v0, exec_hi, v0
	v_cmp_eq_u32_e32 vcc, 0, v0
	s_and_saveexec_b64 s[4:5], vcc
	s_cbranch_execz .LBB65_135
; %bb.134:
	v_mov_b32_e32 v0, 0
	v_mov_b32_e32 v1, s20
	global_atomic_smin v0, v1, s[10:11]
.LBB65_135:
	s_or_b64 exec, exec, s[4:5]
	v_mov_b64_e32 v[2:3], 0
	v_mov_b64_e32 v[0:1], 1.0
.LBB65_136:
	s_or_b64 exec, exec, s[2:3]
	v_cmp_lt_u32_e32 vcc, 4, v16
	s_and_saveexec_b64 s[2:3], vcc
	s_cbranch_execz .LBB65_138
; %bb.137:
	v_mul_f64 v[4:5], v[2:3], v[2:3]
	v_fmac_f64_e32 v[4:5], v[0:1], v[0:1]
	ds_read_b128 v[12:15], v8 offset:64
	ds_read_b128 v[22:25], v20 offset:64
	v_div_scale_f64 v[26:27], s[4:5], v[4:5], v[4:5], 1.0
	v_rcp_f64_e32 v[28:29], v[26:27]
	s_waitcnt lgkmcnt(0)
	v_add_f64 v[22:23], v[12:13], -v[22:23]
	v_add_f64 v[14:15], v[14:15], -v[24:25]
	v_fma_f64 v[12:13], -v[26:27], v[28:29], 1.0
	v_fmac_f64_e32 v[28:29], v[28:29], v[12:13]
	v_fma_f64 v[12:13], -v[26:27], v[28:29], 1.0
	v_fmac_f64_e32 v[28:29], v[28:29], v[12:13]
	v_div_scale_f64 v[12:13], vcc, 1.0, v[4:5], 1.0
	v_mul_f64 v[24:25], v[12:13], v[28:29]
	v_fma_f64 v[12:13], -v[26:27], v[24:25], v[12:13]
	s_nop 1
	v_div_fmas_f64 v[12:13], v[12:13], v[28:29], v[24:25]
	v_div_fixup_f64 v[4:5], v[12:13], v[4:5], 1.0
	v_mul_f64 v[12:13], v[2:3], v[14:15]
	v_mul_f64 v[2:3], v[2:3], -v[22:23]
	v_fmac_f64_e32 v[12:13], v[22:23], v[0:1]
	v_fmac_f64_e32 v[2:3], v[14:15], v[0:1]
	v_mul_f64 v[12:13], v[4:5], v[12:13]
	v_mul_f64 v[14:15], v[4:5], v[2:3]
	ds_write_b128 v8, v[12:15] offset:64
	s_waitcnt lgkmcnt(0)
	ds_read_b128 v[0:3], v10 offset:64
	ds_read_b128 v[22:25], v19
	s_waitcnt lgkmcnt(0)
	v_fmac_f64_e32 v[22:23], v[12:13], v[0:1]
	v_fmac_f64_e32 v[24:25], v[14:15], v[0:1]
	;; [unrolled: 1-line block ×3, first 2 shown]
	v_fma_f64 v[24:25], v[12:13], -v[2:3], v[24:25]
	ds_write_b128 v19, v[22:25]
.LBB65_138:
	s_or_b64 exec, exec, s[2:3]
	v_cmp_eq_u32_e32 vcc, 5, v16
	s_waitcnt lgkmcnt(0)
	s_and_saveexec_b64 s[2:3], vcc
	s_cbranch_execz .LBB65_145
; %bb.139:
	v_mov_b32_e32 v4, 0
	ds_read_b128 v[0:3], v4 offset:3408
	ds_read_b128 v[12:15], v4 offset:2512
	s_waitcnt lgkmcnt(0)
	v_add_f64 v[0:1], v[12:13], -v[0:1]
	v_add_f64 v[4:5], v[14:15], -v[2:3]
	v_xor_b32_e32 v2, 0x80000000, v1
	v_cmp_gt_f64_e32 vcc, 0, v[0:1]
	v_xor_b32_e32 v3, 0x80000000, v5
	s_nop 0
	v_cndmask_b32_e32 v1, v1, v2, vcc
	v_cmp_gt_f64_e32 vcc, 0, v[4:5]
	v_mov_b32_e32 v2, v4
	s_nop 0
	v_cndmask_b32_e32 v3, v5, v3, vcc
	v_cmp_gt_f64_e32 vcc, v[0:1], v[2:3]
	s_cbranch_vccnz .LBB65_142
; %bb.140:
	v_cmp_eq_f64_e32 vcc, 0, v[4:5]
	s_mov_b64 s[4:5], 0
	s_cbranch_vccnz .LBB65_178
; %bb.141:
	v_div_scale_f64 v[4:5], s[14:15], v[2:3], v[2:3], v[0:1]
	v_rcp_f64_e32 v[12:13], v[4:5]
	v_div_scale_f64 v[14:15], vcc, v[0:1], v[2:3], v[0:1]
	s_mov_b32 s14, 0
	v_fma_f64 v[22:23], -v[4:5], v[12:13], 1.0
	v_fmac_f64_e32 v[12:13], v[12:13], v[22:23]
	v_fma_f64 v[22:23], -v[4:5], v[12:13], 1.0
	v_fmac_f64_e32 v[12:13], v[12:13], v[22:23]
	v_mul_f64 v[22:23], v[14:15], v[12:13]
	v_fma_f64 v[4:5], -v[4:5], v[22:23], v[14:15]
	v_div_fmas_f64 v[4:5], v[4:5], v[12:13], v[22:23]
	v_div_fixup_f64 v[4:5], v[4:5], v[2:3], v[0:1]
	v_fma_f64 v[4:5], v[4:5], v[4:5], 1.0
	s_brev_b32 s15, 8
	v_cmp_gt_f64_e32 vcc, s[14:15], v[4:5]
	s_and_b64 s[14:15], vcc, exec
	s_cselect_b32 s14, 0x100, 0
	v_ldexp_f64 v[4:5], v[4:5], s14
	v_rsq_f64_e32 v[12:13], v[4:5]
	s_cselect_b32 s14, 0xffffff80, 0
	v_mov_b32_e32 v11, 0x260
	v_cmp_class_f64_e32 vcc, v[4:5], v11
	v_mul_f64 v[14:15], v[4:5], v[12:13]
	v_mul_f64 v[12:13], v[12:13], 0.5
	v_fma_f64 v[22:23], -v[12:13], v[14:15], 0.5
	v_fmac_f64_e32 v[14:15], v[14:15], v[22:23]
	v_fma_f64 v[24:25], -v[14:15], v[14:15], v[4:5]
	v_fmac_f64_e32 v[12:13], v[12:13], v[22:23]
	v_fmac_f64_e32 v[14:15], v[24:25], v[12:13]
	v_fma_f64 v[22:23], -v[14:15], v[14:15], v[4:5]
	v_fmac_f64_e32 v[14:15], v[22:23], v[12:13]
	v_ldexp_f64 v[12:13], v[14:15], s14
	v_cndmask_b32_e32 v5, v13, v5, vcc
	v_cndmask_b32_e32 v4, v12, v4, vcc
	v_mul_f64 v[4:5], v[2:3], v[4:5]
	s_andn2_b64 vcc, exec, s[4:5]
	s_cbranch_vccz .LBB65_143
	s_branch .LBB65_144
.LBB65_142:
                                        ; implicit-def: $vgpr4_vgpr5
.LBB65_143:
	v_div_scale_f64 v[4:5], s[4:5], v[0:1], v[0:1], v[2:3]
	v_rcp_f64_e32 v[12:13], v[4:5]
	v_div_scale_f64 v[14:15], vcc, v[2:3], v[0:1], v[2:3]
	s_mov_b32 s4, 0
	v_fma_f64 v[22:23], -v[4:5], v[12:13], 1.0
	v_fmac_f64_e32 v[12:13], v[12:13], v[22:23]
	v_fma_f64 v[22:23], -v[4:5], v[12:13], 1.0
	v_fmac_f64_e32 v[12:13], v[12:13], v[22:23]
	v_mul_f64 v[22:23], v[14:15], v[12:13]
	v_fma_f64 v[4:5], -v[4:5], v[22:23], v[14:15]
	v_div_fmas_f64 v[4:5], v[4:5], v[12:13], v[22:23]
	v_div_fixup_f64 v[2:3], v[4:5], v[0:1], v[2:3]
	v_fma_f64 v[2:3], v[2:3], v[2:3], 1.0
	s_brev_b32 s5, 8
	v_cmp_gt_f64_e32 vcc, s[4:5], v[2:3]
	s_and_b64 s[4:5], vcc, exec
	s_cselect_b32 s4, 0x100, 0
	v_ldexp_f64 v[2:3], v[2:3], s4
	v_rsq_f64_e32 v[4:5], v[2:3]
	s_cselect_b32 s4, 0xffffff80, 0
	v_mov_b32_e32 v11, 0x260
	v_cmp_class_f64_e32 vcc, v[2:3], v11
	v_mul_f64 v[12:13], v[2:3], v[4:5]
	v_mul_f64 v[4:5], v[4:5], 0.5
	v_fma_f64 v[14:15], -v[4:5], v[12:13], 0.5
	v_fmac_f64_e32 v[12:13], v[12:13], v[14:15]
	v_fma_f64 v[22:23], -v[12:13], v[12:13], v[2:3]
	v_fmac_f64_e32 v[4:5], v[4:5], v[14:15]
	v_fmac_f64_e32 v[12:13], v[22:23], v[4:5]
	v_fma_f64 v[14:15], -v[12:13], v[12:13], v[2:3]
	v_fmac_f64_e32 v[12:13], v[14:15], v[4:5]
	v_ldexp_f64 v[4:5], v[12:13], s4
	v_cndmask_b32_e32 v3, v5, v3, vcc
	v_cndmask_b32_e32 v2, v4, v2, vcc
	v_mul_f64 v[4:5], v[0:1], v[2:3]
.LBB65_144:
	s_mov_b32 s4, 0
	s_brev_b32 s5, 8
	v_cmp_gt_f64_e32 vcc, s[4:5], v[4:5]
	s_and_b64 s[4:5], vcc, exec
	s_cselect_b32 s4, 0x100, 0
	v_ldexp_f64 v[0:1], v[4:5], s4
	v_rsq_f64_e32 v[2:3], v[0:1]
	s_cselect_b32 s4, 0xffffff80, 0
	v_mul_f64 v[4:5], v[0:1], v[2:3]
	v_mul_f64 v[2:3], v[2:3], 0.5
	v_fma_f64 v[12:13], -v[2:3], v[4:5], 0.5
	v_fmac_f64_e32 v[4:5], v[4:5], v[12:13]
	v_fmac_f64_e32 v[2:3], v[2:3], v[12:13]
	v_fma_f64 v[12:13], -v[4:5], v[4:5], v[0:1]
	v_fmac_f64_e32 v[4:5], v[12:13], v[2:3]
	v_fma_f64 v[12:13], -v[4:5], v[4:5], v[0:1]
	v_fmac_f64_e32 v[4:5], v[12:13], v[2:3]
	v_ldexp_f64 v[2:3], v[4:5], s4
	v_mov_b32_e32 v4, 0x260
	v_cmp_class_f64_e32 vcc, v[0:1], v4
	s_nop 1
	v_cndmask_b32_e32 v0, v2, v0, vcc
	v_mov_b32_e32 v2, 0
	v_cndmask_b32_e32 v1, v3, v1, vcc
	v_mov_b32_e32 v3, v2
	ds_write_b128 v2, v[0:3] offset:2512
.LBB65_145:
	s_or_b64 exec, exec, s[2:3]
	v_mov_b32_e32 v0, 0
	s_waitcnt lgkmcnt(0)
	ds_read_b128 v[0:3], v0 offset:2512
	v_mov_b32_e32 v4, 0x3ff00000
	s_waitcnt lgkmcnt(0)
	v_cmp_neq_f64_e32 vcc, 0, v[0:1]
	v_cmp_neq_f64_e64 s[2:3], 0, v[2:3]
	s_or_b64 vcc, vcc, s[2:3]
	v_cndmask_b32_e32 v1, v4, v1, vcc
	s_nor_b64 s[4:5], vcc, s[0:1]
	v_cndmask_b32_e32 v0, 0, v0, vcc
	v_cndmask_b32_e32 v3, 0, v3, vcc
	;; [unrolled: 1-line block ×3, first 2 shown]
	s_and_saveexec_b64 s[2:3], s[4:5]
	s_cbranch_execz .LBB65_149
; %bb.146:
	v_mbcnt_lo_u32_b32 v0, exec_lo, 0
	v_mbcnt_hi_u32_b32 v0, exec_hi, v0
	v_cmp_eq_u32_e32 vcc, 0, v0
	s_and_saveexec_b64 s[4:5], vcc
	s_cbranch_execz .LBB65_148
; %bb.147:
	v_mov_b32_e32 v0, 0
	v_mov_b32_e32 v1, s20
	global_atomic_smin v0, v1, s[10:11]
.LBB65_148:
	s_or_b64 exec, exec, s[4:5]
	v_mov_b64_e32 v[2:3], 0
	v_mov_b64_e32 v[0:1], 1.0
.LBB65_149:
	s_or_b64 exec, exec, s[2:3]
	v_cmp_lt_u32_e32 vcc, 5, v16
	s_and_saveexec_b64 s[2:3], vcc
	s_cbranch_execz .LBB65_151
; %bb.150:
	v_mul_f64 v[4:5], v[2:3], v[2:3]
	v_fmac_f64_e32 v[4:5], v[0:1], v[0:1]
	ds_read_b128 v[12:15], v8 offset:80
	ds_read_b128 v[22:25], v20 offset:80
	v_div_scale_f64 v[26:27], s[4:5], v[4:5], v[4:5], 1.0
	v_rcp_f64_e32 v[28:29], v[26:27]
	s_waitcnt lgkmcnt(0)
	v_add_f64 v[22:23], v[12:13], -v[22:23]
	v_add_f64 v[14:15], v[14:15], -v[24:25]
	v_fma_f64 v[12:13], -v[26:27], v[28:29], 1.0
	v_fmac_f64_e32 v[28:29], v[28:29], v[12:13]
	v_fma_f64 v[12:13], -v[26:27], v[28:29], 1.0
	v_fmac_f64_e32 v[28:29], v[28:29], v[12:13]
	v_div_scale_f64 v[12:13], vcc, 1.0, v[4:5], 1.0
	v_mul_f64 v[24:25], v[12:13], v[28:29]
	v_fma_f64 v[12:13], -v[26:27], v[24:25], v[12:13]
	s_nop 1
	v_div_fmas_f64 v[12:13], v[12:13], v[28:29], v[24:25]
	v_div_fixup_f64 v[4:5], v[12:13], v[4:5], 1.0
	v_mul_f64 v[12:13], v[2:3], v[14:15]
	v_mul_f64 v[2:3], v[2:3], -v[22:23]
	v_fmac_f64_e32 v[12:13], v[22:23], v[0:1]
	v_fmac_f64_e32 v[2:3], v[14:15], v[0:1]
	v_mul_f64 v[12:13], v[4:5], v[12:13]
	v_mul_f64 v[14:15], v[4:5], v[2:3]
	ds_write_b128 v8, v[12:15] offset:80
	s_waitcnt lgkmcnt(0)
	ds_read_b128 v[0:3], v10 offset:80
	ds_read_b128 v[22:25], v19
	s_waitcnt lgkmcnt(0)
	v_fmac_f64_e32 v[22:23], v[12:13], v[0:1]
	v_fmac_f64_e32 v[24:25], v[14:15], v[0:1]
	v_fmac_f64_e32 v[22:23], v[14:15], v[2:3]
	v_fma_f64 v[24:25], v[12:13], -v[2:3], v[24:25]
	ds_write_b128 v19, v[22:25]
.LBB65_151:
	s_or_b64 exec, exec, s[2:3]
	v_cmp_eq_u32_e32 vcc, 6, v16
	s_waitcnt lgkmcnt(0)
	s_and_saveexec_b64 s[2:3], vcc
	s_cbranch_execz .LBB65_158
; %bb.152:
	v_mov_b32_e32 v4, 0
	ds_read_b128 v[0:3], v4 offset:3552
	ds_read_b128 v[12:15], v4 offset:2656
	s_waitcnt lgkmcnt(0)
	v_add_f64 v[0:1], v[12:13], -v[0:1]
	v_add_f64 v[4:5], v[14:15], -v[2:3]
	v_xor_b32_e32 v2, 0x80000000, v1
	v_cmp_gt_f64_e32 vcc, 0, v[0:1]
	v_xor_b32_e32 v3, 0x80000000, v5
	s_nop 0
	v_cndmask_b32_e32 v1, v1, v2, vcc
	v_cmp_gt_f64_e32 vcc, 0, v[4:5]
	v_mov_b32_e32 v2, v4
	s_nop 0
	v_cndmask_b32_e32 v3, v5, v3, vcc
	v_cmp_gt_f64_e32 vcc, v[0:1], v[2:3]
	s_cbranch_vccnz .LBB65_155
; %bb.153:
	v_cmp_eq_f64_e32 vcc, 0, v[4:5]
	s_mov_b64 s[4:5], 0
	s_cbranch_vccnz .LBB65_179
; %bb.154:
	v_div_scale_f64 v[4:5], s[14:15], v[2:3], v[2:3], v[0:1]
	v_rcp_f64_e32 v[12:13], v[4:5]
	v_div_scale_f64 v[14:15], vcc, v[0:1], v[2:3], v[0:1]
	s_mov_b32 s14, 0
	v_fma_f64 v[22:23], -v[4:5], v[12:13], 1.0
	v_fmac_f64_e32 v[12:13], v[12:13], v[22:23]
	v_fma_f64 v[22:23], -v[4:5], v[12:13], 1.0
	v_fmac_f64_e32 v[12:13], v[12:13], v[22:23]
	v_mul_f64 v[22:23], v[14:15], v[12:13]
	v_fma_f64 v[4:5], -v[4:5], v[22:23], v[14:15]
	v_div_fmas_f64 v[4:5], v[4:5], v[12:13], v[22:23]
	v_div_fixup_f64 v[4:5], v[4:5], v[2:3], v[0:1]
	v_fma_f64 v[4:5], v[4:5], v[4:5], 1.0
	s_brev_b32 s15, 8
	v_cmp_gt_f64_e32 vcc, s[14:15], v[4:5]
	s_and_b64 s[14:15], vcc, exec
	s_cselect_b32 s14, 0x100, 0
	v_ldexp_f64 v[4:5], v[4:5], s14
	v_rsq_f64_e32 v[12:13], v[4:5]
	s_cselect_b32 s14, 0xffffff80, 0
	v_mov_b32_e32 v11, 0x260
	v_cmp_class_f64_e32 vcc, v[4:5], v11
	v_mul_f64 v[14:15], v[4:5], v[12:13]
	v_mul_f64 v[12:13], v[12:13], 0.5
	v_fma_f64 v[22:23], -v[12:13], v[14:15], 0.5
	v_fmac_f64_e32 v[14:15], v[14:15], v[22:23]
	v_fma_f64 v[24:25], -v[14:15], v[14:15], v[4:5]
	v_fmac_f64_e32 v[12:13], v[12:13], v[22:23]
	v_fmac_f64_e32 v[14:15], v[24:25], v[12:13]
	v_fma_f64 v[22:23], -v[14:15], v[14:15], v[4:5]
	v_fmac_f64_e32 v[14:15], v[22:23], v[12:13]
	v_ldexp_f64 v[12:13], v[14:15], s14
	v_cndmask_b32_e32 v5, v13, v5, vcc
	v_cndmask_b32_e32 v4, v12, v4, vcc
	v_mul_f64 v[4:5], v[2:3], v[4:5]
	s_andn2_b64 vcc, exec, s[4:5]
	s_cbranch_vccz .LBB65_156
	s_branch .LBB65_157
.LBB65_155:
                                        ; implicit-def: $vgpr4_vgpr5
.LBB65_156:
	v_div_scale_f64 v[4:5], s[4:5], v[0:1], v[0:1], v[2:3]
	v_rcp_f64_e32 v[12:13], v[4:5]
	v_div_scale_f64 v[14:15], vcc, v[2:3], v[0:1], v[2:3]
	s_mov_b32 s4, 0
	v_fma_f64 v[22:23], -v[4:5], v[12:13], 1.0
	v_fmac_f64_e32 v[12:13], v[12:13], v[22:23]
	v_fma_f64 v[22:23], -v[4:5], v[12:13], 1.0
	v_fmac_f64_e32 v[12:13], v[12:13], v[22:23]
	v_mul_f64 v[22:23], v[14:15], v[12:13]
	v_fma_f64 v[4:5], -v[4:5], v[22:23], v[14:15]
	v_div_fmas_f64 v[4:5], v[4:5], v[12:13], v[22:23]
	v_div_fixup_f64 v[2:3], v[4:5], v[0:1], v[2:3]
	v_fma_f64 v[2:3], v[2:3], v[2:3], 1.0
	s_brev_b32 s5, 8
	v_cmp_gt_f64_e32 vcc, s[4:5], v[2:3]
	s_and_b64 s[4:5], vcc, exec
	s_cselect_b32 s4, 0x100, 0
	v_ldexp_f64 v[2:3], v[2:3], s4
	v_rsq_f64_e32 v[4:5], v[2:3]
	s_cselect_b32 s4, 0xffffff80, 0
	v_mov_b32_e32 v11, 0x260
	v_cmp_class_f64_e32 vcc, v[2:3], v11
	v_mul_f64 v[12:13], v[2:3], v[4:5]
	v_mul_f64 v[4:5], v[4:5], 0.5
	v_fma_f64 v[14:15], -v[4:5], v[12:13], 0.5
	v_fmac_f64_e32 v[12:13], v[12:13], v[14:15]
	v_fma_f64 v[22:23], -v[12:13], v[12:13], v[2:3]
	v_fmac_f64_e32 v[4:5], v[4:5], v[14:15]
	v_fmac_f64_e32 v[12:13], v[22:23], v[4:5]
	v_fma_f64 v[14:15], -v[12:13], v[12:13], v[2:3]
	v_fmac_f64_e32 v[12:13], v[14:15], v[4:5]
	v_ldexp_f64 v[4:5], v[12:13], s4
	v_cndmask_b32_e32 v3, v5, v3, vcc
	v_cndmask_b32_e32 v2, v4, v2, vcc
	v_mul_f64 v[4:5], v[0:1], v[2:3]
.LBB65_157:
	s_mov_b32 s4, 0
	s_brev_b32 s5, 8
	v_cmp_gt_f64_e32 vcc, s[4:5], v[4:5]
	s_and_b64 s[4:5], vcc, exec
	s_cselect_b32 s4, 0x100, 0
	v_ldexp_f64 v[0:1], v[4:5], s4
	v_rsq_f64_e32 v[2:3], v[0:1]
	s_cselect_b32 s4, 0xffffff80, 0
	v_mul_f64 v[4:5], v[0:1], v[2:3]
	v_mul_f64 v[2:3], v[2:3], 0.5
	v_fma_f64 v[12:13], -v[2:3], v[4:5], 0.5
	v_fmac_f64_e32 v[4:5], v[4:5], v[12:13]
	v_fmac_f64_e32 v[2:3], v[2:3], v[12:13]
	v_fma_f64 v[12:13], -v[4:5], v[4:5], v[0:1]
	v_fmac_f64_e32 v[4:5], v[12:13], v[2:3]
	v_fma_f64 v[12:13], -v[4:5], v[4:5], v[0:1]
	v_fmac_f64_e32 v[4:5], v[12:13], v[2:3]
	v_ldexp_f64 v[2:3], v[4:5], s4
	v_mov_b32_e32 v4, 0x260
	v_cmp_class_f64_e32 vcc, v[0:1], v4
	s_nop 1
	v_cndmask_b32_e32 v0, v2, v0, vcc
	v_mov_b32_e32 v2, 0
	v_cndmask_b32_e32 v1, v3, v1, vcc
	v_mov_b32_e32 v3, v2
	ds_write_b128 v2, v[0:3] offset:2656
.LBB65_158:
	s_or_b64 exec, exec, s[2:3]
	v_mov_b32_e32 v0, 0
	s_waitcnt lgkmcnt(0)
	ds_read_b128 v[0:3], v0 offset:2656
	v_mov_b32_e32 v4, 0x3ff00000
	s_waitcnt lgkmcnt(0)
	v_cmp_neq_f64_e32 vcc, 0, v[0:1]
	v_cmp_neq_f64_e64 s[2:3], 0, v[2:3]
	s_or_b64 vcc, vcc, s[2:3]
	v_cndmask_b32_e32 v1, v4, v1, vcc
	s_nor_b64 s[2:3], vcc, s[0:1]
	v_cndmask_b32_e32 v0, 0, v0, vcc
	v_cndmask_b32_e32 v3, 0, v3, vcc
	;; [unrolled: 1-line block ×3, first 2 shown]
	s_and_saveexec_b64 s[0:1], s[2:3]
	s_cbranch_execz .LBB65_171
; %bb.159:
	v_mbcnt_lo_u32_b32 v0, exec_lo, 0
	v_mbcnt_hi_u32_b32 v0, exec_hi, v0
	v_cmp_eq_u32_e32 vcc, 0, v0
	s_and_saveexec_b64 s[2:3], vcc
	s_cbranch_execz .LBB65_161
; %bb.160:
	v_mov_b32_e32 v0, 0
	v_mov_b32_e32 v1, s20
	global_atomic_smin v0, v1, s[10:11]
.LBB65_161:
	s_or_b64 exec, exec, s[2:3]
	v_mov_b64_e32 v[2:3], 0
	v_mov_b64_e32 v[0:1], 1.0
	s_or_b64 exec, exec, s[0:1]
	v_cmp_lt_u32_e32 vcc, 6, v16
	s_and_saveexec_b64 s[0:1], vcc
	s_cbranch_execnz .LBB65_172
.LBB65_162:
	s_or_b64 exec, exec, s[0:1]
	s_andn2_b64 vcc, exec, s[12:13]
	s_cbranch_vccnz .LBB65_164
.LBB65_163:
	v_mov_b32_e32 v17, v18
.LBB65_164:
	ds_read2_b64 v[0:3], v6 offset1:1
	v_add_u32_e32 v4, s30, v17
	v_ashrrev_i32_e32 v5, 31, v4
	v_lshl_add_u64 v[4:5], v[4:5], 4, s[18:19]
	v_cmp_eq_u32_e32 vcc, 0, v9
	s_waitcnt lgkmcnt(0)
	global_store_dwordx4 v[4:5], v[0:3], off
	s_and_saveexec_b64 s[0:1], vcc
	s_cbranch_execz .LBB65_166
; %bb.165:
	s_add_u32 s2, s6, s8
	s_addc_u32 s3, s7, s9
	v_mov_b32_e32 v0, 0
	v_mov_b32_e32 v1, 1
	buffer_wbl2 sc1
	s_waitcnt vmcnt(0)
	global_store_dword v0, v1, s[2:3] sc1
.LBB65_166:
	s_or_b64 exec, exec, s[0:1]
	s_branch .LBB65_76
.LBB65_167:
	v_or_b32_e32 v0, v7, v16
	v_cmp_eq_u32_e32 vcc, 0, v0
	s_and_saveexec_b64 s[0:1], vcc
	s_cbranch_execz .LBB65_76
; %bb.168:
	v_mbcnt_lo_u32_b32 v0, exec_lo, 0
	v_mbcnt_hi_u32_b32 v0, exec_hi, v0
	v_cmp_eq_u32_e32 vcc, 0, v0
	s_and_saveexec_b64 s[0:1], vcc
	s_cbranch_execz .LBB65_170
; %bb.169:
	s_add_i32 s2, s16, s17
	v_mov_b32_e32 v0, 0
	v_mov_b32_e32 v1, s2
	global_atomic_smin v0, v1, s[10:11]
.LBB65_170:
	s_or_b64 exec, exec, s[0:1]
	s_add_u32 s0, s6, s8
	s_addc_u32 s1, s7, s9
	v_mov_b32_e32 v0, 0
	v_mov_b32_e32 v1, 1
	buffer_wbl2 sc1
	s_waitcnt vmcnt(0)
	global_store_dword v0, v1, s[0:1] sc1
	s_endpgm
.LBB65_171:
	s_or_b64 exec, exec, s[0:1]
	v_cmp_lt_u32_e32 vcc, 6, v16
	s_and_saveexec_b64 s[0:1], vcc
	s_cbranch_execz .LBB65_162
.LBB65_172:
	v_mul_f64 v[4:5], v[2:3], v[2:3]
	v_fmac_f64_e32 v[4:5], v[0:1], v[0:1]
	ds_read_b128 v[12:15], v8 offset:96
	ds_read_b128 v[20:23], v20 offset:96
	v_div_scale_f64 v[24:25], s[2:3], v[4:5], v[4:5], 1.0
	v_rcp_f64_e32 v[26:27], v[24:25]
	s_waitcnt lgkmcnt(0)
	v_add_f64 v[20:21], v[12:13], -v[20:21]
	v_add_f64 v[14:15], v[14:15], -v[22:23]
	v_fma_f64 v[12:13], -v[24:25], v[26:27], 1.0
	v_fmac_f64_e32 v[26:27], v[26:27], v[12:13]
	v_fma_f64 v[12:13], -v[24:25], v[26:27], 1.0
	v_fmac_f64_e32 v[26:27], v[26:27], v[12:13]
	v_div_scale_f64 v[12:13], vcc, 1.0, v[4:5], 1.0
	v_mul_f64 v[22:23], v[12:13], v[26:27]
	v_fma_f64 v[12:13], -v[24:25], v[22:23], v[12:13]
	s_nop 1
	v_div_fmas_f64 v[12:13], v[12:13], v[26:27], v[22:23]
	v_div_fixup_f64 v[4:5], v[12:13], v[4:5], 1.0
	v_mul_f64 v[12:13], v[2:3], v[14:15]
	v_mul_f64 v[2:3], v[2:3], -v[20:21]
	v_fmac_f64_e32 v[12:13], v[20:21], v[0:1]
	v_fmac_f64_e32 v[2:3], v[14:15], v[0:1]
	v_mul_f64 v[12:13], v[4:5], v[12:13]
	v_mul_f64 v[14:15], v[4:5], v[2:3]
	ds_write_b128 v8, v[12:15] offset:96
	s_waitcnt lgkmcnt(0)
	ds_read_b128 v[0:3], v10 offset:96
	ds_read_b128 v[20:23], v19
	s_waitcnt lgkmcnt(0)
	v_fmac_f64_e32 v[20:21], v[12:13], v[0:1]
	v_fmac_f64_e32 v[22:23], v[14:15], v[0:1]
	;; [unrolled: 1-line block ×3, first 2 shown]
	v_fma_f64 v[22:23], v[12:13], -v[2:3], v[22:23]
	ds_write_b128 v19, v[20:23]
	s_or_b64 exec, exec, s[0:1]
	s_andn2_b64 vcc, exec, s[12:13]
	s_waitcnt lgkmcnt(0)
	s_cbranch_vccz .LBB65_163
	s_branch .LBB65_164
.LBB65_173:
	v_mov_b64_e32 v[4:5], 0
	s_andn2_b64 vcc, exec, s[4:5]
	s_cbranch_vccz .LBB65_78
	s_branch .LBB65_79
.LBB65_174:
	v_mov_b64_e32 v[4:5], 0
	s_andn2_b64 vcc, exec, s[4:5]
	s_cbranch_vccz .LBB65_91
	s_branch .LBB65_92
.LBB65_175:
	v_mov_b64_e32 v[4:5], 0
	s_andn2_b64 vcc, exec, s[4:5]
	s_cbranch_vccz .LBB65_104
	s_branch .LBB65_105
.LBB65_176:
	v_mov_b64_e32 v[4:5], 0
	s_andn2_b64 vcc, exec, s[4:5]
	s_cbranch_vccz .LBB65_117
	s_branch .LBB65_118
.LBB65_177:
	v_mov_b64_e32 v[4:5], 0
	s_andn2_b64 vcc, exec, s[4:5]
	s_cbranch_vccz .LBB65_130
	s_branch .LBB65_131
.LBB65_178:
	v_mov_b64_e32 v[4:5], 0
	s_andn2_b64 vcc, exec, s[4:5]
	s_cbranch_vccz .LBB65_143
	s_branch .LBB65_144
.LBB65_179:
	v_mov_b64_e32 v[4:5], 0
	s_andn2_b64 vcc, exec, s[4:5]
	s_cbranch_vccz .LBB65_156
	s_branch .LBB65_157
	.section	.rodata,"a",@progbits
	.p2align	6, 0x0
	.amdhsa_kernel _ZN9rocsparseL26bsric0_2_8_unrolled_kernelILi49ELi32ELi7E21rocsparse_complex_numIdEEEv20rocsparse_direction_iiPKiS5_PT2_S5_PiS5_S8_21rocsparse_index_base_
		.amdhsa_group_segment_fixed_size 3968
		.amdhsa_private_segment_fixed_size 0
		.amdhsa_kernarg_size 76
		.amdhsa_user_sgpr_count 2
		.amdhsa_user_sgpr_dispatch_ptr 0
		.amdhsa_user_sgpr_queue_ptr 0
		.amdhsa_user_sgpr_kernarg_segment_ptr 1
		.amdhsa_user_sgpr_dispatch_id 0
		.amdhsa_user_sgpr_kernarg_preload_length 0
		.amdhsa_user_sgpr_kernarg_preload_offset 0
		.amdhsa_user_sgpr_private_segment_size 0
		.amdhsa_uses_dynamic_stack 0
		.amdhsa_enable_private_segment 0
		.amdhsa_system_sgpr_workgroup_id_x 1
		.amdhsa_system_sgpr_workgroup_id_y 0
		.amdhsa_system_sgpr_workgroup_id_z 0
		.amdhsa_system_sgpr_workgroup_info 0
		.amdhsa_system_vgpr_workitem_id 1
		.amdhsa_next_free_vgpr 86
		.amdhsa_next_free_sgpr 40
		.amdhsa_accum_offset 88
		.amdhsa_reserve_vcc 1
		.amdhsa_float_round_mode_32 0
		.amdhsa_float_round_mode_16_64 0
		.amdhsa_float_denorm_mode_32 3
		.amdhsa_float_denorm_mode_16_64 3
		.amdhsa_dx10_clamp 1
		.amdhsa_ieee_mode 1
		.amdhsa_fp16_overflow 0
		.amdhsa_tg_split 0
		.amdhsa_exception_fp_ieee_invalid_op 0
		.amdhsa_exception_fp_denorm_src 0
		.amdhsa_exception_fp_ieee_div_zero 0
		.amdhsa_exception_fp_ieee_overflow 0
		.amdhsa_exception_fp_ieee_underflow 0
		.amdhsa_exception_fp_ieee_inexact 0
		.amdhsa_exception_int_div_zero 0
	.end_amdhsa_kernel
	.section	.text._ZN9rocsparseL26bsric0_2_8_unrolled_kernelILi49ELi32ELi7E21rocsparse_complex_numIdEEEv20rocsparse_direction_iiPKiS5_PT2_S5_PiS5_S8_21rocsparse_index_base_,"axG",@progbits,_ZN9rocsparseL26bsric0_2_8_unrolled_kernelILi49ELi32ELi7E21rocsparse_complex_numIdEEEv20rocsparse_direction_iiPKiS5_PT2_S5_PiS5_S8_21rocsparse_index_base_,comdat
.Lfunc_end65:
	.size	_ZN9rocsparseL26bsric0_2_8_unrolled_kernelILi49ELi32ELi7E21rocsparse_complex_numIdEEEv20rocsparse_direction_iiPKiS5_PT2_S5_PiS5_S8_21rocsparse_index_base_, .Lfunc_end65-_ZN9rocsparseL26bsric0_2_8_unrolled_kernelILi49ELi32ELi7E21rocsparse_complex_numIdEEEv20rocsparse_direction_iiPKiS5_PT2_S5_PiS5_S8_21rocsparse_index_base_
                                        ; -- End function
	.set _ZN9rocsparseL26bsric0_2_8_unrolled_kernelILi49ELi32ELi7E21rocsparse_complex_numIdEEEv20rocsparse_direction_iiPKiS5_PT2_S5_PiS5_S8_21rocsparse_index_base_.num_vgpr, 86
	.set _ZN9rocsparseL26bsric0_2_8_unrolled_kernelILi49ELi32ELi7E21rocsparse_complex_numIdEEEv20rocsparse_direction_iiPKiS5_PT2_S5_PiS5_S8_21rocsparse_index_base_.num_agpr, 0
	.set _ZN9rocsparseL26bsric0_2_8_unrolled_kernelILi49ELi32ELi7E21rocsparse_complex_numIdEEEv20rocsparse_direction_iiPKiS5_PT2_S5_PiS5_S8_21rocsparse_index_base_.numbered_sgpr, 40
	.set _ZN9rocsparseL26bsric0_2_8_unrolled_kernelILi49ELi32ELi7E21rocsparse_complex_numIdEEEv20rocsparse_direction_iiPKiS5_PT2_S5_PiS5_S8_21rocsparse_index_base_.num_named_barrier, 0
	.set _ZN9rocsparseL26bsric0_2_8_unrolled_kernelILi49ELi32ELi7E21rocsparse_complex_numIdEEEv20rocsparse_direction_iiPKiS5_PT2_S5_PiS5_S8_21rocsparse_index_base_.private_seg_size, 0
	.set _ZN9rocsparseL26bsric0_2_8_unrolled_kernelILi49ELi32ELi7E21rocsparse_complex_numIdEEEv20rocsparse_direction_iiPKiS5_PT2_S5_PiS5_S8_21rocsparse_index_base_.uses_vcc, 1
	.set _ZN9rocsparseL26bsric0_2_8_unrolled_kernelILi49ELi32ELi7E21rocsparse_complex_numIdEEEv20rocsparse_direction_iiPKiS5_PT2_S5_PiS5_S8_21rocsparse_index_base_.uses_flat_scratch, 0
	.set _ZN9rocsparseL26bsric0_2_8_unrolled_kernelILi49ELi32ELi7E21rocsparse_complex_numIdEEEv20rocsparse_direction_iiPKiS5_PT2_S5_PiS5_S8_21rocsparse_index_base_.has_dyn_sized_stack, 0
	.set _ZN9rocsparseL26bsric0_2_8_unrolled_kernelILi49ELi32ELi7E21rocsparse_complex_numIdEEEv20rocsparse_direction_iiPKiS5_PT2_S5_PiS5_S8_21rocsparse_index_base_.has_recursion, 0
	.set _ZN9rocsparseL26bsric0_2_8_unrolled_kernelILi49ELi32ELi7E21rocsparse_complex_numIdEEEv20rocsparse_direction_iiPKiS5_PT2_S5_PiS5_S8_21rocsparse_index_base_.has_indirect_call, 0
	.section	.AMDGPU.csdata,"",@progbits
; Kernel info:
; codeLenInByte = 14592
; TotalNumSgprs: 46
; NumVgprs: 86
; NumAgprs: 0
; TotalNumVgprs: 86
; ScratchSize: 0
; MemoryBound: 1
; FloatMode: 240
; IeeeMode: 1
; LDSByteSize: 3968 bytes/workgroup (compile time only)
; SGPRBlocks: 5
; VGPRBlocks: 10
; NumSGPRsForWavesPerEU: 46
; NumVGPRsForWavesPerEU: 86
; AccumOffset: 88
; Occupancy: 5
; WaveLimiterHint : 1
; COMPUTE_PGM_RSRC2:SCRATCH_EN: 0
; COMPUTE_PGM_RSRC2:USER_SGPR: 2
; COMPUTE_PGM_RSRC2:TRAP_HANDLER: 0
; COMPUTE_PGM_RSRC2:TGID_X_EN: 1
; COMPUTE_PGM_RSRC2:TGID_Y_EN: 0
; COMPUTE_PGM_RSRC2:TGID_Z_EN: 0
; COMPUTE_PGM_RSRC2:TIDIG_COMP_CNT: 1
; COMPUTE_PGM_RSRC3_GFX90A:ACCUM_OFFSET: 21
; COMPUTE_PGM_RSRC3_GFX90A:TG_SPLIT: 0
	.section	.text._ZN9rocsparseL26bsric0_2_8_unrolled_kernelILi64ELi32ELi8E21rocsparse_complex_numIdEEEv20rocsparse_direction_iiPKiS5_PT2_S5_PiS5_S8_21rocsparse_index_base_,"axG",@progbits,_ZN9rocsparseL26bsric0_2_8_unrolled_kernelILi64ELi32ELi8E21rocsparse_complex_numIdEEEv20rocsparse_direction_iiPKiS5_PT2_S5_PiS5_S8_21rocsparse_index_base_,comdat
	.globl	_ZN9rocsparseL26bsric0_2_8_unrolled_kernelILi64ELi32ELi8E21rocsparse_complex_numIdEEEv20rocsparse_direction_iiPKiS5_PT2_S5_PiS5_S8_21rocsparse_index_base_ ; -- Begin function _ZN9rocsparseL26bsric0_2_8_unrolled_kernelILi64ELi32ELi8E21rocsparse_complex_numIdEEEv20rocsparse_direction_iiPKiS5_PT2_S5_PiS5_S8_21rocsparse_index_base_
	.p2align	8
	.type	_ZN9rocsparseL26bsric0_2_8_unrolled_kernelILi64ELi32ELi8E21rocsparse_complex_numIdEEEv20rocsparse_direction_iiPKiS5_PT2_S5_PiS5_S8_21rocsparse_index_base_,@function
_ZN9rocsparseL26bsric0_2_8_unrolled_kernelILi64ELi32ELi8E21rocsparse_complex_numIdEEEv20rocsparse_direction_iiPKiS5_PT2_S5_PiS5_S8_21rocsparse_index_base_: ; @_ZN9rocsparseL26bsric0_2_8_unrolled_kernelILi64ELi32ELi8E21rocsparse_complex_numIdEEEv20rocsparse_direction_iiPKiS5_PT2_S5_PiS5_S8_21rocsparse_index_base_
; %bb.0:
	s_load_dwordx8 s[4:11], s[0:1], 0x28
	s_mov_b32 s3, 0
	s_lshl_b64 s[2:3], s[2:3], 2
	v_and_b32_e32 v20, 0x3ff, v0
	v_bfe_u32 v21, v0, 10, 10
	s_waitcnt lgkmcnt(0)
	s_add_u32 s2, s8, s2
	s_addc_u32 s3, s9, s3
	s_load_dword s16, s[2:3], 0x0
	s_waitcnt lgkmcnt(0)
	s_ashr_i32 s17, s16, 31
	s_lshl_b64 s[8:9], s[16:17], 2
	s_add_u32 s2, s4, s8
	s_addc_u32 s3, s5, s9
	s_load_dword s30, s[2:3], 0x0
	s_load_dword s17, s[0:1], 0x48
	s_waitcnt lgkmcnt(0)
	s_cmp_lg_u32 s30, -1
	s_cbranch_scc0 .LBB66_16
; %bb.1:
	s_load_dwordx4 s[12:15], s[0:1], 0x10
	v_lshlrev_b32_e32 v26, 3, v21
	v_add_u32_e32 v25, v26, v20
	s_waitcnt lgkmcnt(0)
	s_add_u32 s2, s12, s8
	s_addc_u32 s3, s13, s9
	s_load_dword s24, s[2:3], 0x0
	s_waitcnt lgkmcnt(0)
	s_sub_i32 s31, s24, s17
	v_add_u32_e32 v0, s31, v25
	v_cmp_ge_i32_e32 vcc, s30, v0
	s_and_saveexec_b64 s[2:3], vcc
	s_cbranch_execz .LBB66_14
; %bb.2:
	v_add_u32_e32 v1, s24, v25
	v_subrev_u32_e32 v1, s17, v1
	v_add_u32_e32 v1, 64, v1
	s_add_i32 s18, s30, 1
	v_max_i32_e32 v1, s18, v1
	v_not_b32_e32 v2, v20
	v_add3_u32 v1, s17, v1, v2
	v_add_u32_e32 v2, s24, v26
	v_sub_u32_e32 v1, v1, v2
	v_cmp_lt_u32_e32 vcc, 63, v1
	s_mov_b64 s[20:21], -1
	s_and_saveexec_b64 s[18:19], vcc
	s_cbranch_execz .LBB66_11
; %bb.3:
	v_lshrrev_b32_e32 v4, 6, v1
	v_add_u32_e32 v2, -1, v4
	v_add_u32_e32 v1, 64, v0
	v_lshrrev_b32_e32 v3, 1, v2
	v_add_u32_e32 v5, 1, v3
	v_cmp_lt_u32_e32 vcc, 13, v2
	v_mov_b64_e32 v[2:3], v[0:1]
	s_and_saveexec_b64 s[20:21], vcc
	s_cbranch_execz .LBB66_7
; %bb.4:
	v_and_b32_e32 v6, -8, v5
	s_mov_b64 s[22:23], 0
	v_mov_b64_e32 v[2:3], v[0:1]
.LBB66_5:                               ; =>This Inner Loop Header: Depth=1
	v_ashrrev_i32_e32 v9, 31, v3
	v_mov_b32_e32 v8, v3
	v_ashrrev_i32_e32 v11, 31, v2
	v_mov_b32_e32 v10, v2
	v_add_u32_e32 v12, 0x80, v2
	v_add_u32_e32 v14, 0x80, v3
	;; [unrolled: 1-line block ×14, first 2 shown]
	v_lshl_add_u64 v[10:11], v[10:11], 2, s[14:15]
	v_lshl_add_u64 v[8:9], v[8:9], 2, s[14:15]
	v_ashrrev_i32_e32 v15, 31, v14
	v_ashrrev_i32_e32 v13, 31, v12
	;; [unrolled: 1-line block ×14, first 2 shown]
	v_lshl_add_u64 v[46:47], v[12:13], 2, s[14:15]
	v_lshl_add_u64 v[48:49], v[14:15], 2, s[14:15]
	;; [unrolled: 1-line block ×14, first 2 shown]
	global_load_dword v1, v[10:11], off
	global_load_dword v7, v[8:9], off
	;; [unrolled: 1-line block ×15, first 2 shown]
                                        ; kill: killed $vgpr64_vgpr65
                                        ; kill: killed $vgpr66_vgpr67
                                        ; kill: killed $vgpr8_vgpr9
                                        ; kill: killed $vgpr60_vgpr61
                                        ; kill: killed $vgpr62_vgpr63
                                        ; kill: killed $vgpr10_vgpr11
                                        ; kill: killed $vgpr56_vgpr57
                                        ; kill: killed $vgpr58_vgpr59
                                        ; kill: killed $vgpr52_vgpr53
                                        ; kill: killed $vgpr54_vgpr55
                                        ; kill: killed $vgpr48_vgpr49
                                        ; kill: killed $vgpr50_vgpr51
                                        ; kill: killed $vgpr46_vgpr47
                                        ; kill: killed $vgpr68_vgpr69
                                        ; kill: killed $vgpr70_vgpr71
	global_load_dword v8, v[72:73], off
	v_subrev_u32_e32 v10, s31, v2
	v_add_u32_e32 v6, -8, v6
	v_subrev_u32_e32 v9, s31, v3
	v_lshlrev_b32_e32 v10, 2, v10
	v_subrev_u32_e32 v12, s31, v12
	v_cmp_eq_u32_e32 vcc, 0, v6
	v_add_u32_e32 v3, 0x400, v3
	v_add_u32_e32 v2, 0x400, v2
	v_lshlrev_b32_e32 v9, 2, v9
	v_subrev_u32_e32 v11, s31, v14
	v_subrev_u32_e32 v14, s31, v18
	v_subrev_u32_e32 v16, s31, v16
	v_subrev_u32_e32 v18, s31, v28
	v_subrev_u32_e32 v22, s31, v22
	v_subrev_u32_e32 v28, s31, v32
	v_subrev_u32_e32 v30, s31, v30
	v_subrev_u32_e32 v32, s31, v36
	v_subrev_u32_e32 v34, s31, v34
	v_subrev_u32_e32 v36, s31, v40
	v_subrev_u32_e32 v38, s31, v38
	v_subrev_u32_e32 v40, s31, v44
	v_subrev_u32_e32 v41, s31, v42
	v_lshlrev_b32_e32 v12, 2, v12
	s_or_b64 s[22:23], vcc, s[22:23]
	v_lshlrev_b32_e32 v11, 2, v11
	v_lshlrev_b32_e32 v16, 2, v16
	;; [unrolled: 1-line block ×13, first 2 shown]
	s_waitcnt vmcnt(15)
	v_subrev_u32_e32 v1, s17, v1
	s_waitcnt vmcnt(14)
	v_subrev_u32_e32 v7, s17, v7
	ds_write_b32 v10, v1 offset:4864
	ds_write_b32 v9, v7 offset:4864
	s_waitcnt vmcnt(13)
	v_subrev_u32_e32 v1, s17, v13
	s_waitcnt vmcnt(12)
	v_subrev_u32_e32 v9, s17, v15
	;; [unrolled: 2-line block ×5, first 2 shown]
	v_subrev_u32_e32 v15, s17, v17
	s_waitcnt vmcnt(7)
	v_subrev_u32_e32 v17, s17, v27
	s_waitcnt vmcnt(5)
	;; [unrolled: 2-line block ×6, first 2 shown]
	v_subrev_u32_e32 v27, s17, v39
	v_subrev_u32_e32 v29, s17, v29
	s_waitcnt vmcnt(0)
	v_subrev_u32_e32 v8, s17, v8
	ds_write_b32 v12, v7 offset:4864
	ds_write_b32 v11, v1 offset:4864
	;; [unrolled: 1-line block ×14, first 2 shown]
	s_andn2_b64 exec, exec, s[22:23]
	s_cbranch_execnz .LBB66_5
; %bb.6:
	s_or_b64 exec, exec, s[22:23]
.LBB66_7:
	s_or_b64 exec, exec, s[20:21]
	v_and_b32_e32 v1, 7, v5
	v_cmp_ne_u32_e32 vcc, 0, v1
	s_and_saveexec_b64 s[20:21], vcc
	s_cbranch_execz .LBB66_10
; %bb.8:
	s_mov_b64 s[22:23], 0
.LBB66_9:                               ; =>This Inner Loop Header: Depth=1
	v_ashrrev_i32_e32 v7, 31, v3
	v_mov_b32_e32 v6, v3
	v_ashrrev_i32_e32 v9, 31, v2
	v_mov_b32_e32 v8, v2
	v_lshl_add_u64 v[6:7], v[6:7], 2, s[14:15]
	v_lshl_add_u64 v[8:9], v[8:9], 2, s[14:15]
	global_load_dword v5, v[6:7], off
	global_load_dword v10, v[8:9], off
	v_add_u32_e32 v1, -1, v1
	v_subrev_u32_e32 v7, s31, v2
	v_cmp_eq_u32_e32 vcc, 0, v1
	v_subrev_u32_e32 v6, s31, v3
	v_add_u32_e32 v3, 0x80, v3
	v_add_u32_e32 v2, 0x80, v2
	v_lshlrev_b32_e32 v7, 2, v7
	s_or_b64 s[22:23], vcc, s[22:23]
	v_lshlrev_b32_e32 v6, 2, v6
	s_waitcnt vmcnt(1)
	v_subrev_u32_e32 v5, s17, v5
	s_waitcnt vmcnt(0)
	v_subrev_u32_e32 v8, s17, v10
	ds_write_b32 v7, v8 offset:4864
	ds_write_b32 v6, v5 offset:4864
	s_andn2_b64 exec, exec, s[22:23]
	s_cbranch_execnz .LBB66_9
.LBB66_10:
	s_or_b64 exec, exec, s[20:21]
	v_add_u32_e32 v1, 1, v4
	v_and_b32_e32 v2, 0x7fffffe, v1
	v_cmp_ne_u32_e32 vcc, v1, v2
	v_lshl_add_u32 v0, v2, 6, v0
	s_orn2_b64 s[20:21], vcc, exec
.LBB66_11:
	s_or_b64 exec, exec, s[18:19]
	s_and_b64 exec, exec, s[20:21]
	s_cbranch_execz .LBB66_14
; %bb.12:
	v_add_u32_e32 v1, s17, v0
	v_subrev_u32_e32 v1, s24, v1
	v_mov_b32_e32 v2, 0x1300
	v_lshl_add_u32 v4, v1, 2, v2
	v_ashrrev_i32_e32 v1, 31, v0
	v_lshl_add_u64 v[2:3], v[0:1], 2, s[14:15]
	s_mov_b64 s[18:19], 0
	s_mov_b64 s[20:21], 0x100
.LBB66_13:                              ; =>This Inner Loop Header: Depth=1
	global_load_dword v1, v[2:3], off
	v_add_u32_e32 v0, 64, v0
	v_cmp_lt_i32_e32 vcc, s30, v0
	v_lshl_add_u64 v[2:3], v[2:3], 0, s[20:21]
	s_or_b64 s[18:19], vcc, s[18:19]
	s_waitcnt vmcnt(0)
	v_subrev_u32_e32 v1, s17, v1
	ds_write_b32 v4, v1
	v_add_u32_e32 v4, 0x100, v4
	s_andn2_b64 exec, exec, s[18:19]
	s_cbranch_execnz .LBB66_13
.LBB66_14:
	s_or_b64 exec, exec, s[2:3]
	s_load_dwordx2 s[18:19], s[0:1], 0x20
	s_movk_i32 s2, 0x90
	v_mov_b32_e32 v0, 0xd80
	v_mad_u32_u24 v24, v21, s2, v0
	v_mov_b32_e32 v0, 0
	v_lshl_add_u32 v22, v20, 4, v24
	v_mov_b32_e32 v1, v0
	v_mov_b32_e32 v2, v0
	;; [unrolled: 1-line block ×3, first 2 shown]
	s_cmp_lt_i32 s31, s30
	ds_write_b128 v22, v[0:3]
	s_waitcnt lgkmcnt(0)
	s_cbranch_scc1 .LBB66_18
; %bb.15:
	v_lshl_add_u32 v27, v20, 3, v21
	v_or_b32_e32 v23, v20, v21
	s_load_dword s33, s[0:1], 0x0
	s_cbranch_execz .LBB66_19
	s_branch .LBB66_53
.LBB66_16:
	s_cbranch_execnz .LBB66_160
.LBB66_17:
	s_endpgm
.LBB66_18:
                                        ; implicit-def: $vgpr27
                                        ; implicit-def: $vgpr23
	s_load_dword s33, s[0:1], 0x0
.LBB66_19:
	s_waitcnt lgkmcnt(0)
	s_cmp_lg_u32 s33, 0
	s_cselect_b64 s[20:21], -1, 0
	s_cmp_eq_u32 s33, 0
	v_lshlrev_b32_e32 v28, 3, v20
	s_movk_i32 s0, 0x90
	v_mov_b32_e32 v0, 0x900
	v_mov_b32_e32 v2, 0x480
	v_add_u32_e32 v27, v28, v21
	v_mad_u32_u24 v29, v21, s0, v0
	v_lshlrev_b32_e32 v1, 4, v20
	v_mad_u32_u24 v32, v21, s0, v2
	v_or_b32_e32 v23, v20, v21
	s_cselect_b64 vcc, -1, 0
	v_add_u32_e32 v30, v29, v1
	v_mad_u32_u24 v31, v21, s0, v1
	v_add_u32_e32 v33, v32, v1
	v_mad_u32_u24 v34, v20, s0, v0
	v_cmp_ne_u32_e64 s[0:1], 0, v23
	v_cndmask_b32_e32 v35, v27, v25, vcc
	v_mov_b32_e32 v36, 0
	v_mov_b32_e32 v37, 0x3ff00000
	s_mov_b32 s22, s31
	s_branch .LBB66_21
.LBB66_20:                              ;   in Loop: Header=BB66_21 Depth=1
	ds_read2_b64 v[0:3], v30 offset1:1
	s_add_i32 s22, s22, 1
	s_cmp_ge_i32 s22, s30
	s_cselect_b64 s[2:3], -1, 0
	s_waitcnt lgkmcnt(0)
	global_store_dwordx4 v[12:13], v[0:3], off
	buffer_wbl2 sc1
	s_waitcnt vmcnt(0)
	buffer_inv sc1
	s_and_b64 vcc, exec, s[2:3]
	s_cbranch_vccnz .LBB66_53
.LBB66_21:                              ; =>This Loop Header: Depth=1
                                        ;     Child Loop BB66_24 Depth 2
                                        ;     Child Loop BB66_35 Depth 2
	;; [unrolled: 1-line block ×4, first 2 shown]
                                        ;       Child Loop BB66_51 Depth 3
	s_ashr_i32 s23, s22, 31
	s_lshl_b64 s[2:3], s[22:23], 2
	s_add_u32 s2, s14, s2
	s_addc_u32 s3, s15, s3
	s_load_dword s23, s[2:3], 0x0
	s_waitcnt lgkmcnt(0)
	s_sub_i32 s24, s23, s17
	s_ashr_i32 s25, s24, 31
	s_lshl_b64 s[2:3], s[24:25], 2
	s_add_u32 s26, s4, s2
	s_addc_u32 s27, s5, s3
	s_load_dword s25, s[26:27], 0x0
	s_waitcnt lgkmcnt(0)
	s_cmp_eq_u32 s25, -1
	s_cbranch_scc1 .LBB66_52
; %bb.22:                               ;   in Loop: Header=BB66_21 Depth=1
	v_lshl_add_u32 v0, s22, 6, v35
	v_ashrrev_i32_e32 v1, 31, v0
	v_lshl_add_u64 v[12:13], v[0:1], 4, s[18:19]
	global_load_dwordx4 v[0:3], v[12:13], off
	s_add_u32 s26, s12, s2
	s_addc_u32 s27, s13, s3
	s_load_dword s26, s[26:27], 0x0
	ds_read_b32 v4, v36 offset:4864
	s_mov_b32 s27, 0
	s_waitcnt lgkmcnt(0)
	s_sub_i32 s26, s26, s17
	s_cmp_le_i32 s26, s25
	v_cmp_ge_i32_e32 vcc, s24, v4
	s_cselect_b64 s[28:29], -1, 0
	s_and_b64 s[28:29], s[28:29], vcc
	s_andn2_b64 vcc, exec, s[28:29]
	s_waitcnt vmcnt(0)
	ds_write2_b64 v30, v[0:1], v[2:3] offset1:1
	s_cbranch_vccnz .LBB66_34
; %bb.23:                               ;   in Loop: Header=BB66_21 Depth=1
	s_mov_b32 s34, 0
	s_mov_b32 s35, 0
.LBB66_24:                              ;   Parent Loop BB66_21 Depth=1
                                        ; =>  This Inner Loop Header: Depth=2
	s_ashr_i32 s27, s26, 31
	s_lshl_b64 s[28:29], s[26:27], 2
	s_add_u32 s28, s14, s28
	s_addc_u32 s29, s15, s29
	s_load_dword s27, s[28:29], 0x0
	s_lshl_b32 s28, s35, 2
	v_mov_b32_e32 v0, s28
	ds_read_b32 v0, v0 offset:4864
	s_mov_b64 s[28:29], -1
	s_waitcnt lgkmcnt(0)
	s_sub_i32 s39, s27, s17
                                        ; implicit-def: $sgpr27
                                        ; implicit-def: $sgpr38
                                        ; implicit-def: $sgpr37
	v_cmp_ge_i32_e32 vcc, s39, v0
	v_readfirstlane_b32 s36, v0
	s_cbranch_vccz .LBB66_30
; %bb.25:                               ;   in Loop: Header=BB66_24 Depth=2
	s_cmp_le_i32 s39, s36
                                        ; implicit-def: $sgpr27
                                        ; implicit-def: $sgpr38
                                        ; implicit-def: $sgpr37
	s_cbranch_scc0 .LBB66_27
; %bb.26:                               ;   in Loop: Header=BB66_24 Depth=2
	s_add_i32 s27, s35, s31
	s_lshl_b32 s27, s27, 6
	s_lshl_b32 s28, s34, 2
	v_mov_b32_e32 v0, s28
	v_mov_b32_e32 v1, s27
	s_lshl_b32 s27, s26, 6
	v_mov_b32_e32 v2, s27
	v_add_u32_e32 v0, 0x1000, v0
	ds_write2_b32 v0, v2, v1 offset0:128 offset1:160
	s_add_i32 s37, s35, 1
	s_add_i32 s38, s26, 1
	;; [unrolled: 1-line block ×3, first 2 shown]
	s_mov_b64 s[28:29], 0
.LBB66_27:                              ;   in Loop: Header=BB66_24 Depth=2
	s_andn2_b64 vcc, exec, s[28:29]
	s_cbranch_vccnz .LBB66_29
; %bb.28:                               ;   in Loop: Header=BB66_24 Depth=2
	s_add_i32 s37, s35, 1
	s_mov_b32 s27, s34
	s_mov_b32 s38, s26
.LBB66_29:                              ;   in Loop: Header=BB66_24 Depth=2
	s_mov_b64 s[28:29], 0
.LBB66_30:                              ;   in Loop: Header=BB66_24 Depth=2
	s_andn2_b64 vcc, exec, s[28:29]
	s_cbranch_vccnz .LBB66_32
; %bb.31:                               ;   in Loop: Header=BB66_24 Depth=2
	s_add_i32 s38, s26, 1
	s_mov_b32 s37, s35
	s_mov_b32 s27, s34
.LBB66_32:                              ;   in Loop: Header=BB66_24 Depth=2
	s_cmp_le_i32 s38, s25
	s_cselect_b64 s[28:29], -1, 0
	s_cmp_le_i32 s36, s24
	s_cselect_b64 s[34:35], -1, 0
	s_and_b64 s[28:29], s[28:29], s[34:35]
	s_and_b64 vcc, exec, s[28:29]
	s_cbranch_vccz .LBB66_34
; %bb.33:                               ;   in Loop: Header=BB66_24 Depth=2
	s_mov_b32 s34, s27
	s_mov_b32 s26, s38
	;; [unrolled: 1-line block ×3, first 2 shown]
	s_branch .LBB66_24
.LBB66_34:                              ;   in Loop: Header=BB66_21 Depth=1
	s_add_u32 s2, s6, s2
	s_addc_u32 s3, s7, s3
	s_waitcnt lgkmcnt(0)
.LBB66_35:                              ;   Parent Loop BB66_21 Depth=1
                                        ; =>  This Inner Loop Header: Depth=2
	global_load_dword v0, v36, s[2:3] sc1
	s_waitcnt vmcnt(0)
	v_cmp_eq_u32_e32 vcc, 0, v0
	s_cbranch_vccnz .LBB66_35
; %bb.36:                               ;   in Loop: Header=BB66_21 Depth=1
	v_lshl_add_u32 v0, s25, 6, v35
	v_ashrrev_i32_e32 v1, 31, v0
	v_lshl_add_u64 v[0:1], v[0:1], 4, s[18:19]
	buffer_inv sc1
	global_load_dwordx4 v[0:3], v[0:1], off
	v_mov_b64_e32 v[10:11], 0
	s_cmp_lt_i32 s27, 2
	v_mov_b64_e32 v[8:9], 0
	s_waitcnt vmcnt(0)
	ds_write2_b64 v31, v[0:1], v[2:3] offset1:1
	s_waitcnt lgkmcnt(0)
	s_cbranch_scc1 .LBB66_44
; %bb.37:                               ;   in Loop: Header=BB66_21 Depth=1
	s_add_i32 s24, s27, -1
	v_mov_b64_e32 v[16:17], 0
	s_movk_i32 s25, 0x1200
	v_mov_b64_e32 v[14:15], 0
.LBB66_38:                              ;   Parent Loop BB66_21 Depth=1
                                        ; =>  This Inner Loop Header: Depth=2
	v_mov_b32_e32 v0, s25
	s_waitcnt lgkmcnt(0)
	ds_read2_b32 v[18:19], v0 offset1:32
	s_mov_b64 s[2:3], -1
	s_and_b64 vcc, exec, s[20:21]
                                        ; implicit-def: $vgpr10_vgpr11
	s_cbranch_vccz .LBB66_41
; %bb.39:                               ;   in Loop: Header=BB66_38 Depth=2
	s_waitcnt lgkmcnt(0)
	v_add_u32_e32 v8, v18, v20
	v_ashrrev_i32_e32 v9, 31, v8
	v_add_u32_e32 v46, v19, v21
	v_lshl_add_u64 v[10:11], v[8:9], 4, s[18:19]
	v_ashrrev_i32_e32 v47, 31, v46
	v_lshl_add_u64 v[38:39], v[46:47], 4, s[18:19]
	global_load_dwordx4 v[0:3], v[10:11], off
	global_load_dwordx4 v[4:7], v[38:39], off
	v_add_u32_e32 v10, 8, v8
	v_add_u32_e32 v38, 8, v46
	v_ashrrev_i32_e32 v11, 31, v10
	v_ashrrev_i32_e32 v39, 31, v38
	v_lshl_add_u64 v[10:11], v[10:11], 4, s[18:19]
	v_lshl_add_u64 v[48:49], v[38:39], 4, s[18:19]
	global_load_dwordx4 v[38:41], v[10:11], off
	global_load_dwordx4 v[42:45], v[48:49], off
	v_add_u32_e32 v10, 16, v8
	v_add_u32_e32 v48, 16, v46
	v_ashrrev_i32_e32 v11, 31, v10
	v_add_u32_e32 v54, 24, v8
	v_ashrrev_i32_e32 v49, 31, v48
	v_lshl_add_u64 v[10:11], v[10:11], 4, s[18:19]
	v_add_u32_e32 v56, 24, v46
	v_add_u32_e32 v64, 32, v46
	;; [unrolled: 1-line block ×5, first 2 shown]
	v_ashrrev_i32_e32 v55, 31, v54
	v_lshl_add_u64 v[58:59], v[48:49], 4, s[18:19]
	global_load_dwordx4 v[46:49], v[10:11], off
	global_load_dwordx4 v[50:53], v[58:59], off
	v_add_u32_e32 v62, 32, v8
	v_ashrrev_i32_e32 v57, 31, v56
	v_lshl_add_u64 v[10:11], v[54:55], 4, s[18:19]
	v_ashrrev_i32_e32 v63, 31, v62
	v_lshl_add_u64 v[66:67], v[56:57], 4, s[18:19]
	global_load_dwordx4 v[54:57], v[10:11], off
	global_load_dwordx4 v[58:61], v[66:67], off
	v_add_u32_e32 v70, 40, v8
	v_ashrrev_i32_e32 v65, 31, v64
	v_lshl_add_u64 v[10:11], v[62:63], 4, s[18:19]
	;; [unrolled: 7-line block ×4, first 2 shown]
	v_ashrrev_i32_e32 v9, 31, v8
	v_lshl_add_u64 v[88:89], v[80:81], 4, s[18:19]
	global_load_dwordx4 v[78:81], v[10:11], off
	global_load_dwordx4 v[82:85], v[88:89], off
	v_ashrrev_i32_e32 v87, 31, v86
	v_lshl_add_u64 v[8:9], v[8:9], 4, s[18:19]
	v_lshl_add_u64 v[10:11], v[86:87], 4, s[18:19]
	global_load_dwordx4 v[86:89], v[8:9], off
	global_load_dwordx4 v[90:93], v[10:11], off
	s_waitcnt vmcnt(14)
	v_fma_f64 v[8:9], v[0:1], v[4:5], v[14:15]
	v_fma_f64 v[4:5], v[2:3], v[4:5], v[16:17]
	v_fmac_f64_e32 v[8:9], v[2:3], v[6:7]
	v_fma_f64 v[0:1], v[0:1], -v[6:7], v[4:5]
	s_waitcnt vmcnt(12)
	v_fmac_f64_e32 v[8:9], v[38:39], v[42:43]
	v_fmac_f64_e32 v[0:1], v[40:41], v[42:43]
	v_fmac_f64_e32 v[8:9], v[40:41], v[44:45]
	v_fma_f64 v[0:1], v[38:39], -v[44:45], v[0:1]
	s_waitcnt vmcnt(10)
	v_fmac_f64_e32 v[8:9], v[46:47], v[50:51]
	v_fmac_f64_e32 v[0:1], v[48:49], v[50:51]
	;; [unrolled: 5-line block ×7, first 2 shown]
	v_fmac_f64_e32 v[8:9], v[88:89], v[92:93]
	v_fma_f64 v[10:11], v[86:87], -v[92:93], v[0:1]
	s_cbranch_execz .LBB66_42
.LBB66_40:                              ;   in Loop: Header=BB66_38 Depth=2
	s_add_i32 s24, s24, -1
	s_add_i32 s25, s25, 4
	s_cmp_eq_u32 s24, 0
	s_cbranch_scc0 .LBB66_43
	s_branch .LBB66_44
.LBB66_41:                              ;   in Loop: Header=BB66_38 Depth=2
	s_andn2_b64 vcc, exec, s[2:3]
	s_cbranch_vccnz .LBB66_40
.LBB66_42:                              ;   in Loop: Header=BB66_38 Depth=2
	s_waitcnt lgkmcnt(0)
	v_add_u32_e32 v0, v18, v28
	v_ashrrev_i32_e32 v1, 31, v0
	v_lshl_add_u64 v[86:87], v[0:1], 4, s[18:19]
	v_add_u32_e32 v0, v19, v26
	v_ashrrev_i32_e32 v1, 31, v0
	v_lshl_add_u64 v[18:19], v[0:1], 4, s[18:19]
	global_load_dwordx4 v[0:3], v[18:19], off
	global_load_dwordx4 v[4:7], v[86:87], off
	global_load_dwordx4 v[8:11], v[86:87], off offset:16
	global_load_dwordx4 v[38:41], v[18:19], off offset:16
	;; [unrolled: 1-line block ×13, first 2 shown]
                                        ; kill: killed $vgpr86_vgpr87
	s_nop 0
	global_load_dwordx4 v[86:89], v[18:19], off offset:112
	s_waitcnt vmcnt(14)
	v_fmac_f64_e32 v[14:15], v[4:5], v[0:1]
	v_fmac_f64_e32 v[16:17], v[6:7], v[0:1]
	v_fmac_f64_e32 v[14:15], v[6:7], v[2:3]
	v_fma_f64 v[0:1], v[4:5], -v[2:3], v[16:17]
	s_waitcnt vmcnt(12)
	v_fmac_f64_e32 v[14:15], v[8:9], v[38:39]
	v_fmac_f64_e32 v[0:1], v[10:11], v[38:39]
	v_fmac_f64_e32 v[14:15], v[10:11], v[40:41]
	v_fma_f64 v[0:1], v[8:9], -v[40:41], v[0:1]
	;; [unrolled: 5-line block ×8, first 2 shown]
	v_mov_b64_e32 v[8:9], v[14:15]
	s_add_i32 s24, s24, -1
	s_add_i32 s25, s25, 4
	s_cmp_eq_u32 s24, 0
	s_cbranch_scc1 .LBB66_44
.LBB66_43:                              ;   in Loop: Header=BB66_38 Depth=2
	v_mov_b64_e32 v[16:17], v[10:11]
	v_mov_b64_e32 v[14:15], v[8:9]
	s_branch .LBB66_38
.LBB66_44:                              ;   in Loop: Header=BB66_21 Depth=1
	s_mov_b32 s26, 0
	v_mov_b32_e32 v16, s23
	s_mov_b32 s23, 0
	ds_write_b128 v33, v[8:11]
	s_waitcnt lgkmcnt(0)
	s_branch .LBB66_46
.LBB66_45:                              ;   in Loop: Header=BB66_46 Depth=2
	v_mul_f64 v[18:19], v[10:11], v[10:11]
	v_fmac_f64_e32 v[18:19], v[8:9], v[8:9]
	v_div_scale_f64 v[38:39], s[2:3], v[18:19], v[18:19], 1.0
	v_rcp_f64_e32 v[40:41], v[38:39]
	s_waitcnt lgkmcnt(0)
	v_add_f64 v[4:5], v[0:1], -v[4:5]
	v_add_f64 v[2:3], v[2:3], -v[6:7]
	s_addk_i32 s26, 0x90
	v_fma_f64 v[0:1], -v[38:39], v[40:41], 1.0
	v_fmac_f64_e32 v[40:41], v[40:41], v[0:1]
	v_fma_f64 v[0:1], -v[38:39], v[40:41], 1.0
	v_fmac_f64_e32 v[40:41], v[40:41], v[0:1]
	v_div_scale_f64 v[0:1], vcc, 1.0, v[18:19], 1.0
	v_mul_f64 v[6:7], v[0:1], v[40:41]
	v_fma_f64 v[0:1], -v[38:39], v[6:7], v[0:1]
	s_nop 1
	v_div_fmas_f64 v[0:1], v[0:1], v[40:41], v[6:7]
	v_div_fixup_f64 v[6:7], v[0:1], v[18:19], 1.0
	v_mul_f64 v[0:1], v[10:11], v[2:3]
	v_fmac_f64_e32 v[0:1], v[4:5], v[8:9]
	v_mul_f64 v[4:5], v[10:11], -v[4:5]
	v_fmac_f64_e32 v[4:5], v[2:3], v[8:9]
	v_mul_f64 v[0:1], v[6:7], v[0:1]
	v_mul_f64 v[2:3], v[6:7], v[4:5]
	v_lshl_add_u32 v4, s23, 4, v34
	ds_write_b128 v14, v[0:3]
	s_waitcnt lgkmcnt(0)
	ds_read_b128 v[4:7], v4
	ds_read_b128 v[8:11], v22
	s_add_i32 s23, s23, 1
	s_cmp_eq_u32 s23, 8
	s_waitcnt lgkmcnt(0)
	v_fmac_f64_e32 v[8:9], v[0:1], v[4:5]
	v_fmac_f64_e32 v[10:11], v[2:3], v[4:5]
	;; [unrolled: 1-line block ×3, first 2 shown]
	v_fma_f64 v[10:11], v[0:1], -v[6:7], v[10:11]
	ds_write_b128 v22, v[8:11]
	s_waitcnt lgkmcnt(0)
	s_cbranch_scc1 .LBB66_20
.LBB66_46:                              ;   Parent Loop BB66_21 Depth=1
                                        ; =>  This Loop Header: Depth=2
                                        ;       Child Loop BB66_51 Depth 3
	s_lshl_b32 s2, s23, 4
	s_mul_i32 s3, s23, 0x90
	s_add_i32 s3, s3, s2
	v_mov_b32_e32 v0, s3
	ds_read_b128 v[4:7], v0
	v_add_u32_e32 v14, s2, v29
	ds_read_b128 v[0:3], v14
	s_waitcnt lgkmcnt(1)
	v_cmp_neq_f64_e32 vcc, 0, v[4:5]
	v_cmp_neq_f64_e64 s[2:3], 0, v[6:7]
	s_or_b64 vcc, vcc, s[2:3]
	v_cndmask_b32_e32 v9, v37, v5, vcc
	s_nor_b64 s[24:25], vcc, s[0:1]
	v_cndmask_b32_e32 v8, 0, v4, vcc
	v_cndmask_b32_e32 v11, 0, v7, vcc
	;; [unrolled: 1-line block ×3, first 2 shown]
	s_and_saveexec_b64 s[2:3], s[24:25]
	s_cbranch_execz .LBB66_50
; %bb.47:                               ;   in Loop: Header=BB66_46 Depth=2
	v_mbcnt_lo_u32_b32 v4, exec_lo, 0
	v_mbcnt_hi_u32_b32 v4, exec_hi, v4
	v_cmp_eq_u32_e32 vcc, 0, v4
	s_and_saveexec_b64 s[24:25], vcc
	s_cbranch_execz .LBB66_49
; %bb.48:                               ;   in Loop: Header=BB66_46 Depth=2
	global_atomic_smin v36, v16, s[10:11]
.LBB66_49:                              ;   in Loop: Header=BB66_46 Depth=2
	s_or_b64 exec, exec, s[24:25]
	v_mov_b64_e32 v[10:11], 0
	v_mov_b64_e32 v[8:9], 1.0
.LBB66_50:                              ;   in Loop: Header=BB66_46 Depth=2
	s_or_b64 exec, exec, s[2:3]
	v_lshl_add_u32 v4, s23, 4, v32
	ds_read_b128 v[4:7], v4
	s_cmp_eq_u32 s23, 0
	v_mov_b32_e32 v15, v29
	s_mov_b32 s2, s26
	s_mov_b32 s3, s23
	s_cbranch_scc1 .LBB66_45
.LBB66_51:                              ;   Parent Loop BB66_21 Depth=1
                                        ;     Parent Loop BB66_46 Depth=2
                                        ; =>    This Inner Loop Header: Depth=3
	v_mov_b32_e32 v17, s2
	ds_read_b128 v[38:41], v15
	ds_read_b128 v[42:45], v17
	s_add_i32 s3, s3, -1
	s_add_i32 s2, s2, 16
	v_add_u32_e32 v15, 16, v15
	s_cmp_eq_u32 s3, 0
	s_waitcnt lgkmcnt(0)
	v_fmac_f64_e32 v[4:5], v[42:43], v[38:39]
	v_fmac_f64_e32 v[6:7], v[44:45], v[38:39]
	v_fmac_f64_e32 v[4:5], v[44:45], v[40:41]
	v_fma_f64 v[6:7], v[42:43], -v[40:41], v[6:7]
	s_cbranch_scc0 .LBB66_51
	s_branch .LBB66_45
.LBB66_52:                              ;   in Loop: Header=BB66_21 Depth=1
                                        ; implicit-def: $sgpr22
	s_cbranch_execz .LBB66_21
.LBB66_53:
	s_waitcnt lgkmcnt(0)
	s_cmp_eq_u32 s33, 0
	s_cselect_b64 vcc, -1, 0
	v_cndmask_b32_e32 v0, v27, v25, vcc
	v_lshl_add_u32 v0, s30, 6, v0
	v_ashrrev_i32_e32 v1, 31, v0
	v_lshl_add_u64 v[0:1], v[0:1], 4, s[18:19]
	global_load_dwordx4 v[2:5], v[0:1], off
	s_movk_i32 s0, 0x90
	v_mov_b32_e32 v6, 0x900
	v_mad_u32_u24 v9, v21, s0, v6
	v_cmp_ne_u32_e64 s[2:3], 0, v21
	v_lshl_add_u32 v8, v20, 4, v9
	v_cmp_eq_u32_e32 vcc, 0, v21
	s_waitcnt vmcnt(0)
	ds_write2_b64 v8, v[2:3], v[4:5] offset1:1
	s_waitcnt lgkmcnt(0)
	s_and_saveexec_b64 s[0:1], vcc
	s_cbranch_execz .LBB66_60
; %bb.54:
	v_mov_b32_e32 v6, 0
	ds_read_b128 v[2:5], v6 offset:3456
	ds_read_b128 v[10:13], v6 offset:2304
	s_waitcnt lgkmcnt(0)
	v_add_f64 v[2:3], v[10:11], -v[2:3]
	v_add_f64 v[6:7], v[12:13], -v[4:5]
	v_xor_b32_e32 v4, 0x80000000, v3
	v_cmp_gt_f64_e32 vcc, 0, v[2:3]
	v_xor_b32_e32 v5, 0x80000000, v7
	s_nop 0
	v_cndmask_b32_e32 v3, v3, v4, vcc
	v_cmp_gt_f64_e32 vcc, 0, v[6:7]
	v_mov_b32_e32 v4, v6
	s_nop 0
	v_cndmask_b32_e32 v5, v7, v5, vcc
	v_cmp_ngt_f64_e32 vcc, v[2:3], v[4:5]
	s_cbranch_vccz .LBB66_57
; %bb.55:
	v_cmp_eq_f64_e32 vcc, 0, v[6:7]
	s_mov_b64 s[4:5], 0
	s_cbranch_vccnz .LBB66_164
; %bb.56:
	v_div_scale_f64 v[6:7], s[12:13], v[4:5], v[4:5], v[2:3]
	v_rcp_f64_e32 v[10:11], v[6:7]
	v_div_scale_f64 v[12:13], vcc, v[2:3], v[4:5], v[2:3]
	s_mov_b32 s12, 0
	v_fma_f64 v[14:15], -v[6:7], v[10:11], 1.0
	v_fmac_f64_e32 v[10:11], v[10:11], v[14:15]
	v_fma_f64 v[14:15], -v[6:7], v[10:11], 1.0
	v_fmac_f64_e32 v[10:11], v[10:11], v[14:15]
	v_mul_f64 v[14:15], v[12:13], v[10:11]
	v_fma_f64 v[6:7], -v[6:7], v[14:15], v[12:13]
	v_div_fmas_f64 v[6:7], v[6:7], v[10:11], v[14:15]
	v_div_fixup_f64 v[6:7], v[6:7], v[4:5], v[2:3]
	v_fma_f64 v[6:7], v[6:7], v[6:7], 1.0
	s_brev_b32 s13, 8
	v_cmp_gt_f64_e32 vcc, s[12:13], v[6:7]
	s_and_b64 s[12:13], vcc, exec
	s_cselect_b32 s12, 0x100, 0
	v_ldexp_f64 v[6:7], v[6:7], s12
	v_rsq_f64_e32 v[10:11], v[6:7]
	s_cselect_b32 s12, 0xffffff80, 0
	v_mul_f64 v[12:13], v[6:7], v[10:11]
	v_mul_f64 v[10:11], v[10:11], 0.5
	v_fma_f64 v[14:15], -v[10:11], v[12:13], 0.5
	v_fmac_f64_e32 v[12:13], v[12:13], v[14:15]
	v_fma_f64 v[16:17], -v[12:13], v[12:13], v[6:7]
	v_fmac_f64_e32 v[10:11], v[10:11], v[14:15]
	v_fmac_f64_e32 v[12:13], v[16:17], v[10:11]
	v_fma_f64 v[14:15], -v[12:13], v[12:13], v[6:7]
	v_fmac_f64_e32 v[12:13], v[14:15], v[10:11]
	v_ldexp_f64 v[10:11], v[12:13], s12
	v_mov_b32_e32 v12, 0x260
	v_cmp_class_f64_e32 vcc, v[6:7], v12
	s_nop 1
	v_cndmask_b32_e32 v7, v11, v7, vcc
	v_cndmask_b32_e32 v6, v10, v6, vcc
	v_mul_f64 v[6:7], v[4:5], v[6:7]
	s_andn2_b64 vcc, exec, s[4:5]
	s_cbranch_vccz .LBB66_58
	s_branch .LBB66_59
.LBB66_57:
                                        ; implicit-def: $vgpr6_vgpr7
.LBB66_58:
	v_div_scale_f64 v[6:7], s[4:5], v[2:3], v[2:3], v[4:5]
	v_rcp_f64_e32 v[10:11], v[6:7]
	v_div_scale_f64 v[12:13], vcc, v[4:5], v[2:3], v[4:5]
	s_mov_b32 s4, 0
	v_fma_f64 v[14:15], -v[6:7], v[10:11], 1.0
	v_fmac_f64_e32 v[10:11], v[10:11], v[14:15]
	v_fma_f64 v[14:15], -v[6:7], v[10:11], 1.0
	v_fmac_f64_e32 v[10:11], v[10:11], v[14:15]
	v_mul_f64 v[14:15], v[12:13], v[10:11]
	v_fma_f64 v[6:7], -v[6:7], v[14:15], v[12:13]
	v_div_fmas_f64 v[6:7], v[6:7], v[10:11], v[14:15]
	v_div_fixup_f64 v[4:5], v[6:7], v[2:3], v[4:5]
	v_fma_f64 v[4:5], v[4:5], v[4:5], 1.0
	s_brev_b32 s5, 8
	v_cmp_gt_f64_e32 vcc, s[4:5], v[4:5]
	s_and_b64 s[4:5], vcc, exec
	s_cselect_b32 s4, 0x100, 0
	v_ldexp_f64 v[4:5], v[4:5], s4
	v_rsq_f64_e32 v[6:7], v[4:5]
	s_cselect_b32 s4, 0xffffff80, 0
	v_mul_f64 v[10:11], v[4:5], v[6:7]
	v_mul_f64 v[6:7], v[6:7], 0.5
	v_fma_f64 v[12:13], -v[6:7], v[10:11], 0.5
	v_fmac_f64_e32 v[10:11], v[10:11], v[12:13]
	v_fma_f64 v[14:15], -v[10:11], v[10:11], v[4:5]
	v_fmac_f64_e32 v[6:7], v[6:7], v[12:13]
	v_fmac_f64_e32 v[10:11], v[14:15], v[6:7]
	v_fma_f64 v[12:13], -v[10:11], v[10:11], v[4:5]
	v_fmac_f64_e32 v[10:11], v[12:13], v[6:7]
	v_ldexp_f64 v[6:7], v[10:11], s4
	v_mov_b32_e32 v10, 0x260
	v_cmp_class_f64_e32 vcc, v[4:5], v10
	s_nop 1
	v_cndmask_b32_e32 v5, v7, v5, vcc
	v_cndmask_b32_e32 v4, v6, v4, vcc
	v_mul_f64 v[6:7], v[2:3], v[4:5]
.LBB66_59:
	s_mov_b32 s4, 0
	s_brev_b32 s5, 8
	v_cmp_gt_f64_e32 vcc, s[4:5], v[6:7]
	s_and_b64 s[4:5], vcc, exec
	s_cselect_b32 s4, 0x100, 0
	v_ldexp_f64 v[2:3], v[6:7], s4
	v_rsq_f64_e32 v[4:5], v[2:3]
	s_cselect_b32 s4, 0xffffff80, 0
	v_mul_f64 v[6:7], v[2:3], v[4:5]
	v_mul_f64 v[4:5], v[4:5], 0.5
	v_fma_f64 v[10:11], -v[4:5], v[6:7], 0.5
	v_fmac_f64_e32 v[6:7], v[6:7], v[10:11]
	v_fmac_f64_e32 v[4:5], v[4:5], v[10:11]
	v_fma_f64 v[10:11], -v[6:7], v[6:7], v[2:3]
	v_fmac_f64_e32 v[6:7], v[10:11], v[4:5]
	v_fma_f64 v[10:11], -v[6:7], v[6:7], v[2:3]
	v_fmac_f64_e32 v[6:7], v[10:11], v[4:5]
	v_ldexp_f64 v[4:5], v[6:7], s4
	v_mov_b32_e32 v6, 0x260
	v_cmp_class_f64_e32 vcc, v[2:3], v6
	s_nop 1
	v_cndmask_b32_e32 v2, v4, v2, vcc
	v_mov_b32_e32 v4, 0
	v_cndmask_b32_e32 v3, v5, v3, vcc
	v_mov_b32_e32 v5, v4
	ds_write_b128 v4, v[2:5] offset:2304
.LBB66_60:
	s_or_b64 exec, exec, s[0:1]
	v_mov_b32_e32 v2, 0
	s_waitcnt lgkmcnt(0)
	ds_read_b128 v[2:5], v2 offset:2304
	v_cmp_ne_u32_e64 s[0:1], 0, v23
	v_mov_b32_e32 v6, 0x3ff00000
	s_add_i32 s14, s16, s17
	s_waitcnt lgkmcnt(0)
	v_cmp_neq_f64_e32 vcc, 0, v[2:3]
	v_cmp_neq_f64_e64 s[4:5], 0, v[4:5]
	s_or_b64 vcc, vcc, s[4:5]
	v_cndmask_b32_e32 v3, v6, v3, vcc
	s_nor_b64 s[12:13], vcc, s[0:1]
	v_cndmask_b32_e32 v2, 0, v2, vcc
	v_cndmask_b32_e32 v5, 0, v5, vcc
	;; [unrolled: 1-line block ×3, first 2 shown]
	s_and_saveexec_b64 s[4:5], s[12:13]
	s_cbranch_execz .LBB66_64
; %bb.61:
	v_mbcnt_lo_u32_b32 v2, exec_lo, 0
	v_mbcnt_hi_u32_b32 v2, exec_hi, v2
	v_cmp_eq_u32_e32 vcc, 0, v2
	s_and_saveexec_b64 s[12:13], vcc
	s_cbranch_execz .LBB66_63
; %bb.62:
	v_mov_b32_e32 v2, 0
	v_mov_b32_e32 v3, s14
	global_atomic_smin v2, v3, s[10:11]
.LBB66_63:
	s_or_b64 exec, exec, s[12:13]
	v_mov_b64_e32 v[4:5], 0
	v_mov_b64_e32 v[2:3], 1.0
.LBB66_64:
	s_or_b64 exec, exec, s[4:5]
	s_movk_i32 s4, 0x90
	v_mov_b32_e32 v6, 0x900
	v_mad_u32_u24 v10, v20, s4, v6
	s_and_saveexec_b64 s[4:5], s[2:3]
	s_cbranch_execz .LBB66_66
; %bb.65:
	v_mul_f64 v[6:7], v[4:5], v[4:5]
	v_fmac_f64_e32 v[6:7], v[2:3], v[2:3]
	ds_read_b128 v[12:15], v9
	ds_read_b128 v[16:19], v24
	v_div_scale_f64 v[26:27], s[2:3], v[6:7], v[6:7], 1.0
	v_rcp_f64_e32 v[28:29], v[26:27]
	s_waitcnt lgkmcnt(0)
	v_add_f64 v[16:17], v[12:13], -v[16:17]
	v_add_f64 v[14:15], v[14:15], -v[18:19]
	v_fma_f64 v[12:13], -v[26:27], v[28:29], 1.0
	v_fmac_f64_e32 v[28:29], v[28:29], v[12:13]
	v_fma_f64 v[12:13], -v[26:27], v[28:29], 1.0
	v_fmac_f64_e32 v[28:29], v[28:29], v[12:13]
	v_div_scale_f64 v[12:13], vcc, 1.0, v[6:7], 1.0
	v_mul_f64 v[18:19], v[12:13], v[28:29]
	v_fma_f64 v[12:13], -v[26:27], v[18:19], v[12:13]
	s_nop 1
	v_div_fmas_f64 v[12:13], v[12:13], v[28:29], v[18:19]
	v_div_fixup_f64 v[6:7], v[12:13], v[6:7], 1.0
	v_mul_f64 v[12:13], v[4:5], v[14:15]
	v_mul_f64 v[4:5], v[4:5], -v[16:17]
	v_fmac_f64_e32 v[12:13], v[16:17], v[2:3]
	v_fmac_f64_e32 v[4:5], v[14:15], v[2:3]
	v_mul_f64 v[12:13], v[6:7], v[12:13]
	v_mul_f64 v[14:15], v[6:7], v[4:5]
	ds_write_b128 v9, v[12:15]
	s_waitcnt lgkmcnt(0)
	ds_read_b128 v[2:5], v10
	ds_read_b128 v[16:19], v22
	s_waitcnt lgkmcnt(0)
	v_fmac_f64_e32 v[16:17], v[12:13], v[2:3]
	v_fmac_f64_e32 v[18:19], v[14:15], v[2:3]
	;; [unrolled: 1-line block ×3, first 2 shown]
	v_fma_f64 v[18:19], v[12:13], -v[4:5], v[18:19]
	ds_write_b128 v22, v[16:19]
.LBB66_66:
	s_or_b64 exec, exec, s[4:5]
	v_cmp_eq_u32_e32 vcc, 1, v21
	s_waitcnt lgkmcnt(0)
	s_and_saveexec_b64 s[2:3], vcc
	s_cbranch_execz .LBB66_73
; %bb.67:
	v_mov_b32_e32 v6, 0
	ds_read_b128 v[2:5], v6 offset:3616
	ds_read_b128 v[12:15], v6 offset:2464
	s_waitcnt lgkmcnt(0)
	v_add_f64 v[2:3], v[12:13], -v[2:3]
	v_add_f64 v[6:7], v[14:15], -v[4:5]
	v_xor_b32_e32 v4, 0x80000000, v3
	v_cmp_gt_f64_e32 vcc, 0, v[2:3]
	v_xor_b32_e32 v5, 0x80000000, v7
	s_nop 0
	v_cndmask_b32_e32 v3, v3, v4, vcc
	v_cmp_gt_f64_e32 vcc, 0, v[6:7]
	v_mov_b32_e32 v4, v6
	s_nop 0
	v_cndmask_b32_e32 v5, v7, v5, vcc
	v_cmp_gt_f64_e32 vcc, v[2:3], v[4:5]
	s_cbranch_vccnz .LBB66_70
; %bb.68:
	v_cmp_eq_f64_e32 vcc, 0, v[6:7]
	s_mov_b64 s[4:5], 0
	s_cbranch_vccnz .LBB66_165
; %bb.69:
	v_div_scale_f64 v[6:7], s[12:13], v[4:5], v[4:5], v[2:3]
	v_rcp_f64_e32 v[12:13], v[6:7]
	v_div_scale_f64 v[14:15], vcc, v[2:3], v[4:5], v[2:3]
	s_mov_b32 s12, 0
	v_fma_f64 v[16:17], -v[6:7], v[12:13], 1.0
	v_fmac_f64_e32 v[12:13], v[12:13], v[16:17]
	v_fma_f64 v[16:17], -v[6:7], v[12:13], 1.0
	v_fmac_f64_e32 v[12:13], v[12:13], v[16:17]
	v_mul_f64 v[16:17], v[14:15], v[12:13]
	v_fma_f64 v[6:7], -v[6:7], v[16:17], v[14:15]
	v_div_fmas_f64 v[6:7], v[6:7], v[12:13], v[16:17]
	v_div_fixup_f64 v[6:7], v[6:7], v[4:5], v[2:3]
	v_fma_f64 v[6:7], v[6:7], v[6:7], 1.0
	s_brev_b32 s13, 8
	v_cmp_gt_f64_e32 vcc, s[12:13], v[6:7]
	s_and_b64 s[12:13], vcc, exec
	s_cselect_b32 s12, 0x100, 0
	v_ldexp_f64 v[6:7], v[6:7], s12
	v_rsq_f64_e32 v[12:13], v[6:7]
	s_cselect_b32 s12, 0xffffff80, 0
	v_mov_b32_e32 v11, 0x260
	v_cmp_class_f64_e32 vcc, v[6:7], v11
	v_mul_f64 v[14:15], v[6:7], v[12:13]
	v_mul_f64 v[12:13], v[12:13], 0.5
	v_fma_f64 v[16:17], -v[12:13], v[14:15], 0.5
	v_fmac_f64_e32 v[14:15], v[14:15], v[16:17]
	v_fma_f64 v[18:19], -v[14:15], v[14:15], v[6:7]
	v_fmac_f64_e32 v[12:13], v[12:13], v[16:17]
	v_fmac_f64_e32 v[14:15], v[18:19], v[12:13]
	v_fma_f64 v[16:17], -v[14:15], v[14:15], v[6:7]
	v_fmac_f64_e32 v[14:15], v[16:17], v[12:13]
	v_ldexp_f64 v[12:13], v[14:15], s12
	v_cndmask_b32_e32 v7, v13, v7, vcc
	v_cndmask_b32_e32 v6, v12, v6, vcc
	v_mul_f64 v[6:7], v[4:5], v[6:7]
	s_andn2_b64 vcc, exec, s[4:5]
	s_cbranch_vccz .LBB66_71
	s_branch .LBB66_72
.LBB66_70:
                                        ; implicit-def: $vgpr6_vgpr7
.LBB66_71:
	v_div_scale_f64 v[6:7], s[4:5], v[2:3], v[2:3], v[4:5]
	v_rcp_f64_e32 v[12:13], v[6:7]
	v_div_scale_f64 v[14:15], vcc, v[4:5], v[2:3], v[4:5]
	s_mov_b32 s4, 0
	v_fma_f64 v[16:17], -v[6:7], v[12:13], 1.0
	v_fmac_f64_e32 v[12:13], v[12:13], v[16:17]
	v_fma_f64 v[16:17], -v[6:7], v[12:13], 1.0
	v_fmac_f64_e32 v[12:13], v[12:13], v[16:17]
	v_mul_f64 v[16:17], v[14:15], v[12:13]
	v_fma_f64 v[6:7], -v[6:7], v[16:17], v[14:15]
	v_div_fmas_f64 v[6:7], v[6:7], v[12:13], v[16:17]
	v_div_fixup_f64 v[4:5], v[6:7], v[2:3], v[4:5]
	v_fma_f64 v[4:5], v[4:5], v[4:5], 1.0
	s_brev_b32 s5, 8
	v_cmp_gt_f64_e32 vcc, s[4:5], v[4:5]
	s_and_b64 s[4:5], vcc, exec
	s_cselect_b32 s4, 0x100, 0
	v_ldexp_f64 v[4:5], v[4:5], s4
	v_rsq_f64_e32 v[6:7], v[4:5]
	s_cselect_b32 s4, 0xffffff80, 0
	v_mov_b32_e32 v11, 0x260
	v_cmp_class_f64_e32 vcc, v[4:5], v11
	v_mul_f64 v[12:13], v[4:5], v[6:7]
	v_mul_f64 v[6:7], v[6:7], 0.5
	v_fma_f64 v[14:15], -v[6:7], v[12:13], 0.5
	v_fmac_f64_e32 v[12:13], v[12:13], v[14:15]
	v_fma_f64 v[16:17], -v[12:13], v[12:13], v[4:5]
	v_fmac_f64_e32 v[6:7], v[6:7], v[14:15]
	v_fmac_f64_e32 v[12:13], v[16:17], v[6:7]
	v_fma_f64 v[14:15], -v[12:13], v[12:13], v[4:5]
	v_fmac_f64_e32 v[12:13], v[14:15], v[6:7]
	v_ldexp_f64 v[6:7], v[12:13], s4
	v_cndmask_b32_e32 v5, v7, v5, vcc
	v_cndmask_b32_e32 v4, v6, v4, vcc
	v_mul_f64 v[6:7], v[2:3], v[4:5]
.LBB66_72:
	s_mov_b32 s4, 0
	s_brev_b32 s5, 8
	v_cmp_gt_f64_e32 vcc, s[4:5], v[6:7]
	s_and_b64 s[4:5], vcc, exec
	s_cselect_b32 s4, 0x100, 0
	v_ldexp_f64 v[2:3], v[6:7], s4
	v_rsq_f64_e32 v[4:5], v[2:3]
	s_cselect_b32 s4, 0xffffff80, 0
	v_mul_f64 v[6:7], v[2:3], v[4:5]
	v_mul_f64 v[4:5], v[4:5], 0.5
	v_fma_f64 v[12:13], -v[4:5], v[6:7], 0.5
	v_fmac_f64_e32 v[6:7], v[6:7], v[12:13]
	v_fmac_f64_e32 v[4:5], v[4:5], v[12:13]
	v_fma_f64 v[12:13], -v[6:7], v[6:7], v[2:3]
	v_fmac_f64_e32 v[6:7], v[12:13], v[4:5]
	v_fma_f64 v[12:13], -v[6:7], v[6:7], v[2:3]
	v_fmac_f64_e32 v[6:7], v[12:13], v[4:5]
	v_ldexp_f64 v[4:5], v[6:7], s4
	v_mov_b32_e32 v6, 0x260
	v_cmp_class_f64_e32 vcc, v[2:3], v6
	s_nop 1
	v_cndmask_b32_e32 v2, v4, v2, vcc
	v_mov_b32_e32 v4, 0
	v_cndmask_b32_e32 v3, v5, v3, vcc
	v_mov_b32_e32 v5, v4
	ds_write_b128 v4, v[2:5] offset:2464
.LBB66_73:
	s_or_b64 exec, exec, s[2:3]
	v_mov_b32_e32 v2, 0
	s_waitcnt lgkmcnt(0)
	ds_read_b128 v[2:5], v2 offset:2464
	v_mov_b32_e32 v6, 0x3ff00000
	s_waitcnt lgkmcnt(0)
	v_cmp_neq_f64_e32 vcc, 0, v[2:3]
	v_cmp_neq_f64_e64 s[2:3], 0, v[4:5]
	s_or_b64 vcc, vcc, s[2:3]
	v_cndmask_b32_e32 v3, v6, v3, vcc
	s_nor_b64 s[4:5], vcc, s[0:1]
	v_cndmask_b32_e32 v2, 0, v2, vcc
	v_cndmask_b32_e32 v5, 0, v5, vcc
	;; [unrolled: 1-line block ×3, first 2 shown]
	s_and_saveexec_b64 s[2:3], s[4:5]
	s_cbranch_execz .LBB66_77
; %bb.74:
	v_mbcnt_lo_u32_b32 v2, exec_lo, 0
	v_mbcnt_hi_u32_b32 v2, exec_hi, v2
	v_cmp_eq_u32_e32 vcc, 0, v2
	s_and_saveexec_b64 s[4:5], vcc
	s_cbranch_execz .LBB66_76
; %bb.75:
	v_mov_b32_e32 v2, 0
	v_mov_b32_e32 v3, s14
	global_atomic_smin v2, v3, s[10:11]
.LBB66_76:
	s_or_b64 exec, exec, s[4:5]
	v_mov_b64_e32 v[4:5], 0
	v_mov_b64_e32 v[2:3], 1.0
.LBB66_77:
	s_or_b64 exec, exec, s[2:3]
	v_cmp_lt_u32_e32 vcc, 1, v21
	s_and_saveexec_b64 s[2:3], vcc
	s_cbranch_execz .LBB66_79
; %bb.78:
	v_mul_f64 v[6:7], v[4:5], v[4:5]
	v_fmac_f64_e32 v[6:7], v[2:3], v[2:3]
	ds_read_b128 v[12:15], v9 offset:16
	ds_read_b128 v[16:19], v24 offset:16
	v_div_scale_f64 v[26:27], s[4:5], v[6:7], v[6:7], 1.0
	v_rcp_f64_e32 v[28:29], v[26:27]
	s_waitcnt lgkmcnt(0)
	v_add_f64 v[16:17], v[12:13], -v[16:17]
	v_add_f64 v[14:15], v[14:15], -v[18:19]
	v_fma_f64 v[12:13], -v[26:27], v[28:29], 1.0
	v_fmac_f64_e32 v[28:29], v[28:29], v[12:13]
	v_fma_f64 v[12:13], -v[26:27], v[28:29], 1.0
	v_fmac_f64_e32 v[28:29], v[28:29], v[12:13]
	v_div_scale_f64 v[12:13], vcc, 1.0, v[6:7], 1.0
	v_mul_f64 v[18:19], v[12:13], v[28:29]
	v_fma_f64 v[12:13], -v[26:27], v[18:19], v[12:13]
	s_nop 1
	v_div_fmas_f64 v[12:13], v[12:13], v[28:29], v[18:19]
	v_div_fixup_f64 v[6:7], v[12:13], v[6:7], 1.0
	v_mul_f64 v[12:13], v[4:5], v[14:15]
	v_mul_f64 v[4:5], v[4:5], -v[16:17]
	v_fmac_f64_e32 v[12:13], v[16:17], v[2:3]
	v_fmac_f64_e32 v[4:5], v[14:15], v[2:3]
	v_mul_f64 v[12:13], v[6:7], v[12:13]
	v_mul_f64 v[14:15], v[6:7], v[4:5]
	ds_write_b128 v9, v[12:15] offset:16
	s_waitcnt lgkmcnt(0)
	ds_read_b128 v[2:5], v10 offset:16
	ds_read_b128 v[16:19], v22
	s_waitcnt lgkmcnt(0)
	v_fmac_f64_e32 v[16:17], v[12:13], v[2:3]
	v_fmac_f64_e32 v[18:19], v[14:15], v[2:3]
	;; [unrolled: 1-line block ×3, first 2 shown]
	v_fma_f64 v[18:19], v[12:13], -v[4:5], v[18:19]
	ds_write_b128 v22, v[16:19]
.LBB66_79:
	s_or_b64 exec, exec, s[2:3]
	v_cmp_eq_u32_e32 vcc, 2, v21
	s_waitcnt lgkmcnt(0)
	s_and_saveexec_b64 s[2:3], vcc
	s_cbranch_execz .LBB66_86
; %bb.80:
	v_mov_b32_e32 v6, 0
	ds_read_b128 v[2:5], v6 offset:3776
	ds_read_b128 v[12:15], v6 offset:2624
	s_waitcnt lgkmcnt(0)
	v_add_f64 v[2:3], v[12:13], -v[2:3]
	v_add_f64 v[6:7], v[14:15], -v[4:5]
	v_xor_b32_e32 v4, 0x80000000, v3
	v_cmp_gt_f64_e32 vcc, 0, v[2:3]
	v_xor_b32_e32 v5, 0x80000000, v7
	s_nop 0
	v_cndmask_b32_e32 v3, v3, v4, vcc
	v_cmp_gt_f64_e32 vcc, 0, v[6:7]
	v_mov_b32_e32 v4, v6
	s_nop 0
	v_cndmask_b32_e32 v5, v7, v5, vcc
	v_cmp_gt_f64_e32 vcc, v[2:3], v[4:5]
	s_cbranch_vccnz .LBB66_83
; %bb.81:
	v_cmp_eq_f64_e32 vcc, 0, v[6:7]
	s_mov_b64 s[4:5], 0
	s_cbranch_vccnz .LBB66_166
; %bb.82:
	v_div_scale_f64 v[6:7], s[12:13], v[4:5], v[4:5], v[2:3]
	v_rcp_f64_e32 v[12:13], v[6:7]
	v_div_scale_f64 v[14:15], vcc, v[2:3], v[4:5], v[2:3]
	s_mov_b32 s12, 0
	v_fma_f64 v[16:17], -v[6:7], v[12:13], 1.0
	v_fmac_f64_e32 v[12:13], v[12:13], v[16:17]
	v_fma_f64 v[16:17], -v[6:7], v[12:13], 1.0
	v_fmac_f64_e32 v[12:13], v[12:13], v[16:17]
	v_mul_f64 v[16:17], v[14:15], v[12:13]
	v_fma_f64 v[6:7], -v[6:7], v[16:17], v[14:15]
	v_div_fmas_f64 v[6:7], v[6:7], v[12:13], v[16:17]
	v_div_fixup_f64 v[6:7], v[6:7], v[4:5], v[2:3]
	v_fma_f64 v[6:7], v[6:7], v[6:7], 1.0
	s_brev_b32 s13, 8
	v_cmp_gt_f64_e32 vcc, s[12:13], v[6:7]
	s_and_b64 s[12:13], vcc, exec
	s_cselect_b32 s12, 0x100, 0
	v_ldexp_f64 v[6:7], v[6:7], s12
	v_rsq_f64_e32 v[12:13], v[6:7]
	s_cselect_b32 s12, 0xffffff80, 0
	v_mov_b32_e32 v11, 0x260
	v_cmp_class_f64_e32 vcc, v[6:7], v11
	v_mul_f64 v[14:15], v[6:7], v[12:13]
	v_mul_f64 v[12:13], v[12:13], 0.5
	v_fma_f64 v[16:17], -v[12:13], v[14:15], 0.5
	v_fmac_f64_e32 v[14:15], v[14:15], v[16:17]
	v_fma_f64 v[18:19], -v[14:15], v[14:15], v[6:7]
	v_fmac_f64_e32 v[12:13], v[12:13], v[16:17]
	v_fmac_f64_e32 v[14:15], v[18:19], v[12:13]
	v_fma_f64 v[16:17], -v[14:15], v[14:15], v[6:7]
	v_fmac_f64_e32 v[14:15], v[16:17], v[12:13]
	v_ldexp_f64 v[12:13], v[14:15], s12
	v_cndmask_b32_e32 v7, v13, v7, vcc
	v_cndmask_b32_e32 v6, v12, v6, vcc
	v_mul_f64 v[6:7], v[4:5], v[6:7]
	s_andn2_b64 vcc, exec, s[4:5]
	s_cbranch_vccz .LBB66_84
	s_branch .LBB66_85
.LBB66_83:
                                        ; implicit-def: $vgpr6_vgpr7
.LBB66_84:
	v_div_scale_f64 v[6:7], s[4:5], v[2:3], v[2:3], v[4:5]
	v_rcp_f64_e32 v[12:13], v[6:7]
	v_div_scale_f64 v[14:15], vcc, v[4:5], v[2:3], v[4:5]
	s_mov_b32 s4, 0
	v_fma_f64 v[16:17], -v[6:7], v[12:13], 1.0
	v_fmac_f64_e32 v[12:13], v[12:13], v[16:17]
	v_fma_f64 v[16:17], -v[6:7], v[12:13], 1.0
	v_fmac_f64_e32 v[12:13], v[12:13], v[16:17]
	v_mul_f64 v[16:17], v[14:15], v[12:13]
	v_fma_f64 v[6:7], -v[6:7], v[16:17], v[14:15]
	v_div_fmas_f64 v[6:7], v[6:7], v[12:13], v[16:17]
	v_div_fixup_f64 v[4:5], v[6:7], v[2:3], v[4:5]
	v_fma_f64 v[4:5], v[4:5], v[4:5], 1.0
	s_brev_b32 s5, 8
	v_cmp_gt_f64_e32 vcc, s[4:5], v[4:5]
	s_and_b64 s[4:5], vcc, exec
	s_cselect_b32 s4, 0x100, 0
	v_ldexp_f64 v[4:5], v[4:5], s4
	v_rsq_f64_e32 v[6:7], v[4:5]
	s_cselect_b32 s4, 0xffffff80, 0
	v_mov_b32_e32 v11, 0x260
	v_cmp_class_f64_e32 vcc, v[4:5], v11
	v_mul_f64 v[12:13], v[4:5], v[6:7]
	v_mul_f64 v[6:7], v[6:7], 0.5
	v_fma_f64 v[14:15], -v[6:7], v[12:13], 0.5
	v_fmac_f64_e32 v[12:13], v[12:13], v[14:15]
	v_fma_f64 v[16:17], -v[12:13], v[12:13], v[4:5]
	v_fmac_f64_e32 v[6:7], v[6:7], v[14:15]
	v_fmac_f64_e32 v[12:13], v[16:17], v[6:7]
	v_fma_f64 v[14:15], -v[12:13], v[12:13], v[4:5]
	v_fmac_f64_e32 v[12:13], v[14:15], v[6:7]
	v_ldexp_f64 v[6:7], v[12:13], s4
	v_cndmask_b32_e32 v5, v7, v5, vcc
	v_cndmask_b32_e32 v4, v6, v4, vcc
	v_mul_f64 v[6:7], v[2:3], v[4:5]
.LBB66_85:
	s_mov_b32 s4, 0
	s_brev_b32 s5, 8
	v_cmp_gt_f64_e32 vcc, s[4:5], v[6:7]
	s_and_b64 s[4:5], vcc, exec
	s_cselect_b32 s4, 0x100, 0
	v_ldexp_f64 v[2:3], v[6:7], s4
	v_rsq_f64_e32 v[4:5], v[2:3]
	s_cselect_b32 s4, 0xffffff80, 0
	v_mul_f64 v[6:7], v[2:3], v[4:5]
	v_mul_f64 v[4:5], v[4:5], 0.5
	v_fma_f64 v[12:13], -v[4:5], v[6:7], 0.5
	v_fmac_f64_e32 v[6:7], v[6:7], v[12:13]
	v_fmac_f64_e32 v[4:5], v[4:5], v[12:13]
	v_fma_f64 v[12:13], -v[6:7], v[6:7], v[2:3]
	v_fmac_f64_e32 v[6:7], v[12:13], v[4:5]
	v_fma_f64 v[12:13], -v[6:7], v[6:7], v[2:3]
	v_fmac_f64_e32 v[6:7], v[12:13], v[4:5]
	v_ldexp_f64 v[4:5], v[6:7], s4
	v_mov_b32_e32 v6, 0x260
	v_cmp_class_f64_e32 vcc, v[2:3], v6
	s_nop 1
	v_cndmask_b32_e32 v2, v4, v2, vcc
	v_mov_b32_e32 v4, 0
	v_cndmask_b32_e32 v3, v5, v3, vcc
	v_mov_b32_e32 v5, v4
	ds_write_b128 v4, v[2:5] offset:2624
.LBB66_86:
	s_or_b64 exec, exec, s[2:3]
	v_mov_b32_e32 v2, 0
	s_waitcnt lgkmcnt(0)
	ds_read_b128 v[2:5], v2 offset:2624
	v_mov_b32_e32 v6, 0x3ff00000
	s_waitcnt lgkmcnt(0)
	v_cmp_neq_f64_e32 vcc, 0, v[2:3]
	v_cmp_neq_f64_e64 s[2:3], 0, v[4:5]
	s_or_b64 vcc, vcc, s[2:3]
	v_cndmask_b32_e32 v3, v6, v3, vcc
	s_nor_b64 s[4:5], vcc, s[0:1]
	v_cndmask_b32_e32 v2, 0, v2, vcc
	v_cndmask_b32_e32 v5, 0, v5, vcc
	;; [unrolled: 1-line block ×3, first 2 shown]
	s_and_saveexec_b64 s[2:3], s[4:5]
	s_cbranch_execz .LBB66_90
; %bb.87:
	v_mbcnt_lo_u32_b32 v2, exec_lo, 0
	v_mbcnt_hi_u32_b32 v2, exec_hi, v2
	v_cmp_eq_u32_e32 vcc, 0, v2
	s_and_saveexec_b64 s[4:5], vcc
	s_cbranch_execz .LBB66_89
; %bb.88:
	v_mov_b32_e32 v2, 0
	v_mov_b32_e32 v3, s14
	global_atomic_smin v2, v3, s[10:11]
.LBB66_89:
	s_or_b64 exec, exec, s[4:5]
	v_mov_b64_e32 v[4:5], 0
	v_mov_b64_e32 v[2:3], 1.0
.LBB66_90:
	s_or_b64 exec, exec, s[2:3]
	v_cmp_lt_u32_e32 vcc, 2, v21
	s_and_saveexec_b64 s[2:3], vcc
	s_cbranch_execz .LBB66_92
; %bb.91:
	v_mul_f64 v[6:7], v[4:5], v[4:5]
	v_fmac_f64_e32 v[6:7], v[2:3], v[2:3]
	ds_read_b128 v[12:15], v9 offset:32
	ds_read_b128 v[16:19], v24 offset:32
	v_div_scale_f64 v[26:27], s[4:5], v[6:7], v[6:7], 1.0
	v_rcp_f64_e32 v[28:29], v[26:27]
	s_waitcnt lgkmcnt(0)
	v_add_f64 v[16:17], v[12:13], -v[16:17]
	v_add_f64 v[14:15], v[14:15], -v[18:19]
	v_fma_f64 v[12:13], -v[26:27], v[28:29], 1.0
	v_fmac_f64_e32 v[28:29], v[28:29], v[12:13]
	v_fma_f64 v[12:13], -v[26:27], v[28:29], 1.0
	v_fmac_f64_e32 v[28:29], v[28:29], v[12:13]
	v_div_scale_f64 v[12:13], vcc, 1.0, v[6:7], 1.0
	v_mul_f64 v[18:19], v[12:13], v[28:29]
	v_fma_f64 v[12:13], -v[26:27], v[18:19], v[12:13]
	s_nop 1
	v_div_fmas_f64 v[12:13], v[12:13], v[28:29], v[18:19]
	v_div_fixup_f64 v[6:7], v[12:13], v[6:7], 1.0
	v_mul_f64 v[12:13], v[4:5], v[14:15]
	v_mul_f64 v[4:5], v[4:5], -v[16:17]
	v_fmac_f64_e32 v[12:13], v[16:17], v[2:3]
	v_fmac_f64_e32 v[4:5], v[14:15], v[2:3]
	v_mul_f64 v[12:13], v[6:7], v[12:13]
	v_mul_f64 v[14:15], v[6:7], v[4:5]
	ds_write_b128 v9, v[12:15] offset:32
	s_waitcnt lgkmcnt(0)
	ds_read_b128 v[2:5], v10 offset:32
	ds_read_b128 v[16:19], v22
	s_waitcnt lgkmcnt(0)
	v_fmac_f64_e32 v[16:17], v[12:13], v[2:3]
	v_fmac_f64_e32 v[18:19], v[14:15], v[2:3]
	;; [unrolled: 1-line block ×3, first 2 shown]
	v_fma_f64 v[18:19], v[12:13], -v[4:5], v[18:19]
	ds_write_b128 v22, v[16:19]
.LBB66_92:
	s_or_b64 exec, exec, s[2:3]
	v_cmp_eq_u32_e32 vcc, 3, v21
	s_waitcnt lgkmcnt(0)
	s_and_saveexec_b64 s[2:3], vcc
	s_cbranch_execz .LBB66_99
; %bb.93:
	v_mov_b32_e32 v6, 0
	ds_read_b128 v[2:5], v6 offset:3936
	ds_read_b128 v[12:15], v6 offset:2784
	s_waitcnt lgkmcnt(0)
	v_add_f64 v[2:3], v[12:13], -v[2:3]
	v_add_f64 v[6:7], v[14:15], -v[4:5]
	v_xor_b32_e32 v4, 0x80000000, v3
	v_cmp_gt_f64_e32 vcc, 0, v[2:3]
	v_xor_b32_e32 v5, 0x80000000, v7
	s_nop 0
	v_cndmask_b32_e32 v3, v3, v4, vcc
	v_cmp_gt_f64_e32 vcc, 0, v[6:7]
	v_mov_b32_e32 v4, v6
	s_nop 0
	v_cndmask_b32_e32 v5, v7, v5, vcc
	v_cmp_gt_f64_e32 vcc, v[2:3], v[4:5]
	s_cbranch_vccnz .LBB66_96
; %bb.94:
	v_cmp_eq_f64_e32 vcc, 0, v[6:7]
	s_mov_b64 s[4:5], 0
	s_cbranch_vccnz .LBB66_167
; %bb.95:
	v_div_scale_f64 v[6:7], s[12:13], v[4:5], v[4:5], v[2:3]
	v_rcp_f64_e32 v[12:13], v[6:7]
	v_div_scale_f64 v[14:15], vcc, v[2:3], v[4:5], v[2:3]
	s_mov_b32 s12, 0
	v_fma_f64 v[16:17], -v[6:7], v[12:13], 1.0
	v_fmac_f64_e32 v[12:13], v[12:13], v[16:17]
	v_fma_f64 v[16:17], -v[6:7], v[12:13], 1.0
	v_fmac_f64_e32 v[12:13], v[12:13], v[16:17]
	v_mul_f64 v[16:17], v[14:15], v[12:13]
	v_fma_f64 v[6:7], -v[6:7], v[16:17], v[14:15]
	v_div_fmas_f64 v[6:7], v[6:7], v[12:13], v[16:17]
	v_div_fixup_f64 v[6:7], v[6:7], v[4:5], v[2:3]
	v_fma_f64 v[6:7], v[6:7], v[6:7], 1.0
	s_brev_b32 s13, 8
	v_cmp_gt_f64_e32 vcc, s[12:13], v[6:7]
	s_and_b64 s[12:13], vcc, exec
	s_cselect_b32 s12, 0x100, 0
	v_ldexp_f64 v[6:7], v[6:7], s12
	v_rsq_f64_e32 v[12:13], v[6:7]
	s_cselect_b32 s12, 0xffffff80, 0
	v_mov_b32_e32 v11, 0x260
	v_cmp_class_f64_e32 vcc, v[6:7], v11
	v_mul_f64 v[14:15], v[6:7], v[12:13]
	v_mul_f64 v[12:13], v[12:13], 0.5
	v_fma_f64 v[16:17], -v[12:13], v[14:15], 0.5
	v_fmac_f64_e32 v[14:15], v[14:15], v[16:17]
	v_fma_f64 v[18:19], -v[14:15], v[14:15], v[6:7]
	v_fmac_f64_e32 v[12:13], v[12:13], v[16:17]
	v_fmac_f64_e32 v[14:15], v[18:19], v[12:13]
	v_fma_f64 v[16:17], -v[14:15], v[14:15], v[6:7]
	v_fmac_f64_e32 v[14:15], v[16:17], v[12:13]
	v_ldexp_f64 v[12:13], v[14:15], s12
	v_cndmask_b32_e32 v7, v13, v7, vcc
	v_cndmask_b32_e32 v6, v12, v6, vcc
	v_mul_f64 v[6:7], v[4:5], v[6:7]
	s_andn2_b64 vcc, exec, s[4:5]
	s_cbranch_vccz .LBB66_97
	s_branch .LBB66_98
.LBB66_96:
                                        ; implicit-def: $vgpr6_vgpr7
.LBB66_97:
	v_div_scale_f64 v[6:7], s[4:5], v[2:3], v[2:3], v[4:5]
	v_rcp_f64_e32 v[12:13], v[6:7]
	v_div_scale_f64 v[14:15], vcc, v[4:5], v[2:3], v[4:5]
	s_mov_b32 s4, 0
	v_fma_f64 v[16:17], -v[6:7], v[12:13], 1.0
	v_fmac_f64_e32 v[12:13], v[12:13], v[16:17]
	v_fma_f64 v[16:17], -v[6:7], v[12:13], 1.0
	v_fmac_f64_e32 v[12:13], v[12:13], v[16:17]
	v_mul_f64 v[16:17], v[14:15], v[12:13]
	v_fma_f64 v[6:7], -v[6:7], v[16:17], v[14:15]
	v_div_fmas_f64 v[6:7], v[6:7], v[12:13], v[16:17]
	v_div_fixup_f64 v[4:5], v[6:7], v[2:3], v[4:5]
	v_fma_f64 v[4:5], v[4:5], v[4:5], 1.0
	s_brev_b32 s5, 8
	v_cmp_gt_f64_e32 vcc, s[4:5], v[4:5]
	s_and_b64 s[4:5], vcc, exec
	s_cselect_b32 s4, 0x100, 0
	v_ldexp_f64 v[4:5], v[4:5], s4
	v_rsq_f64_e32 v[6:7], v[4:5]
	s_cselect_b32 s4, 0xffffff80, 0
	v_mov_b32_e32 v11, 0x260
	v_cmp_class_f64_e32 vcc, v[4:5], v11
	v_mul_f64 v[12:13], v[4:5], v[6:7]
	v_mul_f64 v[6:7], v[6:7], 0.5
	v_fma_f64 v[14:15], -v[6:7], v[12:13], 0.5
	v_fmac_f64_e32 v[12:13], v[12:13], v[14:15]
	v_fma_f64 v[16:17], -v[12:13], v[12:13], v[4:5]
	v_fmac_f64_e32 v[6:7], v[6:7], v[14:15]
	v_fmac_f64_e32 v[12:13], v[16:17], v[6:7]
	v_fma_f64 v[14:15], -v[12:13], v[12:13], v[4:5]
	v_fmac_f64_e32 v[12:13], v[14:15], v[6:7]
	v_ldexp_f64 v[6:7], v[12:13], s4
	v_cndmask_b32_e32 v5, v7, v5, vcc
	v_cndmask_b32_e32 v4, v6, v4, vcc
	v_mul_f64 v[6:7], v[2:3], v[4:5]
.LBB66_98:
	s_mov_b32 s4, 0
	s_brev_b32 s5, 8
	v_cmp_gt_f64_e32 vcc, s[4:5], v[6:7]
	s_and_b64 s[4:5], vcc, exec
	s_cselect_b32 s4, 0x100, 0
	v_ldexp_f64 v[2:3], v[6:7], s4
	v_rsq_f64_e32 v[4:5], v[2:3]
	s_cselect_b32 s4, 0xffffff80, 0
	v_mul_f64 v[6:7], v[2:3], v[4:5]
	v_mul_f64 v[4:5], v[4:5], 0.5
	v_fma_f64 v[12:13], -v[4:5], v[6:7], 0.5
	v_fmac_f64_e32 v[6:7], v[6:7], v[12:13]
	v_fmac_f64_e32 v[4:5], v[4:5], v[12:13]
	v_fma_f64 v[12:13], -v[6:7], v[6:7], v[2:3]
	v_fmac_f64_e32 v[6:7], v[12:13], v[4:5]
	v_fma_f64 v[12:13], -v[6:7], v[6:7], v[2:3]
	v_fmac_f64_e32 v[6:7], v[12:13], v[4:5]
	v_ldexp_f64 v[4:5], v[6:7], s4
	v_mov_b32_e32 v6, 0x260
	v_cmp_class_f64_e32 vcc, v[2:3], v6
	s_nop 1
	v_cndmask_b32_e32 v2, v4, v2, vcc
	v_mov_b32_e32 v4, 0
	v_cndmask_b32_e32 v3, v5, v3, vcc
	v_mov_b32_e32 v5, v4
	ds_write_b128 v4, v[2:5] offset:2784
.LBB66_99:
	s_or_b64 exec, exec, s[2:3]
	v_mov_b32_e32 v2, 0
	s_waitcnt lgkmcnt(0)
	ds_read_b128 v[2:5], v2 offset:2784
	v_mov_b32_e32 v6, 0x3ff00000
	s_waitcnt lgkmcnt(0)
	v_cmp_neq_f64_e32 vcc, 0, v[2:3]
	v_cmp_neq_f64_e64 s[2:3], 0, v[4:5]
	s_or_b64 vcc, vcc, s[2:3]
	v_cndmask_b32_e32 v3, v6, v3, vcc
	s_nor_b64 s[4:5], vcc, s[0:1]
	v_cndmask_b32_e32 v2, 0, v2, vcc
	v_cndmask_b32_e32 v5, 0, v5, vcc
	;; [unrolled: 1-line block ×3, first 2 shown]
	s_and_saveexec_b64 s[2:3], s[4:5]
	s_cbranch_execz .LBB66_103
; %bb.100:
	v_mbcnt_lo_u32_b32 v2, exec_lo, 0
	v_mbcnt_hi_u32_b32 v2, exec_hi, v2
	v_cmp_eq_u32_e32 vcc, 0, v2
	s_and_saveexec_b64 s[4:5], vcc
	s_cbranch_execz .LBB66_102
; %bb.101:
	v_mov_b32_e32 v2, 0
	v_mov_b32_e32 v3, s14
	global_atomic_smin v2, v3, s[10:11]
.LBB66_102:
	s_or_b64 exec, exec, s[4:5]
	v_mov_b64_e32 v[4:5], 0
	v_mov_b64_e32 v[2:3], 1.0
.LBB66_103:
	s_or_b64 exec, exec, s[2:3]
	v_cmp_lt_u32_e32 vcc, 3, v21
	s_and_saveexec_b64 s[2:3], vcc
	s_cbranch_execz .LBB66_105
; %bb.104:
	v_mul_f64 v[6:7], v[4:5], v[4:5]
	v_fmac_f64_e32 v[6:7], v[2:3], v[2:3]
	ds_read_b128 v[12:15], v9 offset:48
	ds_read_b128 v[16:19], v24 offset:48
	v_div_scale_f64 v[26:27], s[4:5], v[6:7], v[6:7], 1.0
	v_rcp_f64_e32 v[28:29], v[26:27]
	s_waitcnt lgkmcnt(0)
	v_add_f64 v[16:17], v[12:13], -v[16:17]
	v_add_f64 v[14:15], v[14:15], -v[18:19]
	v_fma_f64 v[12:13], -v[26:27], v[28:29], 1.0
	v_fmac_f64_e32 v[28:29], v[28:29], v[12:13]
	v_fma_f64 v[12:13], -v[26:27], v[28:29], 1.0
	v_fmac_f64_e32 v[28:29], v[28:29], v[12:13]
	v_div_scale_f64 v[12:13], vcc, 1.0, v[6:7], 1.0
	v_mul_f64 v[18:19], v[12:13], v[28:29]
	v_fma_f64 v[12:13], -v[26:27], v[18:19], v[12:13]
	s_nop 1
	v_div_fmas_f64 v[12:13], v[12:13], v[28:29], v[18:19]
	v_div_fixup_f64 v[6:7], v[12:13], v[6:7], 1.0
	v_mul_f64 v[12:13], v[4:5], v[14:15]
	v_mul_f64 v[4:5], v[4:5], -v[16:17]
	v_fmac_f64_e32 v[12:13], v[16:17], v[2:3]
	v_fmac_f64_e32 v[4:5], v[14:15], v[2:3]
	v_mul_f64 v[12:13], v[6:7], v[12:13]
	v_mul_f64 v[14:15], v[6:7], v[4:5]
	ds_write_b128 v9, v[12:15] offset:48
	s_waitcnt lgkmcnt(0)
	ds_read_b128 v[2:5], v10 offset:48
	ds_read_b128 v[16:19], v22
	s_waitcnt lgkmcnt(0)
	v_fmac_f64_e32 v[16:17], v[12:13], v[2:3]
	v_fmac_f64_e32 v[18:19], v[14:15], v[2:3]
	;; [unrolled: 1-line block ×3, first 2 shown]
	v_fma_f64 v[18:19], v[12:13], -v[4:5], v[18:19]
	ds_write_b128 v22, v[16:19]
.LBB66_105:
	s_or_b64 exec, exec, s[2:3]
	v_cmp_eq_u32_e32 vcc, 4, v21
	s_waitcnt lgkmcnt(0)
	s_and_saveexec_b64 s[2:3], vcc
	s_cbranch_execz .LBB66_112
; %bb.106:
	v_mov_b32_e32 v6, 0
	ds_read_b128 v[2:5], v6 offset:4096
	ds_read_b128 v[12:15], v6 offset:2944
	s_waitcnt lgkmcnt(0)
	v_add_f64 v[2:3], v[12:13], -v[2:3]
	v_add_f64 v[6:7], v[14:15], -v[4:5]
	v_xor_b32_e32 v4, 0x80000000, v3
	v_cmp_gt_f64_e32 vcc, 0, v[2:3]
	v_xor_b32_e32 v5, 0x80000000, v7
	s_nop 0
	v_cndmask_b32_e32 v3, v3, v4, vcc
	v_cmp_gt_f64_e32 vcc, 0, v[6:7]
	v_mov_b32_e32 v4, v6
	s_nop 0
	v_cndmask_b32_e32 v5, v7, v5, vcc
	v_cmp_gt_f64_e32 vcc, v[2:3], v[4:5]
	s_cbranch_vccnz .LBB66_109
; %bb.107:
	v_cmp_eq_f64_e32 vcc, 0, v[6:7]
	s_mov_b64 s[4:5], 0
	s_cbranch_vccnz .LBB66_168
; %bb.108:
	v_div_scale_f64 v[6:7], s[12:13], v[4:5], v[4:5], v[2:3]
	v_rcp_f64_e32 v[12:13], v[6:7]
	v_div_scale_f64 v[14:15], vcc, v[2:3], v[4:5], v[2:3]
	s_mov_b32 s12, 0
	v_fma_f64 v[16:17], -v[6:7], v[12:13], 1.0
	v_fmac_f64_e32 v[12:13], v[12:13], v[16:17]
	v_fma_f64 v[16:17], -v[6:7], v[12:13], 1.0
	v_fmac_f64_e32 v[12:13], v[12:13], v[16:17]
	v_mul_f64 v[16:17], v[14:15], v[12:13]
	v_fma_f64 v[6:7], -v[6:7], v[16:17], v[14:15]
	v_div_fmas_f64 v[6:7], v[6:7], v[12:13], v[16:17]
	v_div_fixup_f64 v[6:7], v[6:7], v[4:5], v[2:3]
	v_fma_f64 v[6:7], v[6:7], v[6:7], 1.0
	s_brev_b32 s13, 8
	v_cmp_gt_f64_e32 vcc, s[12:13], v[6:7]
	s_and_b64 s[12:13], vcc, exec
	s_cselect_b32 s12, 0x100, 0
	v_ldexp_f64 v[6:7], v[6:7], s12
	v_rsq_f64_e32 v[12:13], v[6:7]
	s_cselect_b32 s12, 0xffffff80, 0
	v_mov_b32_e32 v11, 0x260
	v_cmp_class_f64_e32 vcc, v[6:7], v11
	v_mul_f64 v[14:15], v[6:7], v[12:13]
	v_mul_f64 v[12:13], v[12:13], 0.5
	v_fma_f64 v[16:17], -v[12:13], v[14:15], 0.5
	v_fmac_f64_e32 v[14:15], v[14:15], v[16:17]
	v_fma_f64 v[18:19], -v[14:15], v[14:15], v[6:7]
	v_fmac_f64_e32 v[12:13], v[12:13], v[16:17]
	v_fmac_f64_e32 v[14:15], v[18:19], v[12:13]
	v_fma_f64 v[16:17], -v[14:15], v[14:15], v[6:7]
	v_fmac_f64_e32 v[14:15], v[16:17], v[12:13]
	v_ldexp_f64 v[12:13], v[14:15], s12
	v_cndmask_b32_e32 v7, v13, v7, vcc
	v_cndmask_b32_e32 v6, v12, v6, vcc
	v_mul_f64 v[6:7], v[4:5], v[6:7]
	s_andn2_b64 vcc, exec, s[4:5]
	s_cbranch_vccz .LBB66_110
	s_branch .LBB66_111
.LBB66_109:
                                        ; implicit-def: $vgpr6_vgpr7
.LBB66_110:
	v_div_scale_f64 v[6:7], s[4:5], v[2:3], v[2:3], v[4:5]
	v_rcp_f64_e32 v[12:13], v[6:7]
	v_div_scale_f64 v[14:15], vcc, v[4:5], v[2:3], v[4:5]
	s_mov_b32 s4, 0
	v_fma_f64 v[16:17], -v[6:7], v[12:13], 1.0
	v_fmac_f64_e32 v[12:13], v[12:13], v[16:17]
	v_fma_f64 v[16:17], -v[6:7], v[12:13], 1.0
	v_fmac_f64_e32 v[12:13], v[12:13], v[16:17]
	v_mul_f64 v[16:17], v[14:15], v[12:13]
	v_fma_f64 v[6:7], -v[6:7], v[16:17], v[14:15]
	v_div_fmas_f64 v[6:7], v[6:7], v[12:13], v[16:17]
	v_div_fixup_f64 v[4:5], v[6:7], v[2:3], v[4:5]
	v_fma_f64 v[4:5], v[4:5], v[4:5], 1.0
	s_brev_b32 s5, 8
	v_cmp_gt_f64_e32 vcc, s[4:5], v[4:5]
	s_and_b64 s[4:5], vcc, exec
	s_cselect_b32 s4, 0x100, 0
	v_ldexp_f64 v[4:5], v[4:5], s4
	v_rsq_f64_e32 v[6:7], v[4:5]
	s_cselect_b32 s4, 0xffffff80, 0
	v_mov_b32_e32 v11, 0x260
	v_cmp_class_f64_e32 vcc, v[4:5], v11
	v_mul_f64 v[12:13], v[4:5], v[6:7]
	v_mul_f64 v[6:7], v[6:7], 0.5
	v_fma_f64 v[14:15], -v[6:7], v[12:13], 0.5
	v_fmac_f64_e32 v[12:13], v[12:13], v[14:15]
	v_fma_f64 v[16:17], -v[12:13], v[12:13], v[4:5]
	v_fmac_f64_e32 v[6:7], v[6:7], v[14:15]
	v_fmac_f64_e32 v[12:13], v[16:17], v[6:7]
	v_fma_f64 v[14:15], -v[12:13], v[12:13], v[4:5]
	v_fmac_f64_e32 v[12:13], v[14:15], v[6:7]
	v_ldexp_f64 v[6:7], v[12:13], s4
	v_cndmask_b32_e32 v5, v7, v5, vcc
	v_cndmask_b32_e32 v4, v6, v4, vcc
	v_mul_f64 v[6:7], v[2:3], v[4:5]
.LBB66_111:
	s_mov_b32 s4, 0
	s_brev_b32 s5, 8
	v_cmp_gt_f64_e32 vcc, s[4:5], v[6:7]
	s_and_b64 s[4:5], vcc, exec
	s_cselect_b32 s4, 0x100, 0
	v_ldexp_f64 v[2:3], v[6:7], s4
	v_rsq_f64_e32 v[4:5], v[2:3]
	s_cselect_b32 s4, 0xffffff80, 0
	v_mul_f64 v[6:7], v[2:3], v[4:5]
	v_mul_f64 v[4:5], v[4:5], 0.5
	v_fma_f64 v[12:13], -v[4:5], v[6:7], 0.5
	v_fmac_f64_e32 v[6:7], v[6:7], v[12:13]
	v_fmac_f64_e32 v[4:5], v[4:5], v[12:13]
	v_fma_f64 v[12:13], -v[6:7], v[6:7], v[2:3]
	v_fmac_f64_e32 v[6:7], v[12:13], v[4:5]
	v_fma_f64 v[12:13], -v[6:7], v[6:7], v[2:3]
	v_fmac_f64_e32 v[6:7], v[12:13], v[4:5]
	v_ldexp_f64 v[4:5], v[6:7], s4
	v_mov_b32_e32 v6, 0x260
	v_cmp_class_f64_e32 vcc, v[2:3], v6
	s_nop 1
	v_cndmask_b32_e32 v2, v4, v2, vcc
	v_mov_b32_e32 v4, 0
	v_cndmask_b32_e32 v3, v5, v3, vcc
	v_mov_b32_e32 v5, v4
	ds_write_b128 v4, v[2:5] offset:2944
.LBB66_112:
	s_or_b64 exec, exec, s[2:3]
	v_mov_b32_e32 v2, 0
	s_waitcnt lgkmcnt(0)
	ds_read_b128 v[2:5], v2 offset:2944
	v_mov_b32_e32 v6, 0x3ff00000
	s_waitcnt lgkmcnt(0)
	v_cmp_neq_f64_e32 vcc, 0, v[2:3]
	v_cmp_neq_f64_e64 s[2:3], 0, v[4:5]
	s_or_b64 vcc, vcc, s[2:3]
	v_cndmask_b32_e32 v3, v6, v3, vcc
	s_nor_b64 s[4:5], vcc, s[0:1]
	v_cndmask_b32_e32 v2, 0, v2, vcc
	v_cndmask_b32_e32 v5, 0, v5, vcc
	;; [unrolled: 1-line block ×3, first 2 shown]
	s_and_saveexec_b64 s[2:3], s[4:5]
	s_cbranch_execz .LBB66_116
; %bb.113:
	v_mbcnt_lo_u32_b32 v2, exec_lo, 0
	v_mbcnt_hi_u32_b32 v2, exec_hi, v2
	v_cmp_eq_u32_e32 vcc, 0, v2
	s_and_saveexec_b64 s[4:5], vcc
	s_cbranch_execz .LBB66_115
; %bb.114:
	v_mov_b32_e32 v2, 0
	v_mov_b32_e32 v3, s14
	global_atomic_smin v2, v3, s[10:11]
.LBB66_115:
	s_or_b64 exec, exec, s[4:5]
	v_mov_b64_e32 v[4:5], 0
	v_mov_b64_e32 v[2:3], 1.0
.LBB66_116:
	s_or_b64 exec, exec, s[2:3]
	v_cmp_lt_u32_e32 vcc, 4, v21
	s_and_saveexec_b64 s[2:3], vcc
	s_cbranch_execz .LBB66_118
; %bb.117:
	v_mul_f64 v[6:7], v[4:5], v[4:5]
	v_fmac_f64_e32 v[6:7], v[2:3], v[2:3]
	ds_read_b128 v[12:15], v9 offset:64
	ds_read_b128 v[16:19], v24 offset:64
	v_div_scale_f64 v[26:27], s[4:5], v[6:7], v[6:7], 1.0
	v_rcp_f64_e32 v[28:29], v[26:27]
	s_waitcnt lgkmcnt(0)
	v_add_f64 v[16:17], v[12:13], -v[16:17]
	v_add_f64 v[14:15], v[14:15], -v[18:19]
	v_fma_f64 v[12:13], -v[26:27], v[28:29], 1.0
	v_fmac_f64_e32 v[28:29], v[28:29], v[12:13]
	v_fma_f64 v[12:13], -v[26:27], v[28:29], 1.0
	v_fmac_f64_e32 v[28:29], v[28:29], v[12:13]
	v_div_scale_f64 v[12:13], vcc, 1.0, v[6:7], 1.0
	v_mul_f64 v[18:19], v[12:13], v[28:29]
	v_fma_f64 v[12:13], -v[26:27], v[18:19], v[12:13]
	s_nop 1
	v_div_fmas_f64 v[12:13], v[12:13], v[28:29], v[18:19]
	v_div_fixup_f64 v[6:7], v[12:13], v[6:7], 1.0
	v_mul_f64 v[12:13], v[4:5], v[14:15]
	v_mul_f64 v[4:5], v[4:5], -v[16:17]
	v_fmac_f64_e32 v[12:13], v[16:17], v[2:3]
	v_fmac_f64_e32 v[4:5], v[14:15], v[2:3]
	v_mul_f64 v[12:13], v[6:7], v[12:13]
	v_mul_f64 v[14:15], v[6:7], v[4:5]
	ds_write_b128 v9, v[12:15] offset:64
	s_waitcnt lgkmcnt(0)
	ds_read_b128 v[2:5], v10 offset:64
	ds_read_b128 v[16:19], v22
	s_waitcnt lgkmcnt(0)
	v_fmac_f64_e32 v[16:17], v[12:13], v[2:3]
	v_fmac_f64_e32 v[18:19], v[14:15], v[2:3]
	;; [unrolled: 1-line block ×3, first 2 shown]
	v_fma_f64 v[18:19], v[12:13], -v[4:5], v[18:19]
	ds_write_b128 v22, v[16:19]
.LBB66_118:
	s_or_b64 exec, exec, s[2:3]
	v_cmp_eq_u32_e32 vcc, 5, v21
	s_waitcnt lgkmcnt(0)
	s_and_saveexec_b64 s[2:3], vcc
	s_cbranch_execz .LBB66_125
; %bb.119:
	v_mov_b32_e32 v6, 0
	ds_read_b128 v[2:5], v6 offset:4256
	ds_read_b128 v[12:15], v6 offset:3104
	s_waitcnt lgkmcnt(0)
	v_add_f64 v[2:3], v[12:13], -v[2:3]
	v_add_f64 v[6:7], v[14:15], -v[4:5]
	v_xor_b32_e32 v4, 0x80000000, v3
	v_cmp_gt_f64_e32 vcc, 0, v[2:3]
	v_xor_b32_e32 v5, 0x80000000, v7
	s_nop 0
	v_cndmask_b32_e32 v3, v3, v4, vcc
	v_cmp_gt_f64_e32 vcc, 0, v[6:7]
	v_mov_b32_e32 v4, v6
	s_nop 0
	v_cndmask_b32_e32 v5, v7, v5, vcc
	v_cmp_gt_f64_e32 vcc, v[2:3], v[4:5]
	s_cbranch_vccnz .LBB66_122
; %bb.120:
	v_cmp_eq_f64_e32 vcc, 0, v[6:7]
	s_mov_b64 s[4:5], 0
	s_cbranch_vccnz .LBB66_169
; %bb.121:
	v_div_scale_f64 v[6:7], s[12:13], v[4:5], v[4:5], v[2:3]
	v_rcp_f64_e32 v[12:13], v[6:7]
	v_div_scale_f64 v[14:15], vcc, v[2:3], v[4:5], v[2:3]
	s_mov_b32 s12, 0
	v_fma_f64 v[16:17], -v[6:7], v[12:13], 1.0
	v_fmac_f64_e32 v[12:13], v[12:13], v[16:17]
	v_fma_f64 v[16:17], -v[6:7], v[12:13], 1.0
	v_fmac_f64_e32 v[12:13], v[12:13], v[16:17]
	v_mul_f64 v[16:17], v[14:15], v[12:13]
	v_fma_f64 v[6:7], -v[6:7], v[16:17], v[14:15]
	v_div_fmas_f64 v[6:7], v[6:7], v[12:13], v[16:17]
	v_div_fixup_f64 v[6:7], v[6:7], v[4:5], v[2:3]
	v_fma_f64 v[6:7], v[6:7], v[6:7], 1.0
	s_brev_b32 s13, 8
	v_cmp_gt_f64_e32 vcc, s[12:13], v[6:7]
	s_and_b64 s[12:13], vcc, exec
	s_cselect_b32 s12, 0x100, 0
	v_ldexp_f64 v[6:7], v[6:7], s12
	v_rsq_f64_e32 v[12:13], v[6:7]
	s_cselect_b32 s12, 0xffffff80, 0
	v_mov_b32_e32 v11, 0x260
	v_cmp_class_f64_e32 vcc, v[6:7], v11
	v_mul_f64 v[14:15], v[6:7], v[12:13]
	v_mul_f64 v[12:13], v[12:13], 0.5
	v_fma_f64 v[16:17], -v[12:13], v[14:15], 0.5
	v_fmac_f64_e32 v[14:15], v[14:15], v[16:17]
	v_fma_f64 v[18:19], -v[14:15], v[14:15], v[6:7]
	v_fmac_f64_e32 v[12:13], v[12:13], v[16:17]
	v_fmac_f64_e32 v[14:15], v[18:19], v[12:13]
	v_fma_f64 v[16:17], -v[14:15], v[14:15], v[6:7]
	v_fmac_f64_e32 v[14:15], v[16:17], v[12:13]
	v_ldexp_f64 v[12:13], v[14:15], s12
	v_cndmask_b32_e32 v7, v13, v7, vcc
	v_cndmask_b32_e32 v6, v12, v6, vcc
	v_mul_f64 v[6:7], v[4:5], v[6:7]
	s_andn2_b64 vcc, exec, s[4:5]
	s_cbranch_vccz .LBB66_123
	s_branch .LBB66_124
.LBB66_122:
                                        ; implicit-def: $vgpr6_vgpr7
.LBB66_123:
	v_div_scale_f64 v[6:7], s[4:5], v[2:3], v[2:3], v[4:5]
	v_rcp_f64_e32 v[12:13], v[6:7]
	v_div_scale_f64 v[14:15], vcc, v[4:5], v[2:3], v[4:5]
	s_mov_b32 s4, 0
	v_fma_f64 v[16:17], -v[6:7], v[12:13], 1.0
	v_fmac_f64_e32 v[12:13], v[12:13], v[16:17]
	v_fma_f64 v[16:17], -v[6:7], v[12:13], 1.0
	v_fmac_f64_e32 v[12:13], v[12:13], v[16:17]
	v_mul_f64 v[16:17], v[14:15], v[12:13]
	v_fma_f64 v[6:7], -v[6:7], v[16:17], v[14:15]
	v_div_fmas_f64 v[6:7], v[6:7], v[12:13], v[16:17]
	v_div_fixup_f64 v[4:5], v[6:7], v[2:3], v[4:5]
	v_fma_f64 v[4:5], v[4:5], v[4:5], 1.0
	s_brev_b32 s5, 8
	v_cmp_gt_f64_e32 vcc, s[4:5], v[4:5]
	s_and_b64 s[4:5], vcc, exec
	s_cselect_b32 s4, 0x100, 0
	v_ldexp_f64 v[4:5], v[4:5], s4
	v_rsq_f64_e32 v[6:7], v[4:5]
	s_cselect_b32 s4, 0xffffff80, 0
	v_mov_b32_e32 v11, 0x260
	v_cmp_class_f64_e32 vcc, v[4:5], v11
	v_mul_f64 v[12:13], v[4:5], v[6:7]
	v_mul_f64 v[6:7], v[6:7], 0.5
	v_fma_f64 v[14:15], -v[6:7], v[12:13], 0.5
	v_fmac_f64_e32 v[12:13], v[12:13], v[14:15]
	v_fma_f64 v[16:17], -v[12:13], v[12:13], v[4:5]
	v_fmac_f64_e32 v[6:7], v[6:7], v[14:15]
	v_fmac_f64_e32 v[12:13], v[16:17], v[6:7]
	v_fma_f64 v[14:15], -v[12:13], v[12:13], v[4:5]
	v_fmac_f64_e32 v[12:13], v[14:15], v[6:7]
	v_ldexp_f64 v[6:7], v[12:13], s4
	v_cndmask_b32_e32 v5, v7, v5, vcc
	v_cndmask_b32_e32 v4, v6, v4, vcc
	v_mul_f64 v[6:7], v[2:3], v[4:5]
.LBB66_124:
	s_mov_b32 s4, 0
	s_brev_b32 s5, 8
	v_cmp_gt_f64_e32 vcc, s[4:5], v[6:7]
	s_and_b64 s[4:5], vcc, exec
	s_cselect_b32 s4, 0x100, 0
	v_ldexp_f64 v[2:3], v[6:7], s4
	v_rsq_f64_e32 v[4:5], v[2:3]
	s_cselect_b32 s4, 0xffffff80, 0
	v_mul_f64 v[6:7], v[2:3], v[4:5]
	v_mul_f64 v[4:5], v[4:5], 0.5
	v_fma_f64 v[12:13], -v[4:5], v[6:7], 0.5
	v_fmac_f64_e32 v[6:7], v[6:7], v[12:13]
	v_fmac_f64_e32 v[4:5], v[4:5], v[12:13]
	v_fma_f64 v[12:13], -v[6:7], v[6:7], v[2:3]
	v_fmac_f64_e32 v[6:7], v[12:13], v[4:5]
	v_fma_f64 v[12:13], -v[6:7], v[6:7], v[2:3]
	v_fmac_f64_e32 v[6:7], v[12:13], v[4:5]
	v_ldexp_f64 v[4:5], v[6:7], s4
	v_mov_b32_e32 v6, 0x260
	v_cmp_class_f64_e32 vcc, v[2:3], v6
	s_nop 1
	v_cndmask_b32_e32 v2, v4, v2, vcc
	v_mov_b32_e32 v4, 0
	v_cndmask_b32_e32 v3, v5, v3, vcc
	v_mov_b32_e32 v5, v4
	ds_write_b128 v4, v[2:5] offset:3104
.LBB66_125:
	s_or_b64 exec, exec, s[2:3]
	v_mov_b32_e32 v2, 0
	s_waitcnt lgkmcnt(0)
	ds_read_b128 v[2:5], v2 offset:3104
	v_mov_b32_e32 v6, 0x3ff00000
	s_waitcnt lgkmcnt(0)
	v_cmp_neq_f64_e32 vcc, 0, v[2:3]
	v_cmp_neq_f64_e64 s[2:3], 0, v[4:5]
	s_or_b64 vcc, vcc, s[2:3]
	v_cndmask_b32_e32 v3, v6, v3, vcc
	s_nor_b64 s[4:5], vcc, s[0:1]
	v_cndmask_b32_e32 v2, 0, v2, vcc
	v_cndmask_b32_e32 v5, 0, v5, vcc
	;; [unrolled: 1-line block ×3, first 2 shown]
	s_and_saveexec_b64 s[2:3], s[4:5]
	s_cbranch_execz .LBB66_129
; %bb.126:
	v_mbcnt_lo_u32_b32 v2, exec_lo, 0
	v_mbcnt_hi_u32_b32 v2, exec_hi, v2
	v_cmp_eq_u32_e32 vcc, 0, v2
	s_and_saveexec_b64 s[4:5], vcc
	s_cbranch_execz .LBB66_128
; %bb.127:
	v_mov_b32_e32 v2, 0
	v_mov_b32_e32 v3, s14
	global_atomic_smin v2, v3, s[10:11]
.LBB66_128:
	s_or_b64 exec, exec, s[4:5]
	v_mov_b64_e32 v[4:5], 0
	v_mov_b64_e32 v[2:3], 1.0
.LBB66_129:
	s_or_b64 exec, exec, s[2:3]
	v_cmp_lt_u32_e32 vcc, 5, v21
	s_and_saveexec_b64 s[2:3], vcc
	s_cbranch_execz .LBB66_131
; %bb.130:
	v_mul_f64 v[6:7], v[4:5], v[4:5]
	v_fmac_f64_e32 v[6:7], v[2:3], v[2:3]
	ds_read_b128 v[12:15], v9 offset:80
	ds_read_b128 v[16:19], v24 offset:80
	v_div_scale_f64 v[26:27], s[4:5], v[6:7], v[6:7], 1.0
	v_rcp_f64_e32 v[28:29], v[26:27]
	s_waitcnt lgkmcnt(0)
	v_add_f64 v[16:17], v[12:13], -v[16:17]
	v_add_f64 v[14:15], v[14:15], -v[18:19]
	v_fma_f64 v[12:13], -v[26:27], v[28:29], 1.0
	v_fmac_f64_e32 v[28:29], v[28:29], v[12:13]
	v_fma_f64 v[12:13], -v[26:27], v[28:29], 1.0
	v_fmac_f64_e32 v[28:29], v[28:29], v[12:13]
	v_div_scale_f64 v[12:13], vcc, 1.0, v[6:7], 1.0
	v_mul_f64 v[18:19], v[12:13], v[28:29]
	v_fma_f64 v[12:13], -v[26:27], v[18:19], v[12:13]
	s_nop 1
	v_div_fmas_f64 v[12:13], v[12:13], v[28:29], v[18:19]
	v_div_fixup_f64 v[6:7], v[12:13], v[6:7], 1.0
	v_mul_f64 v[12:13], v[4:5], v[14:15]
	v_mul_f64 v[4:5], v[4:5], -v[16:17]
	v_fmac_f64_e32 v[12:13], v[16:17], v[2:3]
	v_fmac_f64_e32 v[4:5], v[14:15], v[2:3]
	v_mul_f64 v[12:13], v[6:7], v[12:13]
	v_mul_f64 v[14:15], v[6:7], v[4:5]
	ds_write_b128 v9, v[12:15] offset:80
	s_waitcnt lgkmcnt(0)
	ds_read_b128 v[2:5], v10 offset:80
	ds_read_b128 v[16:19], v22
	s_waitcnt lgkmcnt(0)
	v_fmac_f64_e32 v[16:17], v[12:13], v[2:3]
	v_fmac_f64_e32 v[18:19], v[14:15], v[2:3]
	;; [unrolled: 1-line block ×3, first 2 shown]
	v_fma_f64 v[18:19], v[12:13], -v[4:5], v[18:19]
	ds_write_b128 v22, v[16:19]
.LBB66_131:
	s_or_b64 exec, exec, s[2:3]
	v_cmp_eq_u32_e32 vcc, 6, v21
	s_waitcnt lgkmcnt(0)
	s_and_saveexec_b64 s[2:3], vcc
	s_cbranch_execz .LBB66_138
; %bb.132:
	v_mov_b32_e32 v6, 0
	ds_read_b128 v[2:5], v6 offset:4416
	ds_read_b128 v[12:15], v6 offset:3264
	s_waitcnt lgkmcnt(0)
	v_add_f64 v[2:3], v[12:13], -v[2:3]
	v_add_f64 v[6:7], v[14:15], -v[4:5]
	v_xor_b32_e32 v4, 0x80000000, v3
	v_cmp_gt_f64_e32 vcc, 0, v[2:3]
	v_xor_b32_e32 v5, 0x80000000, v7
	s_nop 0
	v_cndmask_b32_e32 v3, v3, v4, vcc
	v_cmp_gt_f64_e32 vcc, 0, v[6:7]
	v_mov_b32_e32 v4, v6
	s_nop 0
	v_cndmask_b32_e32 v5, v7, v5, vcc
	v_cmp_gt_f64_e32 vcc, v[2:3], v[4:5]
	s_cbranch_vccnz .LBB66_135
; %bb.133:
	v_cmp_eq_f64_e32 vcc, 0, v[6:7]
	s_mov_b64 s[4:5], 0
	s_cbranch_vccnz .LBB66_170
; %bb.134:
	v_div_scale_f64 v[6:7], s[12:13], v[4:5], v[4:5], v[2:3]
	v_rcp_f64_e32 v[12:13], v[6:7]
	v_div_scale_f64 v[14:15], vcc, v[2:3], v[4:5], v[2:3]
	s_mov_b32 s12, 0
	v_fma_f64 v[16:17], -v[6:7], v[12:13], 1.0
	v_fmac_f64_e32 v[12:13], v[12:13], v[16:17]
	v_fma_f64 v[16:17], -v[6:7], v[12:13], 1.0
	v_fmac_f64_e32 v[12:13], v[12:13], v[16:17]
	v_mul_f64 v[16:17], v[14:15], v[12:13]
	v_fma_f64 v[6:7], -v[6:7], v[16:17], v[14:15]
	v_div_fmas_f64 v[6:7], v[6:7], v[12:13], v[16:17]
	v_div_fixup_f64 v[6:7], v[6:7], v[4:5], v[2:3]
	v_fma_f64 v[6:7], v[6:7], v[6:7], 1.0
	s_brev_b32 s13, 8
	v_cmp_gt_f64_e32 vcc, s[12:13], v[6:7]
	s_and_b64 s[12:13], vcc, exec
	s_cselect_b32 s12, 0x100, 0
	v_ldexp_f64 v[6:7], v[6:7], s12
	v_rsq_f64_e32 v[12:13], v[6:7]
	s_cselect_b32 s12, 0xffffff80, 0
	v_mov_b32_e32 v11, 0x260
	v_cmp_class_f64_e32 vcc, v[6:7], v11
	v_mul_f64 v[14:15], v[6:7], v[12:13]
	v_mul_f64 v[12:13], v[12:13], 0.5
	v_fma_f64 v[16:17], -v[12:13], v[14:15], 0.5
	v_fmac_f64_e32 v[14:15], v[14:15], v[16:17]
	v_fma_f64 v[18:19], -v[14:15], v[14:15], v[6:7]
	v_fmac_f64_e32 v[12:13], v[12:13], v[16:17]
	v_fmac_f64_e32 v[14:15], v[18:19], v[12:13]
	v_fma_f64 v[16:17], -v[14:15], v[14:15], v[6:7]
	v_fmac_f64_e32 v[14:15], v[16:17], v[12:13]
	v_ldexp_f64 v[12:13], v[14:15], s12
	v_cndmask_b32_e32 v7, v13, v7, vcc
	v_cndmask_b32_e32 v6, v12, v6, vcc
	v_mul_f64 v[6:7], v[4:5], v[6:7]
	s_andn2_b64 vcc, exec, s[4:5]
	s_cbranch_vccz .LBB66_136
	s_branch .LBB66_137
.LBB66_135:
                                        ; implicit-def: $vgpr6_vgpr7
.LBB66_136:
	v_div_scale_f64 v[6:7], s[4:5], v[2:3], v[2:3], v[4:5]
	v_rcp_f64_e32 v[12:13], v[6:7]
	v_div_scale_f64 v[14:15], vcc, v[4:5], v[2:3], v[4:5]
	s_mov_b32 s4, 0
	v_fma_f64 v[16:17], -v[6:7], v[12:13], 1.0
	v_fmac_f64_e32 v[12:13], v[12:13], v[16:17]
	v_fma_f64 v[16:17], -v[6:7], v[12:13], 1.0
	v_fmac_f64_e32 v[12:13], v[12:13], v[16:17]
	v_mul_f64 v[16:17], v[14:15], v[12:13]
	v_fma_f64 v[6:7], -v[6:7], v[16:17], v[14:15]
	v_div_fmas_f64 v[6:7], v[6:7], v[12:13], v[16:17]
	v_div_fixup_f64 v[4:5], v[6:7], v[2:3], v[4:5]
	v_fma_f64 v[4:5], v[4:5], v[4:5], 1.0
	s_brev_b32 s5, 8
	v_cmp_gt_f64_e32 vcc, s[4:5], v[4:5]
	s_and_b64 s[4:5], vcc, exec
	s_cselect_b32 s4, 0x100, 0
	v_ldexp_f64 v[4:5], v[4:5], s4
	v_rsq_f64_e32 v[6:7], v[4:5]
	s_cselect_b32 s4, 0xffffff80, 0
	v_mov_b32_e32 v11, 0x260
	v_cmp_class_f64_e32 vcc, v[4:5], v11
	v_mul_f64 v[12:13], v[4:5], v[6:7]
	v_mul_f64 v[6:7], v[6:7], 0.5
	v_fma_f64 v[14:15], -v[6:7], v[12:13], 0.5
	v_fmac_f64_e32 v[12:13], v[12:13], v[14:15]
	v_fma_f64 v[16:17], -v[12:13], v[12:13], v[4:5]
	v_fmac_f64_e32 v[6:7], v[6:7], v[14:15]
	v_fmac_f64_e32 v[12:13], v[16:17], v[6:7]
	v_fma_f64 v[14:15], -v[12:13], v[12:13], v[4:5]
	v_fmac_f64_e32 v[12:13], v[14:15], v[6:7]
	v_ldexp_f64 v[6:7], v[12:13], s4
	v_cndmask_b32_e32 v5, v7, v5, vcc
	v_cndmask_b32_e32 v4, v6, v4, vcc
	v_mul_f64 v[6:7], v[2:3], v[4:5]
.LBB66_137:
	s_mov_b32 s4, 0
	s_brev_b32 s5, 8
	v_cmp_gt_f64_e32 vcc, s[4:5], v[6:7]
	s_and_b64 s[4:5], vcc, exec
	s_cselect_b32 s4, 0x100, 0
	v_ldexp_f64 v[2:3], v[6:7], s4
	v_rsq_f64_e32 v[4:5], v[2:3]
	s_cselect_b32 s4, 0xffffff80, 0
	v_mul_f64 v[6:7], v[2:3], v[4:5]
	v_mul_f64 v[4:5], v[4:5], 0.5
	v_fma_f64 v[12:13], -v[4:5], v[6:7], 0.5
	v_fmac_f64_e32 v[6:7], v[6:7], v[12:13]
	v_fmac_f64_e32 v[4:5], v[4:5], v[12:13]
	v_fma_f64 v[12:13], -v[6:7], v[6:7], v[2:3]
	v_fmac_f64_e32 v[6:7], v[12:13], v[4:5]
	v_fma_f64 v[12:13], -v[6:7], v[6:7], v[2:3]
	v_fmac_f64_e32 v[6:7], v[12:13], v[4:5]
	v_ldexp_f64 v[4:5], v[6:7], s4
	v_mov_b32_e32 v6, 0x260
	v_cmp_class_f64_e32 vcc, v[2:3], v6
	s_nop 1
	v_cndmask_b32_e32 v2, v4, v2, vcc
	v_mov_b32_e32 v4, 0
	v_cndmask_b32_e32 v3, v5, v3, vcc
	v_mov_b32_e32 v5, v4
	ds_write_b128 v4, v[2:5] offset:3264
.LBB66_138:
	s_or_b64 exec, exec, s[2:3]
	v_mov_b32_e32 v2, 0
	s_waitcnt lgkmcnt(0)
	ds_read_b128 v[2:5], v2 offset:3264
	v_mov_b32_e32 v6, 0x3ff00000
	s_waitcnt lgkmcnt(0)
	v_cmp_neq_f64_e32 vcc, 0, v[2:3]
	v_cmp_neq_f64_e64 s[2:3], 0, v[4:5]
	s_or_b64 vcc, vcc, s[2:3]
	v_cndmask_b32_e32 v3, v6, v3, vcc
	s_nor_b64 s[4:5], vcc, s[0:1]
	v_cndmask_b32_e32 v2, 0, v2, vcc
	v_cndmask_b32_e32 v5, 0, v5, vcc
	;; [unrolled: 1-line block ×3, first 2 shown]
	s_and_saveexec_b64 s[2:3], s[4:5]
	s_cbranch_execz .LBB66_142
; %bb.139:
	v_mbcnt_lo_u32_b32 v2, exec_lo, 0
	v_mbcnt_hi_u32_b32 v2, exec_hi, v2
	v_cmp_eq_u32_e32 vcc, 0, v2
	s_and_saveexec_b64 s[4:5], vcc
	s_cbranch_execz .LBB66_141
; %bb.140:
	v_mov_b32_e32 v2, 0
	v_mov_b32_e32 v3, s14
	global_atomic_smin v2, v3, s[10:11]
.LBB66_141:
	s_or_b64 exec, exec, s[4:5]
	v_mov_b64_e32 v[4:5], 0
	v_mov_b64_e32 v[2:3], 1.0
.LBB66_142:
	s_or_b64 exec, exec, s[2:3]
	v_cmp_lt_u32_e32 vcc, 6, v21
	s_and_saveexec_b64 s[2:3], vcc
	s_cbranch_execz .LBB66_144
; %bb.143:
	v_mul_f64 v[6:7], v[4:5], v[4:5]
	v_fmac_f64_e32 v[6:7], v[2:3], v[2:3]
	ds_read_b128 v[12:15], v9 offset:96
	ds_read_b128 v[16:19], v24 offset:96
	v_div_scale_f64 v[26:27], s[4:5], v[6:7], v[6:7], 1.0
	v_rcp_f64_e32 v[28:29], v[26:27]
	s_waitcnt lgkmcnt(0)
	v_add_f64 v[16:17], v[12:13], -v[16:17]
	v_add_f64 v[14:15], v[14:15], -v[18:19]
	v_fma_f64 v[12:13], -v[26:27], v[28:29], 1.0
	v_fmac_f64_e32 v[28:29], v[28:29], v[12:13]
	v_fma_f64 v[12:13], -v[26:27], v[28:29], 1.0
	v_fmac_f64_e32 v[28:29], v[28:29], v[12:13]
	v_div_scale_f64 v[12:13], vcc, 1.0, v[6:7], 1.0
	v_mul_f64 v[18:19], v[12:13], v[28:29]
	v_fma_f64 v[12:13], -v[26:27], v[18:19], v[12:13]
	s_nop 1
	v_div_fmas_f64 v[12:13], v[12:13], v[28:29], v[18:19]
	v_div_fixup_f64 v[6:7], v[12:13], v[6:7], 1.0
	v_mul_f64 v[12:13], v[4:5], v[14:15]
	v_mul_f64 v[4:5], v[4:5], -v[16:17]
	v_fmac_f64_e32 v[12:13], v[16:17], v[2:3]
	v_fmac_f64_e32 v[4:5], v[14:15], v[2:3]
	v_mul_f64 v[12:13], v[6:7], v[12:13]
	v_mul_f64 v[14:15], v[6:7], v[4:5]
	ds_write_b128 v9, v[12:15] offset:96
	s_waitcnt lgkmcnt(0)
	ds_read_b128 v[2:5], v10 offset:96
	ds_read_b128 v[16:19], v22
	s_waitcnt lgkmcnt(0)
	v_fmac_f64_e32 v[16:17], v[12:13], v[2:3]
	v_fmac_f64_e32 v[18:19], v[14:15], v[2:3]
	;; [unrolled: 1-line block ×3, first 2 shown]
	v_fma_f64 v[18:19], v[12:13], -v[4:5], v[18:19]
	ds_write_b128 v22, v[16:19]
.LBB66_144:
	s_or_b64 exec, exec, s[2:3]
	v_cmp_eq_u32_e32 vcc, 7, v21
	s_waitcnt lgkmcnt(0)
	s_and_saveexec_b64 s[2:3], vcc
	s_cbranch_execz .LBB66_151
; %bb.145:
	v_mov_b32_e32 v6, 0
	ds_read_b128 v[2:5], v6 offset:4576
	ds_read_b128 v[12:15], v6 offset:3424
	s_waitcnt lgkmcnt(0)
	v_add_f64 v[2:3], v[12:13], -v[2:3]
	v_add_f64 v[6:7], v[14:15], -v[4:5]
	v_xor_b32_e32 v4, 0x80000000, v3
	v_cmp_gt_f64_e32 vcc, 0, v[2:3]
	v_xor_b32_e32 v5, 0x80000000, v7
	s_nop 0
	v_cndmask_b32_e32 v3, v3, v4, vcc
	v_cmp_gt_f64_e32 vcc, 0, v[6:7]
	v_mov_b32_e32 v4, v6
	s_nop 0
	v_cndmask_b32_e32 v5, v7, v5, vcc
	v_cmp_gt_f64_e32 vcc, v[2:3], v[4:5]
	s_cbranch_vccnz .LBB66_148
; %bb.146:
	v_cmp_eq_f64_e32 vcc, 0, v[6:7]
	s_mov_b64 s[4:5], 0
	s_cbranch_vccnz .LBB66_171
; %bb.147:
	v_div_scale_f64 v[6:7], s[12:13], v[4:5], v[4:5], v[2:3]
	v_rcp_f64_e32 v[12:13], v[6:7]
	v_div_scale_f64 v[14:15], vcc, v[2:3], v[4:5], v[2:3]
	s_mov_b32 s12, 0
	v_fma_f64 v[16:17], -v[6:7], v[12:13], 1.0
	v_fmac_f64_e32 v[12:13], v[12:13], v[16:17]
	v_fma_f64 v[16:17], -v[6:7], v[12:13], 1.0
	v_fmac_f64_e32 v[12:13], v[12:13], v[16:17]
	v_mul_f64 v[16:17], v[14:15], v[12:13]
	v_fma_f64 v[6:7], -v[6:7], v[16:17], v[14:15]
	v_div_fmas_f64 v[6:7], v[6:7], v[12:13], v[16:17]
	v_div_fixup_f64 v[6:7], v[6:7], v[4:5], v[2:3]
	v_fma_f64 v[6:7], v[6:7], v[6:7], 1.0
	s_brev_b32 s13, 8
	v_cmp_gt_f64_e32 vcc, s[12:13], v[6:7]
	s_and_b64 s[12:13], vcc, exec
	s_cselect_b32 s12, 0x100, 0
	v_ldexp_f64 v[6:7], v[6:7], s12
	v_rsq_f64_e32 v[12:13], v[6:7]
	s_cselect_b32 s12, 0xffffff80, 0
	v_mov_b32_e32 v11, 0x260
	v_cmp_class_f64_e32 vcc, v[6:7], v11
	v_mul_f64 v[14:15], v[6:7], v[12:13]
	v_mul_f64 v[12:13], v[12:13], 0.5
	v_fma_f64 v[16:17], -v[12:13], v[14:15], 0.5
	v_fmac_f64_e32 v[14:15], v[14:15], v[16:17]
	v_fma_f64 v[18:19], -v[14:15], v[14:15], v[6:7]
	v_fmac_f64_e32 v[12:13], v[12:13], v[16:17]
	v_fmac_f64_e32 v[14:15], v[18:19], v[12:13]
	v_fma_f64 v[16:17], -v[14:15], v[14:15], v[6:7]
	v_fmac_f64_e32 v[14:15], v[16:17], v[12:13]
	v_ldexp_f64 v[12:13], v[14:15], s12
	v_cndmask_b32_e32 v7, v13, v7, vcc
	v_cndmask_b32_e32 v6, v12, v6, vcc
	v_mul_f64 v[6:7], v[4:5], v[6:7]
	s_andn2_b64 vcc, exec, s[4:5]
	s_cbranch_vccz .LBB66_149
	s_branch .LBB66_150
.LBB66_148:
                                        ; implicit-def: $vgpr6_vgpr7
.LBB66_149:
	v_div_scale_f64 v[6:7], s[4:5], v[2:3], v[2:3], v[4:5]
	v_rcp_f64_e32 v[12:13], v[6:7]
	v_div_scale_f64 v[14:15], vcc, v[4:5], v[2:3], v[4:5]
	s_mov_b32 s4, 0
	v_fma_f64 v[16:17], -v[6:7], v[12:13], 1.0
	v_fmac_f64_e32 v[12:13], v[12:13], v[16:17]
	v_fma_f64 v[16:17], -v[6:7], v[12:13], 1.0
	v_fmac_f64_e32 v[12:13], v[12:13], v[16:17]
	v_mul_f64 v[16:17], v[14:15], v[12:13]
	v_fma_f64 v[6:7], -v[6:7], v[16:17], v[14:15]
	v_div_fmas_f64 v[6:7], v[6:7], v[12:13], v[16:17]
	v_div_fixup_f64 v[4:5], v[6:7], v[2:3], v[4:5]
	v_fma_f64 v[4:5], v[4:5], v[4:5], 1.0
	s_brev_b32 s5, 8
	v_cmp_gt_f64_e32 vcc, s[4:5], v[4:5]
	s_and_b64 s[4:5], vcc, exec
	s_cselect_b32 s4, 0x100, 0
	v_ldexp_f64 v[4:5], v[4:5], s4
	v_rsq_f64_e32 v[6:7], v[4:5]
	s_cselect_b32 s4, 0xffffff80, 0
	v_mov_b32_e32 v11, 0x260
	v_cmp_class_f64_e32 vcc, v[4:5], v11
	v_mul_f64 v[12:13], v[4:5], v[6:7]
	v_mul_f64 v[6:7], v[6:7], 0.5
	v_fma_f64 v[14:15], -v[6:7], v[12:13], 0.5
	v_fmac_f64_e32 v[12:13], v[12:13], v[14:15]
	v_fma_f64 v[16:17], -v[12:13], v[12:13], v[4:5]
	v_fmac_f64_e32 v[6:7], v[6:7], v[14:15]
	v_fmac_f64_e32 v[12:13], v[16:17], v[6:7]
	v_fma_f64 v[14:15], -v[12:13], v[12:13], v[4:5]
	v_fmac_f64_e32 v[12:13], v[14:15], v[6:7]
	v_ldexp_f64 v[6:7], v[12:13], s4
	v_cndmask_b32_e32 v5, v7, v5, vcc
	v_cndmask_b32_e32 v4, v6, v4, vcc
	v_mul_f64 v[6:7], v[2:3], v[4:5]
.LBB66_150:
	s_mov_b32 s4, 0
	s_brev_b32 s5, 8
	v_cmp_gt_f64_e32 vcc, s[4:5], v[6:7]
	s_and_b64 s[4:5], vcc, exec
	s_cselect_b32 s4, 0x100, 0
	v_ldexp_f64 v[2:3], v[6:7], s4
	v_rsq_f64_e32 v[4:5], v[2:3]
	s_cselect_b32 s4, 0xffffff80, 0
	v_mul_f64 v[6:7], v[2:3], v[4:5]
	v_mul_f64 v[4:5], v[4:5], 0.5
	v_fma_f64 v[12:13], -v[4:5], v[6:7], 0.5
	v_fmac_f64_e32 v[6:7], v[6:7], v[12:13]
	v_fmac_f64_e32 v[4:5], v[4:5], v[12:13]
	v_fma_f64 v[12:13], -v[6:7], v[6:7], v[2:3]
	v_fmac_f64_e32 v[6:7], v[12:13], v[4:5]
	v_fma_f64 v[12:13], -v[6:7], v[6:7], v[2:3]
	v_fmac_f64_e32 v[6:7], v[12:13], v[4:5]
	v_ldexp_f64 v[4:5], v[6:7], s4
	v_mov_b32_e32 v6, 0x260
	v_cmp_class_f64_e32 vcc, v[2:3], v6
	s_nop 1
	v_cndmask_b32_e32 v2, v4, v2, vcc
	v_mov_b32_e32 v4, 0
	v_cndmask_b32_e32 v3, v5, v3, vcc
	v_mov_b32_e32 v5, v4
	ds_write_b128 v4, v[2:5] offset:3424
.LBB66_151:
	s_or_b64 exec, exec, s[2:3]
	v_mov_b32_e32 v2, 0
	s_waitcnt lgkmcnt(0)
	ds_read_b128 v[2:5], v2 offset:3424
	v_mov_b32_e32 v6, 0x3ff00000
	s_waitcnt lgkmcnt(0)
	v_cmp_neq_f64_e32 vcc, 0, v[2:3]
	v_cmp_neq_f64_e64 s[2:3], 0, v[4:5]
	s_or_b64 vcc, vcc, s[2:3]
	v_cndmask_b32_e32 v3, v6, v3, vcc
	s_nor_b64 s[2:3], vcc, s[0:1]
	v_cndmask_b32_e32 v2, 0, v2, vcc
	v_cndmask_b32_e32 v5, 0, v5, vcc
	;; [unrolled: 1-line block ×3, first 2 shown]
	s_and_saveexec_b64 s[0:1], s[2:3]
	s_cbranch_execz .LBB66_155
; %bb.152:
	v_mbcnt_lo_u32_b32 v2, exec_lo, 0
	v_mbcnt_hi_u32_b32 v2, exec_hi, v2
	v_cmp_eq_u32_e32 vcc, 0, v2
	s_and_saveexec_b64 s[2:3], vcc
	s_cbranch_execz .LBB66_154
; %bb.153:
	v_mov_b32_e32 v2, 0
	v_mov_b32_e32 v3, s14
	global_atomic_smin v2, v3, s[10:11]
.LBB66_154:
	s_or_b64 exec, exec, s[2:3]
	v_mov_b64_e32 v[4:5], 0
	v_mov_b64_e32 v[2:3], 1.0
.LBB66_155:
	s_or_b64 exec, exec, s[0:1]
	v_cmp_lt_u32_e32 vcc, 7, v21
	s_and_saveexec_b64 s[0:1], vcc
	s_cbranch_execz .LBB66_157
; %bb.156:
	v_mul_f64 v[6:7], v[4:5], v[4:5]
	v_fmac_f64_e32 v[6:7], v[2:3], v[2:3]
	ds_read_b128 v[12:15], v9 offset:112
	ds_read_b128 v[16:19], v24 offset:112
	v_div_scale_f64 v[24:25], s[2:3], v[6:7], v[6:7], 1.0
	v_rcp_f64_e32 v[26:27], v[24:25]
	s_waitcnt lgkmcnt(0)
	v_add_f64 v[16:17], v[12:13], -v[16:17]
	v_add_f64 v[14:15], v[14:15], -v[18:19]
	v_fma_f64 v[12:13], -v[24:25], v[26:27], 1.0
	v_fmac_f64_e32 v[26:27], v[26:27], v[12:13]
	v_fma_f64 v[12:13], -v[24:25], v[26:27], 1.0
	v_fmac_f64_e32 v[26:27], v[26:27], v[12:13]
	v_div_scale_f64 v[12:13], vcc, 1.0, v[6:7], 1.0
	v_mul_f64 v[18:19], v[12:13], v[26:27]
	v_fma_f64 v[12:13], -v[24:25], v[18:19], v[12:13]
	s_nop 1
	v_div_fmas_f64 v[12:13], v[12:13], v[26:27], v[18:19]
	v_div_fixup_f64 v[6:7], v[12:13], v[6:7], 1.0
	v_mul_f64 v[12:13], v[4:5], v[14:15]
	v_mul_f64 v[4:5], v[4:5], -v[16:17]
	v_fmac_f64_e32 v[12:13], v[16:17], v[2:3]
	v_fmac_f64_e32 v[4:5], v[14:15], v[2:3]
	v_mul_f64 v[12:13], v[6:7], v[12:13]
	v_mul_f64 v[14:15], v[6:7], v[4:5]
	ds_write_b128 v9, v[12:15] offset:112
	s_waitcnt lgkmcnt(0)
	ds_read_b128 v[2:5], v10 offset:112
	ds_read_b128 v[16:19], v22
	s_waitcnt lgkmcnt(0)
	v_fmac_f64_e32 v[16:17], v[12:13], v[2:3]
	v_fmac_f64_e32 v[18:19], v[14:15], v[2:3]
	;; [unrolled: 1-line block ×3, first 2 shown]
	v_fma_f64 v[18:19], v[12:13], -v[4:5], v[18:19]
	ds_write_b128 v22, v[16:19]
.LBB66_157:
	s_or_b64 exec, exec, s[0:1]
	s_waitcnt lgkmcnt(0)
	ds_read2_b64 v[2:5], v8 offset1:1
	v_cmp_eq_u32_e32 vcc, 0, v23
	s_waitcnt lgkmcnt(0)
	global_store_dwordx4 v[0:1], v[2:5], off
	s_and_saveexec_b64 s[0:1], vcc
	s_cbranch_execz .LBB66_159
; %bb.158:
	s_add_u32 s2, s6, s8
	s_addc_u32 s3, s7, s9
	v_mov_b32_e32 v0, 0
	v_mov_b32_e32 v1, 1
	buffer_wbl2 sc1
	s_waitcnt vmcnt(0)
	global_store_dword v0, v1, s[2:3] sc1
.LBB66_159:
	s_or_b64 exec, exec, s[0:1]
	s_branch .LBB66_17
.LBB66_160:
	v_or_b32_e32 v0, v20, v21
	v_cmp_eq_u32_e32 vcc, 0, v0
	s_and_saveexec_b64 s[0:1], vcc
	s_cbranch_execz .LBB66_17
; %bb.161:
	v_mbcnt_lo_u32_b32 v0, exec_lo, 0
	v_mbcnt_hi_u32_b32 v0, exec_hi, v0
	v_cmp_eq_u32_e32 vcc, 0, v0
	s_and_saveexec_b64 s[0:1], vcc
	s_cbranch_execz .LBB66_163
; %bb.162:
	s_add_i32 s2, s16, s17
	v_mov_b32_e32 v0, 0
	v_mov_b32_e32 v1, s2
	global_atomic_smin v0, v1, s[10:11]
.LBB66_163:
	s_or_b64 exec, exec, s[0:1]
	s_add_u32 s0, s6, s8
	s_addc_u32 s1, s7, s9
	v_mov_b32_e32 v0, 0
	v_mov_b32_e32 v1, 1
	buffer_wbl2 sc1
	s_waitcnt vmcnt(0)
	global_store_dword v0, v1, s[0:1] sc1
	s_endpgm
.LBB66_164:
	v_mov_b64_e32 v[6:7], 0
	s_andn2_b64 vcc, exec, s[4:5]
	s_cbranch_vccz .LBB66_58
	s_branch .LBB66_59
.LBB66_165:
	v_mov_b64_e32 v[6:7], 0
	s_andn2_b64 vcc, exec, s[4:5]
	s_cbranch_vccz .LBB66_71
	s_branch .LBB66_72
.LBB66_166:
	v_mov_b64_e32 v[6:7], 0
	s_andn2_b64 vcc, exec, s[4:5]
	s_cbranch_vccz .LBB66_84
	s_branch .LBB66_85
.LBB66_167:
	v_mov_b64_e32 v[6:7], 0
	s_andn2_b64 vcc, exec, s[4:5]
	s_cbranch_vccz .LBB66_97
	s_branch .LBB66_98
.LBB66_168:
	v_mov_b64_e32 v[6:7], 0
	s_andn2_b64 vcc, exec, s[4:5]
	s_cbranch_vccz .LBB66_110
	s_branch .LBB66_111
.LBB66_169:
	v_mov_b64_e32 v[6:7], 0
	s_andn2_b64 vcc, exec, s[4:5]
	s_cbranch_vccz .LBB66_123
	s_branch .LBB66_124
.LBB66_170:
	v_mov_b64_e32 v[6:7], 0
	s_andn2_b64 vcc, exec, s[4:5]
	s_cbranch_vccz .LBB66_136
	s_branch .LBB66_137
.LBB66_171:
	v_mov_b64_e32 v[6:7], 0
	s_andn2_b64 vcc, exec, s[4:5]
	s_cbranch_vccz .LBB66_149
	s_branch .LBB66_150
	.section	.rodata,"a",@progbits
	.p2align	6, 0x0
	.amdhsa_kernel _ZN9rocsparseL26bsric0_2_8_unrolled_kernelILi64ELi32ELi8E21rocsparse_complex_numIdEEEv20rocsparse_direction_iiPKiS5_PT2_S5_PiS5_S8_21rocsparse_index_base_
		.amdhsa_group_segment_fixed_size 4992
		.amdhsa_private_segment_fixed_size 0
		.amdhsa_kernarg_size 76
		.amdhsa_user_sgpr_count 2
		.amdhsa_user_sgpr_dispatch_ptr 0
		.amdhsa_user_sgpr_queue_ptr 0
		.amdhsa_user_sgpr_kernarg_segment_ptr 1
		.amdhsa_user_sgpr_dispatch_id 0
		.amdhsa_user_sgpr_kernarg_preload_length 0
		.amdhsa_user_sgpr_kernarg_preload_offset 0
		.amdhsa_user_sgpr_private_segment_size 0
		.amdhsa_uses_dynamic_stack 0
		.amdhsa_enable_private_segment 0
		.amdhsa_system_sgpr_workgroup_id_x 1
		.amdhsa_system_sgpr_workgroup_id_y 0
		.amdhsa_system_sgpr_workgroup_id_z 0
		.amdhsa_system_sgpr_workgroup_info 0
		.amdhsa_system_vgpr_workitem_id 1
		.amdhsa_next_free_vgpr 94
		.amdhsa_next_free_sgpr 40
		.amdhsa_accum_offset 96
		.amdhsa_reserve_vcc 1
		.amdhsa_float_round_mode_32 0
		.amdhsa_float_round_mode_16_64 0
		.amdhsa_float_denorm_mode_32 3
		.amdhsa_float_denorm_mode_16_64 3
		.amdhsa_dx10_clamp 1
		.amdhsa_ieee_mode 1
		.amdhsa_fp16_overflow 0
		.amdhsa_tg_split 0
		.amdhsa_exception_fp_ieee_invalid_op 0
		.amdhsa_exception_fp_denorm_src 0
		.amdhsa_exception_fp_ieee_div_zero 0
		.amdhsa_exception_fp_ieee_overflow 0
		.amdhsa_exception_fp_ieee_underflow 0
		.amdhsa_exception_fp_ieee_inexact 0
		.amdhsa_exception_int_div_zero 0
	.end_amdhsa_kernel
	.section	.text._ZN9rocsparseL26bsric0_2_8_unrolled_kernelILi64ELi32ELi8E21rocsparse_complex_numIdEEEv20rocsparse_direction_iiPKiS5_PT2_S5_PiS5_S8_21rocsparse_index_base_,"axG",@progbits,_ZN9rocsparseL26bsric0_2_8_unrolled_kernelILi64ELi32ELi8E21rocsparse_complex_numIdEEEv20rocsparse_direction_iiPKiS5_PT2_S5_PiS5_S8_21rocsparse_index_base_,comdat
.Lfunc_end66:
	.size	_ZN9rocsparseL26bsric0_2_8_unrolled_kernelILi64ELi32ELi8E21rocsparse_complex_numIdEEEv20rocsparse_direction_iiPKiS5_PT2_S5_PiS5_S8_21rocsparse_index_base_, .Lfunc_end66-_ZN9rocsparseL26bsric0_2_8_unrolled_kernelILi64ELi32ELi8E21rocsparse_complex_numIdEEEv20rocsparse_direction_iiPKiS5_PT2_S5_PiS5_S8_21rocsparse_index_base_
                                        ; -- End function
	.set _ZN9rocsparseL26bsric0_2_8_unrolled_kernelILi64ELi32ELi8E21rocsparse_complex_numIdEEEv20rocsparse_direction_iiPKiS5_PT2_S5_PiS5_S8_21rocsparse_index_base_.num_vgpr, 94
	.set _ZN9rocsparseL26bsric0_2_8_unrolled_kernelILi64ELi32ELi8E21rocsparse_complex_numIdEEEv20rocsparse_direction_iiPKiS5_PT2_S5_PiS5_S8_21rocsparse_index_base_.num_agpr, 0
	.set _ZN9rocsparseL26bsric0_2_8_unrolled_kernelILi64ELi32ELi8E21rocsparse_complex_numIdEEEv20rocsparse_direction_iiPKiS5_PT2_S5_PiS5_S8_21rocsparse_index_base_.numbered_sgpr, 40
	.set _ZN9rocsparseL26bsric0_2_8_unrolled_kernelILi64ELi32ELi8E21rocsparse_complex_numIdEEEv20rocsparse_direction_iiPKiS5_PT2_S5_PiS5_S8_21rocsparse_index_base_.num_named_barrier, 0
	.set _ZN9rocsparseL26bsric0_2_8_unrolled_kernelILi64ELi32ELi8E21rocsparse_complex_numIdEEEv20rocsparse_direction_iiPKiS5_PT2_S5_PiS5_S8_21rocsparse_index_base_.private_seg_size, 0
	.set _ZN9rocsparseL26bsric0_2_8_unrolled_kernelILi64ELi32ELi8E21rocsparse_complex_numIdEEEv20rocsparse_direction_iiPKiS5_PT2_S5_PiS5_S8_21rocsparse_index_base_.uses_vcc, 1
	.set _ZN9rocsparseL26bsric0_2_8_unrolled_kernelILi64ELi32ELi8E21rocsparse_complex_numIdEEEv20rocsparse_direction_iiPKiS5_PT2_S5_PiS5_S8_21rocsparse_index_base_.uses_flat_scratch, 0
	.set _ZN9rocsparseL26bsric0_2_8_unrolled_kernelILi64ELi32ELi8E21rocsparse_complex_numIdEEEv20rocsparse_direction_iiPKiS5_PT2_S5_PiS5_S8_21rocsparse_index_base_.has_dyn_sized_stack, 0
	.set _ZN9rocsparseL26bsric0_2_8_unrolled_kernelILi64ELi32ELi8E21rocsparse_complex_numIdEEEv20rocsparse_direction_iiPKiS5_PT2_S5_PiS5_S8_21rocsparse_index_base_.has_recursion, 0
	.set _ZN9rocsparseL26bsric0_2_8_unrolled_kernelILi64ELi32ELi8E21rocsparse_complex_numIdEEEv20rocsparse_direction_iiPKiS5_PT2_S5_PiS5_S8_21rocsparse_index_base_.has_indirect_call, 0
	.section	.AMDGPU.csdata,"",@progbits
; Kernel info:
; codeLenInByte = 13048
; TotalNumSgprs: 46
; NumVgprs: 94
; NumAgprs: 0
; TotalNumVgprs: 94
; ScratchSize: 0
; MemoryBound: 1
; FloatMode: 240
; IeeeMode: 1
; LDSByteSize: 4992 bytes/workgroup (compile time only)
; SGPRBlocks: 5
; VGPRBlocks: 11
; NumSGPRsForWavesPerEU: 46
; NumVGPRsForWavesPerEU: 94
; AccumOffset: 96
; Occupancy: 5
; WaveLimiterHint : 1
; COMPUTE_PGM_RSRC2:SCRATCH_EN: 0
; COMPUTE_PGM_RSRC2:USER_SGPR: 2
; COMPUTE_PGM_RSRC2:TRAP_HANDLER: 0
; COMPUTE_PGM_RSRC2:TGID_X_EN: 1
; COMPUTE_PGM_RSRC2:TGID_Y_EN: 0
; COMPUTE_PGM_RSRC2:TGID_Z_EN: 0
; COMPUTE_PGM_RSRC2:TIDIG_COMP_CNT: 1
; COMPUTE_PGM_RSRC3_GFX90A:ACCUM_OFFSET: 23
; COMPUTE_PGM_RSRC3_GFX90A:TG_SPLIT: 0
	.section	.text._ZN9rocsparseL18bsric0_9_16_kernelILi64ELi32ELi16E21rocsparse_complex_numIdEEEv20rocsparse_direction_iiPKiS5_PT2_S5_PiS5_S8_21rocsparse_index_base_,"axG",@progbits,_ZN9rocsparseL18bsric0_9_16_kernelILi64ELi32ELi16E21rocsparse_complex_numIdEEEv20rocsparse_direction_iiPKiS5_PT2_S5_PiS5_S8_21rocsparse_index_base_,comdat
	.globl	_ZN9rocsparseL18bsric0_9_16_kernelILi64ELi32ELi16E21rocsparse_complex_numIdEEEv20rocsparse_direction_iiPKiS5_PT2_S5_PiS5_S8_21rocsparse_index_base_ ; -- Begin function _ZN9rocsparseL18bsric0_9_16_kernelILi64ELi32ELi16E21rocsparse_complex_numIdEEEv20rocsparse_direction_iiPKiS5_PT2_S5_PiS5_S8_21rocsparse_index_base_
	.p2align	8
	.type	_ZN9rocsparseL18bsric0_9_16_kernelILi64ELi32ELi16E21rocsparse_complex_numIdEEEv20rocsparse_direction_iiPKiS5_PT2_S5_PiS5_S8_21rocsparse_index_base_,@function
_ZN9rocsparseL18bsric0_9_16_kernelILi64ELi32ELi16E21rocsparse_complex_numIdEEEv20rocsparse_direction_iiPKiS5_PT2_S5_PiS5_S8_21rocsparse_index_base_: ; @_ZN9rocsparseL18bsric0_9_16_kernelILi64ELi32ELi16E21rocsparse_complex_numIdEEEv20rocsparse_direction_iiPKiS5_PT2_S5_PiS5_S8_21rocsparse_index_base_
; %bb.0:
	s_load_dwordx8 s[8:15], s[0:1], 0x28
	s_mov_b32 s3, 0
	s_lshl_b64 s[2:3], s[2:3], 2
	v_and_b32_e32 v13, 0x3ff, v0
	v_bfe_u32 v12, v0, 10, 10
	s_waitcnt lgkmcnt(0)
	s_add_u32 s2, s12, s2
	s_addc_u32 s3, s13, s3
	s_load_dword s20, s[2:3], 0x0
	s_waitcnt lgkmcnt(0)
	s_ashr_i32 s21, s20, 31
	s_lshl_b64 s[12:13], s[20:21], 2
	s_add_u32 s2, s8, s12
	s_addc_u32 s3, s9, s13
	s_load_dword s33, s[2:3], 0x0
	s_load_dword s21, s[0:1], 0x48
	s_waitcnt lgkmcnt(0)
	s_cmp_lg_u32 s33, -1
	s_cbranch_scc0 .LBB67_134
; %bb.1:
	s_load_dwordx4 s[16:19], s[0:1], 0x10
	s_load_dwordx2 s[22:23], s[0:1], 0x20
	v_lshlrev_b32_e32 v0, 2, v12
	v_lshlrev_b32_e32 v25, 4, v12
	s_waitcnt lgkmcnt(0)
	s_add_u32 s2, s16, s12
	s_addc_u32 s3, s17, s13
	s_load_dword s2, s[2:3], 0x0
	s_waitcnt lgkmcnt(0)
	s_sub_i32 s46, s2, s21
	v_add3_u32 v0, v0, v13, s46
	v_cmp_ge_i32_e32 vcc, s33, v0
	s_and_saveexec_b64 s[2:3], vcc
	s_cbranch_execz .LBB67_4
; %bb.2:
	v_lshlrev_b32_e32 v1, 2, v13
	s_movk_i32 s4, 0x4500
	v_add3_u32 v2, v25, v1, s4
	s_mov_b64 s[4:5], 0
.LBB67_3:                               ; =>This Inner Loop Header: Depth=1
	v_ashrrev_i32_e32 v1, 31, v0
	v_lshl_add_u64 v[4:5], v[0:1], 2, s[18:19]
	global_load_dword v1, v[4:5], off
	v_add_u32_e32 v0, 64, v0
	v_cmp_lt_i32_e32 vcc, s33, v0
	s_or_b64 s[4:5], vcc, s[4:5]
	s_waitcnt vmcnt(0)
	v_subrev_u32_e32 v1, s21, v1
	ds_write_b32 v2, v1
	v_add_u32_e32 v2, 0x100, v2
	s_andn2_b64 exec, exec, s[4:5]
	s_cbranch_execnz .LBB67_3
.LBB67_4:
	s_or_b64 exec, exec, s[2:3]
	v_cmp_gt_u32_e32 vcc, 16, v13
	v_lshlrev_b32_e32 v24, 4, v13
	s_and_saveexec_b64 s[2:3], vcc
	s_cbranch_execz .LBB67_7
; %bb.5:
	v_mul_u32_u24_e32 v1, 0x110, v12
	s_movk_i32 s4, 0x3300
	v_mov_b32_e32 v2, 0
	v_add_u32_e32 v0, -4, v13
	v_add3_u32 v1, v1, v24, s4
	s_mov_b64 s[4:5], 0
	v_mov_b32_e32 v3, v2
	v_mov_b32_e32 v4, v2
	;; [unrolled: 1-line block ×3, first 2 shown]
.LBB67_6:                               ; =>This Inner Loop Header: Depth=1
	v_add_u32_e32 v0, 4, v0
	v_cmp_lt_u32_e32 vcc, 11, v0
	ds_write_b128 v1, v[2:5]
	s_or_b64 s[4:5], vcc, s[4:5]
	v_add_u32_e32 v1, 64, v1
	s_andn2_b64 exec, exec, s[4:5]
	s_cbranch_execnz .LBB67_6
.LBB67_7:
	s_or_b64 exec, exec, s[2:3]
	s_load_dword s44, s[0:1], 0x8
	s_load_dword s45, s[0:1], 0x0
	s_cmp_ge_i32 s46, s33
	s_waitcnt lgkmcnt(0)
	v_cmp_gt_i32_e64 s[0:1], s44, v13
	s_cbranch_scc1 .LBB67_89
; %bb.8:
	s_movk_i32 s6, 0x110
	v_mov_b32_e32 v1, 0x1100
	s_cmp_lg_u32 s45, 0
	v_mov_b32_e32 v0, 0x2200
	v_mad_u32_u24 v27, v12, s6, v1
	v_or_b32_e32 v1, v13, v12
	s_mul_i32 s7, s44, s46
	s_cselect_b64 s[24:25], -1, 0
	v_mad_u32_u24 v26, v12, s6, v0
	s_cmp_gt_i32 s44, 0
	v_cmp_ne_u32_e64 s[4:5], 0, v1
	v_mad_u32_u24 v29, v12, s6, v24
	v_add_u32_e32 v1, s7, v12
	v_mad_u32_u24 v34, v13, s6, v0
	v_mov_b32_e32 v0, 0
	v_cmp_gt_i32_e64 s[2:3], s44, v12
	s_mul_i32 s47, s44, s44
	v_mul_lo_u32 v28, s44, v12
	s_cselect_b64 s[26:27], -1, 0
	v_add_u32_e32 v30, 0x1100, v29
	v_mul_lo_u32 v32, s44, v1
	v_mul_lo_u32 v31, v13, s44
	s_lshl_b32 s48, s44, 2
	v_add_u32_e32 v33, 0x3300, v29
	v_add_u32_e32 v35, 0x2200, v29
	v_mov_b32_e32 v1, v0
	v_mov_b32_e32 v2, v0
	;; [unrolled: 1-line block ×4, first 2 shown]
	s_mov_b32 s28, s46
	s_branch .LBB67_10
.LBB67_9:                               ;   in Loop: Header=BB67_10 Depth=1
	s_or_b64 exec, exec, s[6:7]
	s_add_i32 s28, s28, 1
	s_cmp_ge_i32 s28, s33
	buffer_wbl2 sc1
	s_waitcnt vmcnt(0)
	buffer_inv sc1
	v_add_u32_e32 v32, s47, v32
	s_cselect_b64 s[6:7], -1, 0
	s_and_b64 vcc, exec, s[6:7]
	s_cbranch_vccnz .LBB67_89
.LBB67_10:                              ; =>This Loop Header: Depth=1
                                        ;     Child Loop BB67_14 Depth 2
                                        ;     Child Loop BB67_26 Depth 2
	;; [unrolled: 1-line block ×5, first 2 shown]
                                        ;       Child Loop BB67_56 Depth 3
                                        ;     Child Loop BB67_70 Depth 2
                                        ;       Child Loop BB67_75 Depth 3
                                        ;       Child Loop BB67_78 Depth 3
                                        ;     Child Loop BB67_84 Depth 2
	s_ashr_i32 s29, s28, 31
	s_lshl_b64 s[6:7], s[28:29], 2
	s_add_u32 s6, s18, s6
	s_addc_u32 s7, s19, s7
	s_load_dword s49, s[6:7], 0x0
	s_waitcnt lgkmcnt(0)
	s_sub_i32 s30, s49, s21
	s_ashr_i32 s31, s30, 31
	s_lshl_b64 s[6:7], s[30:31], 2
	s_add_u32 s34, s8, s6
	s_addc_u32 s35, s9, s7
	s_load_dword s31, s[34:35], 0x0
	s_waitcnt lgkmcnt(0)
	s_cmp_eq_u32 s31, -1
	s_cbranch_scc1 .LBB67_88
; %bb.11:                               ;   in Loop: Header=BB67_10 Depth=1
	s_add_u32 s34, s16, s6
	s_addc_u32 s35, s17, s7
	s_load_dword s50, s[34:35], 0x0
	s_mul_i32 s29, s28, s44
	s_and_saveexec_b64 s[34:35], s[0:1]
	s_cbranch_execz .LBB67_24
; %bb.12:                               ;   in Loop: Header=BB67_10 Depth=1
	s_mov_b64 s[36:37], 0
	v_mov_b32_e32 v6, v30
	v_mov_b32_e32 v7, v13
	s_branch .LBB67_14
.LBB67_13:                              ;   in Loop: Header=BB67_14 Depth=2
	s_or_b64 exec, exec, s[40:41]
	v_add_u32_e32 v7, 4, v7
	v_cmp_le_i32_e32 vcc, s44, v7
	s_waitcnt vmcnt(0)
	ds_write_b128 v6, v[8:11] offset:4352
	ds_write_b128 v6, v[0:3]
	s_or_b64 s[36:37], vcc, s[36:37]
	v_add_u32_e32 v6, 64, v6
	s_andn2_b64 exec, exec, s[36:37]
	s_cbranch_execz .LBB67_24
.LBB67_14:                              ;   Parent Loop BB67_10 Depth=1
                                        ; =>  This Inner Loop Header: Depth=2
	s_and_b64 vcc, exec, s[24:25]
	s_cbranch_vccz .LBB67_21
; %bb.15:                               ;   in Loop: Header=BB67_14 Depth=2
	s_mov_b64 s[40:41], 0
	s_mov_b64 s[38:39], 0
                                        ; implicit-def: $vgpr4
	s_and_saveexec_b64 s[42:43], s[2:3]
	s_xor_b64 s[42:43], exec, s[42:43]
; %bb.16:                               ;   in Loop: Header=BB67_14 Depth=2
	v_add_u32_e32 v4, s29, v7
	s_mov_b64 s[38:39], exec
	v_mad_u64_u32 v[4:5], s[52:53], v4, s44, v[12:13]
; %bb.17:                               ;   in Loop: Header=BB67_14 Depth=2
	s_or_b64 exec, exec, s[42:43]
	s_and_b64 vcc, exec, s[40:41]
	s_cbranch_vccz .LBB67_22
.LBB67_18:                              ;   in Loop: Header=BB67_14 Depth=2
                                        ; implicit-def: $vgpr4
	s_and_saveexec_b64 s[40:41], s[2:3]
; %bb.19:                               ;   in Loop: Header=BB67_14 Depth=2
	v_add_u32_e32 v4, v32, v7
	s_or_b64 s[38:39], s[38:39], exec
; %bb.20:                               ;   in Loop: Header=BB67_14 Depth=2
	s_or_b64 exec, exec, s[40:41]
	v_mov_b64_e32 v[8:9], 0
	v_mov_b64_e32 v[10:11], 0
	s_and_saveexec_b64 s[40:41], s[38:39]
	s_cbranch_execz .LBB67_13
	s_branch .LBB67_23
.LBB67_21:                              ;   in Loop: Header=BB67_14 Depth=2
	s_mov_b64 s[38:39], 0
                                        ; implicit-def: $vgpr4
	s_cbranch_execnz .LBB67_18
.LBB67_22:                              ;   in Loop: Header=BB67_14 Depth=2
	v_mov_b64_e32 v[8:9], 0
	v_mov_b64_e32 v[10:11], 0
	s_and_saveexec_b64 s[40:41], s[38:39]
	s_cbranch_execz .LBB67_13
.LBB67_23:                              ;   in Loop: Header=BB67_14 Depth=2
	v_ashrrev_i32_e32 v5, 31, v4
	v_lshl_add_u64 v[4:5], v[4:5], 4, s[22:23]
	global_load_dwordx4 v[8:11], v[4:5], off
	s_branch .LBB67_13
.LBB67_24:                              ;   in Loop: Header=BB67_10 Depth=1
	s_or_b64 exec, exec, s[34:35]
	ds_read_b32 v4, v0 offset:17664
	s_waitcnt lgkmcnt(0)
	s_sub_i32 s34, s50, s21
	s_cmp_le_i32 s34, s31
	s_cselect_b64 s[36:37], -1, 0
	s_mov_b32 s40, 0
	v_cmp_ge_i32_e32 vcc, s30, v4
	s_and_b64 s[36:37], s[36:37], vcc
	s_andn2_b64 vcc, exec, s[36:37]
	s_cbranch_vccnz .LBB67_36
; %bb.25:                               ;   in Loop: Header=BB67_10 Depth=1
	s_mov_b32 s38, 0
	s_mov_b32 s39, 0
.LBB67_26:                              ;   Parent Loop BB67_10 Depth=1
                                        ; =>  This Inner Loop Header: Depth=2
	s_ashr_i32 s35, s34, 31
	s_lshl_b64 s[36:37], s[34:35], 2
	s_add_u32 s36, s18, s36
	s_addc_u32 s37, s19, s37
	s_load_dword s35, s[36:37], 0x0
	s_lshl_b32 s36, s39, 2
	v_mov_b32_e32 v4, s36
	ds_read_b32 v4, v4 offset:17664
	s_mov_b64 s[36:37], -1
	s_waitcnt lgkmcnt(0)
	s_sub_i32 s43, s35, s21
                                        ; implicit-def: $sgpr40
                                        ; implicit-def: $sgpr42
                                        ; implicit-def: $sgpr41
	v_cmp_ge_i32_e32 vcc, s43, v4
	v_readfirstlane_b32 s35, v4
	s_cbranch_vccz .LBB67_32
; %bb.27:                               ;   in Loop: Header=BB67_26 Depth=2
	s_cmp_le_i32 s43, s35
                                        ; implicit-def: $sgpr40
                                        ; implicit-def: $sgpr42
                                        ; implicit-def: $sgpr41
	s_cbranch_scc0 .LBB67_29
; %bb.28:                               ;   in Loop: Header=BB67_26 Depth=2
	s_add_i32 s36, s39, s46
	s_mul_i32 s36, s36, s47
	s_lshl_b32 s37, s38, 2
	v_mov_b32_e32 v4, s37
	v_mov_b32_e32 v5, s36
	s_mul_i32 s36, s34, s47
	v_mov_b32_e32 v6, s36
	v_add_u32_e32 v4, 0x4400, v4
	ds_write2_b32 v4, v6, v5 offset1:32
	s_add_i32 s41, s39, 1
	s_add_i32 s42, s34, 1
	;; [unrolled: 1-line block ×3, first 2 shown]
	s_mov_b64 s[36:37], 0
.LBB67_29:                              ;   in Loop: Header=BB67_26 Depth=2
	s_andn2_b64 vcc, exec, s[36:37]
	s_cbranch_vccnz .LBB67_31
; %bb.30:                               ;   in Loop: Header=BB67_26 Depth=2
	s_add_i32 s41, s39, 1
	s_mov_b32 s40, s38
	s_mov_b32 s42, s34
.LBB67_31:                              ;   in Loop: Header=BB67_26 Depth=2
	s_mov_b64 s[36:37], 0
.LBB67_32:                              ;   in Loop: Header=BB67_26 Depth=2
	s_andn2_b64 vcc, exec, s[36:37]
	s_cbranch_vccnz .LBB67_34
; %bb.33:                               ;   in Loop: Header=BB67_26 Depth=2
	s_add_i32 s42, s34, 1
	s_mov_b32 s41, s39
	s_mov_b32 s40, s38
.LBB67_34:                              ;   in Loop: Header=BB67_26 Depth=2
	s_cmp_le_i32 s42, s31
	s_cselect_b64 s[36:37], -1, 0
	s_cmp_le_i32 s35, s30
	s_cselect_b64 s[34:35], -1, 0
	s_and_b64 s[34:35], s[36:37], s[34:35]
	s_and_b64 vcc, exec, s[34:35]
	s_cbranch_vccz .LBB67_36
; %bb.35:                               ;   in Loop: Header=BB67_26 Depth=2
	s_mov_b32 s38, s40
	s_mov_b32 s34, s42
	;; [unrolled: 1-line block ×3, first 2 shown]
	s_branch .LBB67_26
.LBB67_36:                              ;   in Loop: Header=BB67_10 Depth=1
	s_add_u32 s6, s10, s6
	s_addc_u32 s7, s11, s7
	s_waitcnt lgkmcnt(0)
.LBB67_37:                              ;   Parent Loop BB67_10 Depth=1
                                        ; =>  This Inner Loop Header: Depth=2
	global_load_dword v4, v0, s[6:7] sc1
	s_waitcnt vmcnt(0)
	v_cmp_eq_u32_e32 vcc, 0, v4
	s_cbranch_vccnz .LBB67_37
; %bb.38:                               ;   in Loop: Header=BB67_10 Depth=1
	buffer_inv sc1
	s_and_saveexec_b64 s[6:7], s[0:1]
	s_cbranch_execz .LBB67_51
; %bb.39:                               ;   in Loop: Header=BB67_10 Depth=1
	s_mul_i32 s41, s31, s44
	v_add_u32_e32 v4, s41, v12
	v_mul_lo_u32 v6, v4, s44
	s_mov_b64 s[30:31], 0
	v_mov_b32_e32 v7, v29
	v_mov_b32_e32 v8, v13
	s_branch .LBB67_41
.LBB67_40:                              ;   in Loop: Header=BB67_41 Depth=2
	s_or_b64 exec, exec, s[36:37]
	v_add_u32_e32 v8, 4, v8
	v_cmp_le_i32_e32 vcc, s44, v8
	s_waitcnt vmcnt(0)
	ds_write_b128 v7, v[14:17]
	s_or_b64 s[30:31], vcc, s[30:31]
	v_add_u32_e32 v7, 64, v7
	s_andn2_b64 exec, exec, s[30:31]
	s_cbranch_execz .LBB67_51
.LBB67_41:                              ;   Parent Loop BB67_10 Depth=1
                                        ; =>  This Inner Loop Header: Depth=2
	s_and_b64 vcc, exec, s[24:25]
	s_cbranch_vccz .LBB67_48
; %bb.42:                               ;   in Loop: Header=BB67_41 Depth=2
	s_mov_b64 s[36:37], 0
	s_mov_b64 s[34:35], 0
                                        ; implicit-def: $vgpr4
	s_and_saveexec_b64 s[38:39], s[2:3]
	s_xor_b64 s[38:39], exec, s[38:39]
; %bb.43:                               ;   in Loop: Header=BB67_41 Depth=2
	v_add_u32_e32 v4, s41, v8
	s_mov_b64 s[34:35], exec
	v_mad_u64_u32 v[4:5], s[42:43], v4, s44, v[12:13]
; %bb.44:                               ;   in Loop: Header=BB67_41 Depth=2
	s_or_b64 exec, exec, s[38:39]
	s_and_b64 vcc, exec, s[36:37]
	s_cbranch_vccz .LBB67_49
.LBB67_45:                              ;   in Loop: Header=BB67_41 Depth=2
                                        ; implicit-def: $vgpr4
	s_and_saveexec_b64 s[36:37], s[2:3]
; %bb.46:                               ;   in Loop: Header=BB67_41 Depth=2
	v_add_u32_e32 v4, v6, v8
	s_or_b64 s[34:35], s[34:35], exec
; %bb.47:                               ;   in Loop: Header=BB67_41 Depth=2
	s_or_b64 exec, exec, s[36:37]
	v_mov_b64_e32 v[14:15], 0
	v_mov_b64_e32 v[16:17], 0
	s_and_saveexec_b64 s[36:37], s[34:35]
	s_cbranch_execz .LBB67_40
	s_branch .LBB67_50
.LBB67_48:                              ;   in Loop: Header=BB67_41 Depth=2
	s_mov_b64 s[34:35], 0
                                        ; implicit-def: $vgpr4
	s_cbranch_execnz .LBB67_45
.LBB67_49:                              ;   in Loop: Header=BB67_41 Depth=2
	v_mov_b64_e32 v[14:15], 0
	v_mov_b64_e32 v[16:17], 0
	s_and_saveexec_b64 s[36:37], s[34:35]
	s_cbranch_execz .LBB67_40
.LBB67_50:                              ;   in Loop: Header=BB67_41 Depth=2
	v_ashrrev_i32_e32 v5, 31, v4
	v_lshl_add_u64 v[4:5], v[4:5], 4, s[22:23]
	global_load_dwordx4 v[14:17], v[4:5], off
	s_branch .LBB67_40
.LBB67_51:                              ;   in Loop: Header=BB67_10 Depth=1
	s_or_b64 exec, exec, s[6:7]
	s_cmp_lt_i32 s40, 2
	s_cbranch_scc1 .LBB67_67
; %bb.52:                               ;   in Loop: Header=BB67_10 Depth=1
	s_add_i32 s36, s40, -2
	s_mov_b32 s37, 0
	s_branch .LBB67_54
.LBB67_53:                              ;   in Loop: Header=BB67_54 Depth=2
	s_or_b64 exec, exec, s[6:7]
	s_add_i32 s6, s37, 1
	s_cmp_eq_u32 s37, s36
	s_mov_b32 s37, s6
	s_cbranch_scc1 .LBB67_67
.LBB67_54:                              ;   Parent Loop BB67_10 Depth=1
                                        ; =>  This Loop Header: Depth=2
                                        ;       Child Loop BB67_56 Depth 3
	s_and_saveexec_b64 s[6:7], s[0:1]
	s_cbranch_execz .LBB67_53
; %bb.55:                               ;   in Loop: Header=BB67_54 Depth=2
	s_lshl_b32 s30, s37, 2
	v_mov_b32_e32 v4, s30
	v_add_u32_e32 v4, 0x4400, v4
	ds_read2_b32 v[4:5], v4 offset1:32
	s_mov_b64 s[30:31], 0
	v_mov_b32_e32 v41, v13
	s_waitcnt lgkmcnt(0)
	v_add_u32_e32 v37, v5, v28
	v_add_u32_e32 v38, v12, v5
	;; [unrolled: 1-line block ×4, first 2 shown]
.LBB67_56:                              ;   Parent Loop BB67_10 Depth=1
                                        ;     Parent Loop BB67_54 Depth=2
                                        ; =>    This Inner Loop Header: Depth=3
	v_mov_b64_e32 v[18:19], 0
	s_mov_b32 s38, 0
	v_mov_b32_e32 v14, v39
	v_mov_b32_e32 v16, v38
	v_mov_b64_e32 v[20:21], 0
	s_and_b64 vcc, exec, s[24:25]
	s_cbranch_vccnz .LBB67_59
	s_branch .LBB67_58
.LBB67_57:                              ;   in Loop: Header=BB67_56 Depth=3
	v_mov_b64_e32 v[18:19], v[4:5]
	v_mov_b64_e32 v[20:21], v[22:23]
	s_and_b64 vcc, exec, s[24:25]
	s_cbranch_vccnz .LBB67_59
.LBB67_58:                              ;   in Loop: Header=BB67_56 Depth=3
                                        ; implicit-def: $vgpr4_vgpr5
                                        ; implicit-def: $vgpr22_vgpr23
	s_cbranch_execz .LBB67_65
	s_branch .LBB67_62
.LBB67_59:                              ;   in Loop: Header=BB67_56 Depth=3
	v_ashrrev_i32_e32 v15, 31, v14
	v_lshl_add_u64 v[4:5], v[14:15], 4, s[22:23]
	global_load_dwordx4 v[4:7], v[4:5], off
	v_mov_b64_e32 v[8:9], 0
	v_mov_b64_e32 v[10:11], 0
	s_and_saveexec_b64 s[34:35], s[2:3]
	s_cbranch_execz .LBB67_61
; %bb.60:                               ;   in Loop: Header=BB67_56 Depth=3
	v_ashrrev_i32_e32 v17, 31, v16
	v_lshl_add_u64 v[8:9], v[16:17], 4, s[22:23]
	global_load_dwordx4 v[8:11], v[8:9], off
.LBB67_61:                              ;   in Loop: Header=BB67_56 Depth=3
	s_or_b64 exec, exec, s[34:35]
	s_waitcnt vmcnt(0)
	v_fma_f64 v[22:23], v[4:5], v[8:9], v[20:21]
	v_fmac_f64_e32 v[22:23], v[6:7], v[10:11]
	v_fma_f64 v[6:7], v[6:7], v[8:9], v[18:19]
	v_fma_f64 v[4:5], v[4:5], -v[10:11], v[6:7]
	s_branch .LBB67_65
.LBB67_62:                              ;   in Loop: Header=BB67_56 Depth=3
	v_add_u32_e32 v4, s38, v40
	v_ashrrev_i32_e32 v5, 31, v4
	v_lshl_add_u64 v[4:5], v[4:5], 4, s[22:23]
	global_load_dwordx4 v[4:7], v[4:5], off
	v_mov_b64_e32 v[8:9], 0
	v_mov_b64_e32 v[10:11], 0
	s_and_saveexec_b64 s[34:35], s[2:3]
	s_cbranch_execz .LBB67_64
; %bb.63:                               ;   in Loop: Header=BB67_56 Depth=3
	v_add_u32_e32 v8, s38, v37
	v_ashrrev_i32_e32 v9, 31, v8
	v_lshl_add_u64 v[8:9], v[8:9], 4, s[22:23]
	global_load_dwordx4 v[8:11], v[8:9], off
.LBB67_64:                              ;   in Loop: Header=BB67_56 Depth=3
	s_or_b64 exec, exec, s[34:35]
	s_waitcnt vmcnt(0)
	v_fmac_f64_e32 v[20:21], v[4:5], v[8:9]
	v_fmac_f64_e32 v[20:21], v[6:7], v[10:11]
	;; [unrolled: 1-line block ×3, first 2 shown]
	v_fma_f64 v[4:5], v[4:5], -v[10:11], v[18:19]
	v_mov_b64_e32 v[22:23], v[20:21]
.LBB67_65:                              ;   in Loop: Header=BB67_56 Depth=3
	s_add_i32 s38, s38, 1
	v_add_u32_e32 v16, s44, v16
	s_cmp_eq_u32 s44, s38
	v_add_u32_e32 v14, s44, v14
	s_cbranch_scc0 .LBB67_57
; %bb.66:                               ;   in Loop: Header=BB67_56 Depth=3
	v_lshl_add_u32 v10, v41, 4, v27
	ds_read_b128 v[6:9], v10
	v_add_u32_e32 v41, 4, v41
	v_cmp_le_i32_e32 vcc, s44, v41
	v_add_u32_e32 v39, 4, v39
	s_or_b64 s[30:31], vcc, s[30:31]
	s_waitcnt lgkmcnt(0)
	v_add_f64 v[6:7], v[22:23], v[6:7]
	v_add_f64 v[8:9], v[4:5], v[8:9]
	v_add_u32_e32 v40, s48, v40
	ds_write_b128 v10, v[6:9]
	s_andn2_b64 exec, exec, s[30:31]
	s_cbranch_execnz .LBB67_56
	s_branch .LBB67_53
.LBB67_67:                              ;   in Loop: Header=BB67_10 Depth=1
	s_andn2_b64 vcc, exec, s[26:27]
	s_waitcnt lgkmcnt(0)
	s_cbranch_vccnz .LBB67_79
; %bb.68:                               ;   in Loop: Header=BB67_10 Depth=1
	s_mov_b32 s34, 0
	v_mov_b32_e32 v21, s49
	v_mov_b32_e32 v18, v34
	s_mov_b32 s35, 0
	s_branch .LBB67_70
.LBB67_69:                              ;   in Loop: Header=BB67_70 Depth=2
	s_or_b64 exec, exec, s[6:7]
	s_add_i32 s35, s35, 1
	s_addk_i32 s34, 0x110
	s_cmp_eq_u32 s35, s44
	v_add_u32_e32 v18, 16, v18
	s_waitcnt lgkmcnt(0)
	s_cbranch_scc1 .LBB67_79
.LBB67_70:                              ;   Parent Loop BB67_10 Depth=1
                                        ; =>  This Loop Header: Depth=2
                                        ;       Child Loop BB67_75 Depth 3
                                        ;       Child Loop BB67_78 Depth 3
	s_lshl_b32 s6, s35, 4
	s_mul_i32 s7, s35, 0x110
	s_add_i32 s7, s7, s6
	v_mov_b32_e32 v4, s7
	ds_read_b128 v[8:11], v4
	v_add_u32_e32 v19, s6, v26
	ds_read_b128 v[4:7], v19
	s_waitcnt lgkmcnt(1)
	v_cmp_neq_f64_e32 vcc, 0, v[8:9]
	v_cmp_neq_f64_e64 s[6:7], 0, v[10:11]
	s_or_b64 vcc, vcc, s[6:7]
	v_cndmask_b32_e32 v15, v36, v9, vcc
	s_nor_b64 s[30:31], vcc, s[4:5]
	v_cndmask_b32_e32 v14, 0, v8, vcc
	v_cndmask_b32_e32 v17, 0, v11, vcc
	v_cndmask_b32_e32 v16, 0, v10, vcc
	s_and_saveexec_b64 s[6:7], s[30:31]
	s_cbranch_execz .LBB67_74
; %bb.71:                               ;   in Loop: Header=BB67_70 Depth=2
	v_mbcnt_lo_u32_b32 v8, exec_lo, 0
	v_mbcnt_hi_u32_b32 v8, exec_hi, v8
	v_cmp_eq_u32_e32 vcc, 0, v8
	s_and_saveexec_b64 s[30:31], vcc
	s_cbranch_execz .LBB67_73
; %bb.72:                               ;   in Loop: Header=BB67_70 Depth=2
	global_atomic_smin v0, v21, s[14:15]
.LBB67_73:                              ;   in Loop: Header=BB67_70 Depth=2
	s_or_b64 exec, exec, s[30:31]
	v_mov_b64_e32 v[16:17], 0
	v_mov_b64_e32 v[14:15], 1.0
.LBB67_74:                              ;   in Loop: Header=BB67_70 Depth=2
	s_or_b64 exec, exec, s[6:7]
	v_lshl_add_u32 v8, s35, 4, v27
	ds_read_b128 v[8:11], v8
	s_cmp_eq_u32 s35, 0
	v_mov_b32_e32 v20, v26
	s_mov_b32 s6, s34
	s_mov_b32 s7, s35
	s_cbranch_scc1 .LBB67_76
.LBB67_75:                              ;   Parent Loop BB67_10 Depth=1
                                        ;     Parent Loop BB67_70 Depth=2
                                        ; =>    This Inner Loop Header: Depth=3
	v_mov_b32_e32 v22, s6
	ds_read_b128 v[38:41], v20
	ds_read_b128 v[42:45], v22
	s_add_i32 s7, s7, -1
	s_add_i32 s6, s6, 16
	v_add_u32_e32 v20, 16, v20
	s_cmp_eq_u32 s7, 0
	s_waitcnt lgkmcnt(0)
	v_fmac_f64_e32 v[8:9], v[42:43], v[38:39]
	v_fmac_f64_e32 v[10:11], v[44:45], v[38:39]
	;; [unrolled: 1-line block ×3, first 2 shown]
	v_fma_f64 v[10:11], v[42:43], -v[40:41], v[10:11]
	s_cbranch_scc0 .LBB67_75
.LBB67_76:                              ;   in Loop: Header=BB67_70 Depth=2
	v_mul_f64 v[22:23], v[16:17], v[16:17]
	v_fmac_f64_e32 v[22:23], v[14:15], v[14:15]
	v_div_scale_f64 v[38:39], s[6:7], v[22:23], v[22:23], 1.0
	v_rcp_f64_e32 v[40:41], v[38:39]
	s_waitcnt lgkmcnt(0)
	v_add_f64 v[8:9], v[4:5], -v[8:9]
	v_add_f64 v[6:7], v[6:7], -v[10:11]
	v_fma_f64 v[4:5], -v[38:39], v[40:41], 1.0
	v_fmac_f64_e32 v[40:41], v[40:41], v[4:5]
	v_fma_f64 v[4:5], -v[38:39], v[40:41], 1.0
	v_fmac_f64_e32 v[40:41], v[40:41], v[4:5]
	v_div_scale_f64 v[4:5], vcc, 1.0, v[22:23], 1.0
	v_mul_f64 v[10:11], v[4:5], v[40:41]
	v_fma_f64 v[4:5], -v[38:39], v[10:11], v[4:5]
	s_nop 1
	v_div_fmas_f64 v[4:5], v[4:5], v[40:41], v[10:11]
	v_div_fixup_f64 v[10:11], v[4:5], v[22:23], 1.0
	v_mul_f64 v[4:5], v[16:17], v[6:7]
	v_fmac_f64_e32 v[4:5], v[8:9], v[14:15]
	v_mul_f64 v[8:9], v[16:17], -v[8:9]
	v_fmac_f64_e32 v[8:9], v[6:7], v[14:15]
	v_mul_f64 v[4:5], v[10:11], v[4:5]
	v_mul_f64 v[6:7], v[10:11], v[8:9]
	ds_write_b128 v19, v[4:7]
	s_waitcnt lgkmcnt(0)
	s_and_saveexec_b64 s[6:7], s[0:1]
	s_cbranch_execz .LBB67_69
; %bb.77:                               ;   in Loop: Header=BB67_70 Depth=2
	s_mov_b64 s[30:31], 0
	v_mov_b32_e32 v8, v18
	v_mov_b32_e32 v9, v33
	;; [unrolled: 1-line block ×3, first 2 shown]
.LBB67_78:                              ;   Parent Loop BB67_10 Depth=1
                                        ;     Parent Loop BB67_70 Depth=2
                                        ; =>    This Inner Loop Header: Depth=3
	ds_read_b128 v[14:17], v8
	ds_read_b128 v[38:41], v9
	v_add_u32_e32 v10, 4, v10
	v_cmp_le_i32_e32 vcc, s44, v10
	s_or_b64 s[30:31], vcc, s[30:31]
	v_add_u32_e32 v8, 0x440, v8
	s_waitcnt lgkmcnt(0)
	v_fmac_f64_e32 v[38:39], v[4:5], v[14:15]
	v_fmac_f64_e32 v[40:41], v[6:7], v[14:15]
	;; [unrolled: 1-line block ×3, first 2 shown]
	v_fma_f64 v[40:41], v[4:5], -v[16:17], v[40:41]
	ds_write_b128 v9, v[38:41]
	v_add_u32_e32 v9, 64, v9
	s_andn2_b64 exec, exec, s[30:31]
	s_cbranch_execnz .LBB67_78
	s_branch .LBB67_69
.LBB67_79:                              ;   in Loop: Header=BB67_10 Depth=1
	s_and_saveexec_b64 s[6:7], s[0:1]
	s_cbranch_execz .LBB67_9
; %bb.80:                               ;   in Loop: Header=BB67_10 Depth=1
	s_mov_b64 s[30:31], 0
	v_mov_b32_e32 v6, v35
	v_mov_b32_e32 v7, v13
	s_branch .LBB67_84
.LBB67_81:                              ;   in Loop: Header=BB67_84 Depth=2
	v_add_u32_e32 v4, v32, v7
.LBB67_82:                              ;   in Loop: Header=BB67_84 Depth=2
	ds_read2_b64 v[8:11], v6 offset1:1
	v_ashrrev_i32_e32 v5, 31, v4
	v_lshl_add_u64 v[4:5], v[4:5], 4, s[22:23]
	s_waitcnt lgkmcnt(0)
	global_store_dwordx4 v[4:5], v[8:11], off
.LBB67_83:                              ;   in Loop: Header=BB67_84 Depth=2
	s_or_b64 exec, exec, s[34:35]
	v_add_u32_e32 v7, 4, v7
	v_cmp_le_i32_e32 vcc, s44, v7
	s_or_b64 s[30:31], vcc, s[30:31]
	v_add_u32_e32 v6, 64, v6
	s_andn2_b64 exec, exec, s[30:31]
	s_cbranch_execz .LBB67_9
.LBB67_84:                              ;   Parent Loop BB67_10 Depth=1
                                        ; =>  This Inner Loop Header: Depth=2
	s_and_saveexec_b64 s[34:35], s[2:3]
	s_cbranch_execz .LBB67_83
; %bb.85:                               ;   in Loop: Header=BB67_84 Depth=2
	s_and_b64 vcc, exec, s[24:25]
	s_cbranch_vccz .LBB67_87
; %bb.86:                               ;   in Loop: Header=BB67_84 Depth=2
	v_add_u32_e32 v4, s29, v7
	v_mad_u64_u32 v[4:5], s[36:37], v4, s44, v[12:13]
	s_cbranch_execnz .LBB67_82
	s_branch .LBB67_81
.LBB67_87:                              ;   in Loop: Header=BB67_84 Depth=2
                                        ; implicit-def: $vgpr4
	s_branch .LBB67_81
.LBB67_88:                              ;   in Loop: Header=BB67_10 Depth=1
                                        ; implicit-def: $sgpr28
                                        ; implicit-def: $vgpr32
	s_cbranch_execz .LBB67_10
.LBB67_89:
	v_cmp_gt_i32_e64 s[0:1], s44, v13
	s_and_saveexec_b64 s[4:5], s[0:1]
	s_cbranch_execz .LBB67_102
; %bb.90:
	s_mul_i32 s26, s33, s44
	v_add_u32_e32 v0, s26, v12
	s_cmp_lg_u32 s45, 0
	v_mul_lo_u32 v2, v0, s44
	v_mul_u32_u24_e32 v0, 0x110, v12
	s_movk_i32 s8, 0x2200
	s_cselect_b64 s[6:7], -1, 0
	v_cmp_gt_i32_e64 s[2:3], s44, v12
	v_add3_u32 v3, v0, v24, s8
	s_mov_b64 s[8:9], 0
	v_mov_b32_e32 v4, v13
	s_branch .LBB67_92
.LBB67_91:                              ;   in Loop: Header=BB67_92 Depth=1
	s_or_b64 exec, exec, s[18:19]
	v_add_u32_e32 v4, 4, v4
	v_cmp_le_i32_e32 vcc, s44, v4
	s_waitcnt vmcnt(0)
	ds_write_b128 v3, v[6:9]
	s_or_b64 s[8:9], vcc, s[8:9]
	v_add_u32_e32 v3, 64, v3
	s_andn2_b64 exec, exec, s[8:9]
	s_cbranch_execz .LBB67_102
.LBB67_92:                              ; =>This Inner Loop Header: Depth=1
	s_and_b64 vcc, exec, s[6:7]
	s_cbranch_vccz .LBB67_99
; %bb.93:                               ;   in Loop: Header=BB67_92 Depth=1
	s_mov_b64 s[18:19], 0
	s_mov_b64 s[16:17], 0
                                        ; implicit-def: $vgpr0
	s_and_saveexec_b64 s[24:25], s[2:3]
	s_xor_b64 s[24:25], exec, s[24:25]
; %bb.94:                               ;   in Loop: Header=BB67_92 Depth=1
	v_add_u32_e32 v0, s26, v4
	s_mov_b64 s[16:17], exec
	v_mad_u64_u32 v[0:1], s[28:29], v0, s44, v[12:13]
; %bb.95:                               ;   in Loop: Header=BB67_92 Depth=1
	s_or_b64 exec, exec, s[24:25]
	s_and_b64 vcc, exec, s[18:19]
	s_cbranch_vccz .LBB67_100
.LBB67_96:                              ;   in Loop: Header=BB67_92 Depth=1
                                        ; implicit-def: $vgpr0
	s_and_saveexec_b64 s[18:19], s[2:3]
; %bb.97:                               ;   in Loop: Header=BB67_92 Depth=1
	v_add_u32_e32 v0, v2, v4
	s_or_b64 s[16:17], s[16:17], exec
; %bb.98:                               ;   in Loop: Header=BB67_92 Depth=1
	s_or_b64 exec, exec, s[18:19]
	v_mov_b64_e32 v[6:7], 0
	v_mov_b64_e32 v[8:9], 0
	s_and_saveexec_b64 s[18:19], s[16:17]
	s_cbranch_execz .LBB67_91
	s_branch .LBB67_101
.LBB67_99:                              ;   in Loop: Header=BB67_92 Depth=1
	s_mov_b64 s[16:17], 0
                                        ; implicit-def: $vgpr0
	s_cbranch_execnz .LBB67_96
.LBB67_100:                             ;   in Loop: Header=BB67_92 Depth=1
	v_mov_b64_e32 v[6:7], 0
	v_mov_b64_e32 v[8:9], 0
	s_and_saveexec_b64 s[18:19], s[16:17]
	s_cbranch_execz .LBB67_91
.LBB67_101:                             ;   in Loop: Header=BB67_92 Depth=1
	v_ashrrev_i32_e32 v1, 31, v0
	v_lshl_add_u64 v[0:1], v[0:1], 4, s[22:23]
	global_load_dwordx4 v[6:9], v[0:1], off
	s_branch .LBB67_91
.LBB67_102:
	s_or_b64 exec, exec, s[4:5]
	s_cmp_lt_i32 s44, 1
	s_waitcnt lgkmcnt(0)
	s_cbranch_scc1 .LBB67_121
; %bb.103:
	v_or_b32_e32 v2, v13, v12
	s_movk_i32 s4, 0x110
	v_mov_b32_e32 v0, 0x2200
	v_mul_u32_u24_e32 v1, 0x110, v12
	v_cmp_ne_u32_e64 s[2:3], 0, v2
	s_movk_i32 s6, 0x3300
	v_mov_b32_e32 v2, 0x3300
	v_mad_u32_u24 v10, v12, s4, v0
	s_add_i32 s5, s20, s21
	v_mad_u32_u24 v11, v12, s4, v2
	v_add3_u32 v16, v1, v24, s6
	s_mov_b32 s6, 0
	s_mov_b32 s18, 0
	v_add_u32_e32 v14, v10, v25
	v_add_u32_e32 v15, v11, v25
	v_mad_u32_u24 v17, v13, s4, v0
	s_brev_b32 s7, 8
	v_mov_b32_e32 v18, 0x260
	v_mov_b32_e32 v2, 0
	;; [unrolled: 1-line block ×6, first 2 shown]
	s_branch .LBB67_105
.LBB67_104:                             ;   in Loop: Header=BB67_105 Depth=1
	s_or_b64 exec, exec, s[4:5]
	s_add_i32 s18, s18, 1
	s_cmp_eq_u32 s18, s44
	v_add_u32_e32 v17, 16, v17
	s_waitcnt lgkmcnt(0)
	s_cbranch_scc1 .LBB67_121
.LBB67_105:                             ; =>This Loop Header: Depth=1
                                        ;     Child Loop BB67_120 Depth 2
	v_cmp_eq_u32_e32 vcc, s18, v12
	s_and_saveexec_b64 s[4:5], vcc
	s_cbranch_execz .LBB67_113
; %bb.106:                              ;   in Loop: Header=BB67_105 Depth=1
	ds_read_b128 v[4:7], v15
	ds_read_b128 v[26:29], v14
	s_waitcnt lgkmcnt(0)
	v_add_f64 v[0:1], v[26:27], -v[4:5]
	v_add_f64 v[8:9], v[28:29], -v[6:7]
	v_xor_b32_e32 v3, 0x80000000, v1
	v_cmp_gt_f64_e32 vcc, 0, v[0:1]
	v_xor_b32_e32 v4, 0x80000000, v9
                                        ; implicit-def: $vgpr6_vgpr7
	s_nop 0
	v_cndmask_b32_e32 v1, v1, v3, vcc
	v_cmp_gt_f64_e32 vcc, 0, v[8:9]
	s_nop 1
	v_cndmask_b32_e32 v5, v9, v4, vcc
	v_mov_b32_e32 v4, v8
	v_cmp_ngt_f64_e32 vcc, v[0:1], v[4:5]
	s_and_saveexec_b64 s[8:9], vcc
	s_xor_b64 s[8:9], exec, s[8:9]
	s_cbranch_execz .LBB67_110
; %bb.107:                              ;   in Loop: Header=BB67_105 Depth=1
	v_mov_b64_e32 v[6:7], 0
	v_cmp_neq_f64_e32 vcc, 0, v[8:9]
	s_and_saveexec_b64 s[16:17], vcc
	s_cbranch_execz .LBB67_109
; %bb.108:                              ;   in Loop: Header=BB67_105 Depth=1
	v_div_scale_f64 v[6:7], s[24:25], v[4:5], v[4:5], v[0:1]
	v_rcp_f64_e32 v[8:9], v[6:7]
	v_div_scale_f64 v[26:27], vcc, v[0:1], v[4:5], v[0:1]
	v_fma_f64 v[28:29], -v[6:7], v[8:9], 1.0
	v_fmac_f64_e32 v[8:9], v[8:9], v[28:29]
	v_fma_f64 v[28:29], -v[6:7], v[8:9], 1.0
	v_fmac_f64_e32 v[8:9], v[8:9], v[28:29]
	v_mul_f64 v[28:29], v[26:27], v[8:9]
	v_fma_f64 v[6:7], -v[6:7], v[28:29], v[26:27]
	v_div_fmas_f64 v[6:7], v[6:7], v[8:9], v[28:29]
	v_div_fixup_f64 v[0:1], v[6:7], v[4:5], v[0:1]
	v_fma_f64 v[0:1], v[0:1], v[0:1], 1.0
	v_cmp_gt_f64_e32 vcc, s[6:7], v[0:1]
	s_nop 1
	v_cndmask_b32_e32 v3, 0, v20, vcc
	v_ldexp_f64 v[0:1], v[0:1], v3
	v_rsq_f64_e32 v[6:7], v[0:1]
	v_cndmask_b32_e32 v3, 0, v21, vcc
	v_cmp_class_f64_e32 vcc, v[0:1], v18
	v_mul_f64 v[8:9], v[0:1], v[6:7]
	v_mul_f64 v[6:7], v[6:7], 0.5
	v_fma_f64 v[26:27], -v[6:7], v[8:9], 0.5
	v_fmac_f64_e32 v[8:9], v[8:9], v[26:27]
	v_fma_f64 v[28:29], -v[8:9], v[8:9], v[0:1]
	v_fmac_f64_e32 v[6:7], v[6:7], v[26:27]
	v_fmac_f64_e32 v[8:9], v[28:29], v[6:7]
	v_fma_f64 v[26:27], -v[8:9], v[8:9], v[0:1]
	v_fmac_f64_e32 v[8:9], v[26:27], v[6:7]
	v_ldexp_f64 v[6:7], v[8:9], v3
	v_cndmask_b32_e32 v1, v7, v1, vcc
	v_cndmask_b32_e32 v0, v6, v0, vcc
	v_mul_f64 v[6:7], v[4:5], v[0:1]
.LBB67_109:                             ;   in Loop: Header=BB67_105 Depth=1
	s_or_b64 exec, exec, s[16:17]
                                        ; implicit-def: $vgpr0_vgpr1
                                        ; implicit-def: $vgpr4_vgpr5
.LBB67_110:                             ;   in Loop: Header=BB67_105 Depth=1
	s_andn2_saveexec_b64 s[8:9], s[8:9]
	s_cbranch_execz .LBB67_112
; %bb.111:                              ;   in Loop: Header=BB67_105 Depth=1
	v_div_scale_f64 v[6:7], s[16:17], v[0:1], v[0:1], v[4:5]
	v_rcp_f64_e32 v[8:9], v[6:7]
	v_div_scale_f64 v[26:27], vcc, v[4:5], v[0:1], v[4:5]
	v_fma_f64 v[28:29], -v[6:7], v[8:9], 1.0
	v_fmac_f64_e32 v[8:9], v[8:9], v[28:29]
	v_fma_f64 v[28:29], -v[6:7], v[8:9], 1.0
	v_fmac_f64_e32 v[8:9], v[8:9], v[28:29]
	v_mul_f64 v[28:29], v[26:27], v[8:9]
	v_fma_f64 v[6:7], -v[6:7], v[28:29], v[26:27]
	v_div_fmas_f64 v[6:7], v[6:7], v[8:9], v[28:29]
	v_div_fixup_f64 v[4:5], v[6:7], v[0:1], v[4:5]
	v_fma_f64 v[4:5], v[4:5], v[4:5], 1.0
	v_cmp_gt_f64_e32 vcc, s[6:7], v[4:5]
	s_nop 1
	v_cndmask_b32_e32 v3, 0, v20, vcc
	v_ldexp_f64 v[4:5], v[4:5], v3
	v_rsq_f64_e32 v[6:7], v[4:5]
	v_cndmask_b32_e32 v3, 0, v21, vcc
	v_cmp_class_f64_e32 vcc, v[4:5], v18
	v_mul_f64 v[8:9], v[4:5], v[6:7]
	v_mul_f64 v[6:7], v[6:7], 0.5
	v_fma_f64 v[26:27], -v[6:7], v[8:9], 0.5
	v_fmac_f64_e32 v[8:9], v[8:9], v[26:27]
	v_fma_f64 v[28:29], -v[8:9], v[8:9], v[4:5]
	v_fmac_f64_e32 v[6:7], v[6:7], v[26:27]
	v_fmac_f64_e32 v[8:9], v[28:29], v[6:7]
	v_fma_f64 v[26:27], -v[8:9], v[8:9], v[4:5]
	v_fmac_f64_e32 v[8:9], v[26:27], v[6:7]
	v_ldexp_f64 v[6:7], v[8:9], v3
	v_cndmask_b32_e32 v5, v7, v5, vcc
	v_cndmask_b32_e32 v4, v6, v4, vcc
	v_mul_f64 v[6:7], v[0:1], v[4:5]
.LBB67_112:                             ;   in Loop: Header=BB67_105 Depth=1
	s_or_b64 exec, exec, s[8:9]
	v_cmp_gt_f64_e32 vcc, s[6:7], v[6:7]
	s_nop 1
	v_cndmask_b32_e32 v0, 0, v20, vcc
	v_ldexp_f64 v[0:1], v[6:7], v0
	v_rsq_f64_e32 v[4:5], v[0:1]
	v_cndmask_b32_e32 v3, 0, v21, vcc
	v_cmp_class_f64_e32 vcc, v[0:1], v18
	v_mul_f64 v[6:7], v[0:1], v[4:5]
	v_mul_f64 v[4:5], v[4:5], 0.5
	v_fma_f64 v[8:9], -v[4:5], v[6:7], 0.5
	v_fmac_f64_e32 v[6:7], v[6:7], v[8:9]
	v_fmac_f64_e32 v[4:5], v[4:5], v[8:9]
	v_fma_f64 v[8:9], -v[6:7], v[6:7], v[0:1]
	v_fmac_f64_e32 v[6:7], v[8:9], v[4:5]
	v_fma_f64 v[8:9], -v[6:7], v[6:7], v[0:1]
	v_fmac_f64_e32 v[6:7], v[8:9], v[4:5]
	v_ldexp_f64 v[4:5], v[6:7], v3
	v_cndmask_b32_e32 v1, v5, v1, vcc
	v_cndmask_b32_e32 v0, v4, v0, vcc
	v_mov_b32_e32 v3, v2
	ds_write_b128 v14, v[0:3]
.LBB67_113:                             ;   in Loop: Header=BB67_105 Depth=1
	s_or_b64 exec, exec, s[4:5]
	s_lshl_b32 s4, s18, 4
	s_mul_i32 s5, s18, 0x110
	s_add_i32 s5, s5, s4
	v_mov_b32_e32 v0, s5
	s_waitcnt lgkmcnt(0)
	ds_read_b128 v[26:29], v0 offset:8704
	v_add_u32_e32 v3, s4, v10
	ds_read_b128 v[4:7], v3
	s_waitcnt lgkmcnt(1)
	v_cmp_neq_f64_e32 vcc, 0, v[26:27]
	v_cmp_neq_f64_e64 s[4:5], 0, v[28:29]
	s_or_b64 vcc, vcc, s[4:5]
	v_cndmask_b32_e32 v1, 0, v29, vcc
	s_nor_b64 s[8:9], vcc, s[2:3]
	v_cndmask_b32_e32 v0, 0, v28, vcc
	v_cndmask_b32_e32 v9, v19, v27, vcc
	;; [unrolled: 1-line block ×3, first 2 shown]
	s_and_saveexec_b64 s[4:5], s[8:9]
	s_cbranch_execz .LBB67_117
; %bb.114:                              ;   in Loop: Header=BB67_105 Depth=1
	v_mbcnt_lo_u32_b32 v0, exec_lo, 0
	v_mbcnt_hi_u32_b32 v0, exec_hi, v0
	v_cmp_eq_u32_e32 vcc, 0, v0
	s_and_saveexec_b64 s[8:9], vcc
	s_cbranch_execz .LBB67_116
; %bb.115:                              ;   in Loop: Header=BB67_105 Depth=1
	global_atomic_smin v2, v22, s[14:15]
.LBB67_116:                             ;   in Loop: Header=BB67_105 Depth=1
	s_or_b64 exec, exec, s[8:9]
	v_mov_b64_e32 v[8:9], 1.0
	v_mov_b64_e32 v[0:1], 0
.LBB67_117:                             ;   in Loop: Header=BB67_105 Depth=1
	s_or_b64 exec, exec, s[4:5]
	v_cmp_lt_u32_e32 vcc, s18, v12
	s_and_saveexec_b64 s[4:5], vcc
	s_cbranch_execz .LBB67_104
; %bb.118:                              ;   in Loop: Header=BB67_105 Depth=1
	v_mul_f64 v[30:31], v[0:1], v[0:1]
	v_lshl_add_u32 v23, s18, 4, v11
	v_fmac_f64_e32 v[30:31], v[8:9], v[8:9]
	ds_read_b128 v[26:29], v23
	v_div_scale_f64 v[32:33], s[8:9], v[30:31], v[30:31], 1.0
	v_rcp_f64_e32 v[34:35], v[32:33]
	s_waitcnt lgkmcnt(0)
	v_add_f64 v[26:27], v[4:5], -v[26:27]
	v_add_f64 v[6:7], v[6:7], -v[28:29]
	v_fma_f64 v[4:5], -v[32:33], v[34:35], 1.0
	v_fmac_f64_e32 v[34:35], v[34:35], v[4:5]
	v_fma_f64 v[4:5], -v[32:33], v[34:35], 1.0
	v_fmac_f64_e32 v[34:35], v[34:35], v[4:5]
	v_div_scale_f64 v[4:5], vcc, 1.0, v[30:31], 1.0
	v_mul_f64 v[28:29], v[4:5], v[34:35]
	v_fma_f64 v[4:5], -v[32:33], v[28:29], v[4:5]
	s_nop 1
	v_div_fmas_f64 v[4:5], v[4:5], v[34:35], v[28:29]
	v_div_fixup_f64 v[28:29], v[4:5], v[30:31], 1.0
	v_mul_f64 v[4:5], v[0:1], v[6:7]
	v_mul_f64 v[0:1], v[0:1], -v[26:27]
	v_fmac_f64_e32 v[4:5], v[26:27], v[8:9]
	v_fmac_f64_e32 v[0:1], v[6:7], v[8:9]
	v_mul_f64 v[4:5], v[28:29], v[4:5]
	v_mul_f64 v[6:7], v[28:29], v[0:1]
	ds_write_b128 v3, v[4:7]
	s_waitcnt lgkmcnt(0)
	s_and_b64 exec, exec, s[0:1]
	s_cbranch_execz .LBB67_104
; %bb.119:                              ;   in Loop: Header=BB67_105 Depth=1
	s_mov_b64 s[8:9], 0
	v_mov_b32_e32 v0, v17
	v_mov_b32_e32 v1, v16
	;; [unrolled: 1-line block ×3, first 2 shown]
.LBB67_120:                             ;   Parent Loop BB67_105 Depth=1
                                        ; =>  This Inner Loop Header: Depth=2
	ds_read_b128 v[26:29], v0
	ds_read_b128 v[30:33], v1
	v_add_u32_e32 v3, 4, v3
	v_cmp_le_i32_e32 vcc, s44, v3
	s_or_b64 s[8:9], vcc, s[8:9]
	v_add_u32_e32 v0, 0x440, v0
	s_waitcnt lgkmcnt(0)
	v_fmac_f64_e32 v[30:31], v[4:5], v[26:27]
	v_fmac_f64_e32 v[32:33], v[6:7], v[26:27]
	;; [unrolled: 1-line block ×3, first 2 shown]
	v_fma_f64 v[32:33], v[4:5], -v[28:29], v[32:33]
	ds_write_b128 v1, v[30:33]
	v_add_u32_e32 v1, 64, v1
	s_andn2_b64 exec, exec, s[8:9]
	s_cbranch_execnz .LBB67_120
	s_branch .LBB67_104
.LBB67_121:
	s_and_saveexec_b64 s[2:3], s[0:1]
	s_cbranch_execz .LBB67_130
; %bb.122:
	s_mul_i32 s33, s33, s44
	v_add_u32_e32 v0, s33, v12
	s_cmp_lg_u32 s45, 0
	v_mul_lo_u32 v2, v0, s44
	v_mul_u32_u24_e32 v0, 0x110, v12
	s_movk_i32 s6, 0x2200
	v_cmp_gt_i32_e64 s[0:1], s44, v12
	s_cselect_b64 s[4:5], -1, 0
	v_add3_u32 v3, v0, v24, s6
	s_mov_b64 s[6:7], 0
	v_mov_b32_e32 v4, v13
	s_branch .LBB67_126
.LBB67_123:                             ;   in Loop: Header=BB67_126 Depth=1
	v_add_u32_e32 v0, v2, v4
.LBB67_124:                             ;   in Loop: Header=BB67_126 Depth=1
	ds_read2_b64 v[6:9], v3 offset1:1
	v_ashrrev_i32_e32 v1, 31, v0
	v_lshl_add_u64 v[0:1], v[0:1], 4, s[22:23]
	s_waitcnt lgkmcnt(0)
	global_store_dwordx4 v[0:1], v[6:9], off
.LBB67_125:                             ;   in Loop: Header=BB67_126 Depth=1
	s_or_b64 exec, exec, s[8:9]
	v_add_u32_e32 v4, 4, v4
	v_cmp_le_i32_e32 vcc, s44, v4
	s_or_b64 s[6:7], vcc, s[6:7]
	v_add_u32_e32 v3, 64, v3
	s_andn2_b64 exec, exec, s[6:7]
	s_cbranch_execz .LBB67_130
.LBB67_126:                             ; =>This Inner Loop Header: Depth=1
	s_and_saveexec_b64 s[8:9], s[0:1]
	s_cbranch_execz .LBB67_125
; %bb.127:                              ;   in Loop: Header=BB67_126 Depth=1
	s_and_b64 vcc, exec, s[4:5]
	s_cbranch_vccz .LBB67_129
; %bb.128:                              ;   in Loop: Header=BB67_126 Depth=1
	v_add_u32_e32 v0, s33, v4
	v_mad_u64_u32 v[0:1], s[16:17], v0, s44, v[12:13]
	s_cbranch_execnz .LBB67_124
	s_branch .LBB67_123
.LBB67_129:                             ;   in Loop: Header=BB67_126 Depth=1
                                        ; implicit-def: $vgpr0
	s_branch .LBB67_123
.LBB67_130:
	s_or_b64 exec, exec, s[2:3]
	v_or_b32_e32 v0, v13, v12
	v_cmp_eq_u32_e32 vcc, 0, v0
	s_and_saveexec_b64 s[0:1], vcc
	s_cbranch_execz .LBB67_132
; %bb.131:
	s_add_u32 s2, s10, s12
	s_addc_u32 s3, s11, s13
	v_mov_b32_e32 v0, 0
	v_mov_b32_e32 v1, 1
	buffer_wbl2 sc1
	s_waitcnt vmcnt(0)
	global_store_dword v0, v1, s[2:3] sc1
.LBB67_132:
	s_or_b64 exec, exec, s[0:1]
.LBB67_133:
	s_endpgm
.LBB67_134:
	s_cbranch_execz .LBB67_133
; %bb.135:
	v_or_b32_e32 v0, v13, v12
	v_cmp_eq_u32_e32 vcc, 0, v0
	s_and_saveexec_b64 s[0:1], vcc
	s_cbranch_execz .LBB67_133
; %bb.136:
	v_mbcnt_lo_u32_b32 v0, exec_lo, 0
	v_mbcnt_hi_u32_b32 v0, exec_hi, v0
	v_cmp_eq_u32_e32 vcc, 0, v0
	s_and_saveexec_b64 s[0:1], vcc
	s_cbranch_execz .LBB67_138
; %bb.137:
	s_add_i32 s2, s20, s21
	v_mov_b32_e32 v0, 0
	v_mov_b32_e32 v1, s2
	global_atomic_smin v0, v1, s[14:15]
.LBB67_138:
	s_or_b64 exec, exec, s[0:1]
	s_add_u32 s0, s10, s12
	s_addc_u32 s1, s11, s13
	v_mov_b32_e32 v0, 0
	v_mov_b32_e32 v1, 1
	buffer_wbl2 sc1
	s_waitcnt vmcnt(0)
	global_store_dword v0, v1, s[0:1] sc1
	s_endpgm
	.section	.rodata,"a",@progbits
	.p2align	6, 0x0
	.amdhsa_kernel _ZN9rocsparseL18bsric0_9_16_kernelILi64ELi32ELi16E21rocsparse_complex_numIdEEEv20rocsparse_direction_iiPKiS5_PT2_S5_PiS5_S8_21rocsparse_index_base_
		.amdhsa_group_segment_fixed_size 17792
		.amdhsa_private_segment_fixed_size 0
		.amdhsa_kernarg_size 76
		.amdhsa_user_sgpr_count 2
		.amdhsa_user_sgpr_dispatch_ptr 0
		.amdhsa_user_sgpr_queue_ptr 0
		.amdhsa_user_sgpr_kernarg_segment_ptr 1
		.amdhsa_user_sgpr_dispatch_id 0
		.amdhsa_user_sgpr_kernarg_preload_length 0
		.amdhsa_user_sgpr_kernarg_preload_offset 0
		.amdhsa_user_sgpr_private_segment_size 0
		.amdhsa_uses_dynamic_stack 0
		.amdhsa_enable_private_segment 0
		.amdhsa_system_sgpr_workgroup_id_x 1
		.amdhsa_system_sgpr_workgroup_id_y 0
		.amdhsa_system_sgpr_workgroup_id_z 0
		.amdhsa_system_sgpr_workgroup_info 0
		.amdhsa_system_vgpr_workitem_id 1
		.amdhsa_next_free_vgpr 129
		.amdhsa_next_free_sgpr 96
		.amdhsa_accum_offset 48
		.amdhsa_reserve_vcc 1
		.amdhsa_float_round_mode_32 0
		.amdhsa_float_round_mode_16_64 0
		.amdhsa_float_denorm_mode_32 3
		.amdhsa_float_denorm_mode_16_64 3
		.amdhsa_dx10_clamp 1
		.amdhsa_ieee_mode 1
		.amdhsa_fp16_overflow 0
		.amdhsa_tg_split 0
		.amdhsa_exception_fp_ieee_invalid_op 0
		.amdhsa_exception_fp_denorm_src 0
		.amdhsa_exception_fp_ieee_div_zero 0
		.amdhsa_exception_fp_ieee_overflow 0
		.amdhsa_exception_fp_ieee_underflow 0
		.amdhsa_exception_fp_ieee_inexact 0
		.amdhsa_exception_int_div_zero 0
	.end_amdhsa_kernel
	.section	.text._ZN9rocsparseL18bsric0_9_16_kernelILi64ELi32ELi16E21rocsparse_complex_numIdEEEv20rocsparse_direction_iiPKiS5_PT2_S5_PiS5_S8_21rocsparse_index_base_,"axG",@progbits,_ZN9rocsparseL18bsric0_9_16_kernelILi64ELi32ELi16E21rocsparse_complex_numIdEEEv20rocsparse_direction_iiPKiS5_PT2_S5_PiS5_S8_21rocsparse_index_base_,comdat
.Lfunc_end67:
	.size	_ZN9rocsparseL18bsric0_9_16_kernelILi64ELi32ELi16E21rocsparse_complex_numIdEEEv20rocsparse_direction_iiPKiS5_PT2_S5_PiS5_S8_21rocsparse_index_base_, .Lfunc_end67-_ZN9rocsparseL18bsric0_9_16_kernelILi64ELi32ELi16E21rocsparse_complex_numIdEEEv20rocsparse_direction_iiPKiS5_PT2_S5_PiS5_S8_21rocsparse_index_base_
                                        ; -- End function
	.set _ZN9rocsparseL18bsric0_9_16_kernelILi64ELi32ELi16E21rocsparse_complex_numIdEEEv20rocsparse_direction_iiPKiS5_PT2_S5_PiS5_S8_21rocsparse_index_base_.num_vgpr, 46
	.set _ZN9rocsparseL18bsric0_9_16_kernelILi64ELi32ELi16E21rocsparse_complex_numIdEEEv20rocsparse_direction_iiPKiS5_PT2_S5_PiS5_S8_21rocsparse_index_base_.num_agpr, 0
	.set _ZN9rocsparseL18bsric0_9_16_kernelILi64ELi32ELi16E21rocsparse_complex_numIdEEEv20rocsparse_direction_iiPKiS5_PT2_S5_PiS5_S8_21rocsparse_index_base_.numbered_sgpr, 54
	.set _ZN9rocsparseL18bsric0_9_16_kernelILi64ELi32ELi16E21rocsparse_complex_numIdEEEv20rocsparse_direction_iiPKiS5_PT2_S5_PiS5_S8_21rocsparse_index_base_.num_named_barrier, 0
	.set _ZN9rocsparseL18bsric0_9_16_kernelILi64ELi32ELi16E21rocsparse_complex_numIdEEEv20rocsparse_direction_iiPKiS5_PT2_S5_PiS5_S8_21rocsparse_index_base_.private_seg_size, 0
	.set _ZN9rocsparseL18bsric0_9_16_kernelILi64ELi32ELi16E21rocsparse_complex_numIdEEEv20rocsparse_direction_iiPKiS5_PT2_S5_PiS5_S8_21rocsparse_index_base_.uses_vcc, 1
	.set _ZN9rocsparseL18bsric0_9_16_kernelILi64ELi32ELi16E21rocsparse_complex_numIdEEEv20rocsparse_direction_iiPKiS5_PT2_S5_PiS5_S8_21rocsparse_index_base_.uses_flat_scratch, 0
	.set _ZN9rocsparseL18bsric0_9_16_kernelILi64ELi32ELi16E21rocsparse_complex_numIdEEEv20rocsparse_direction_iiPKiS5_PT2_S5_PiS5_S8_21rocsparse_index_base_.has_dyn_sized_stack, 0
	.set _ZN9rocsparseL18bsric0_9_16_kernelILi64ELi32ELi16E21rocsparse_complex_numIdEEEv20rocsparse_direction_iiPKiS5_PT2_S5_PiS5_S8_21rocsparse_index_base_.has_recursion, 0
	.set _ZN9rocsparseL18bsric0_9_16_kernelILi64ELi32ELi16E21rocsparse_complex_numIdEEEv20rocsparse_direction_iiPKiS5_PT2_S5_PiS5_S8_21rocsparse_index_base_.has_indirect_call, 0
	.section	.AMDGPU.csdata,"",@progbits
; Kernel info:
; codeLenInByte = 4492
; TotalNumSgprs: 60
; NumVgprs: 46
; NumAgprs: 0
; TotalNumVgprs: 46
; ScratchSize: 0
; MemoryBound: 1
; FloatMode: 240
; IeeeMode: 1
; LDSByteSize: 17792 bytes/workgroup (compile time only)
; SGPRBlocks: 12
; VGPRBlocks: 16
; NumSGPRsForWavesPerEU: 102
; NumVGPRsForWavesPerEU: 129
; AccumOffset: 48
; Occupancy: 3
; WaveLimiterHint : 1
; COMPUTE_PGM_RSRC2:SCRATCH_EN: 0
; COMPUTE_PGM_RSRC2:USER_SGPR: 2
; COMPUTE_PGM_RSRC2:TRAP_HANDLER: 0
; COMPUTE_PGM_RSRC2:TGID_X_EN: 1
; COMPUTE_PGM_RSRC2:TGID_Y_EN: 0
; COMPUTE_PGM_RSRC2:TGID_Z_EN: 0
; COMPUTE_PGM_RSRC2:TIDIG_COMP_CNT: 1
; COMPUTE_PGM_RSRC3_GFX90A:ACCUM_OFFSET: 11
; COMPUTE_PGM_RSRC3_GFX90A:TG_SPLIT: 0
	.section	.text._ZN9rocsparseL19bsric0_17_32_kernelILi64ELi32ELi32E21rocsparse_complex_numIdEEEv20rocsparse_direction_iiPKiS5_PT2_S5_PiS5_S8_21rocsparse_index_base_,"axG",@progbits,_ZN9rocsparseL19bsric0_17_32_kernelILi64ELi32ELi32E21rocsparse_complex_numIdEEEv20rocsparse_direction_iiPKiS5_PT2_S5_PiS5_S8_21rocsparse_index_base_,comdat
	.globl	_ZN9rocsparseL19bsric0_17_32_kernelILi64ELi32ELi32E21rocsparse_complex_numIdEEEv20rocsparse_direction_iiPKiS5_PT2_S5_PiS5_S8_21rocsparse_index_base_ ; -- Begin function _ZN9rocsparseL19bsric0_17_32_kernelILi64ELi32ELi32E21rocsparse_complex_numIdEEEv20rocsparse_direction_iiPKiS5_PT2_S5_PiS5_S8_21rocsparse_index_base_
	.p2align	8
	.type	_ZN9rocsparseL19bsric0_17_32_kernelILi64ELi32ELi32E21rocsparse_complex_numIdEEEv20rocsparse_direction_iiPKiS5_PT2_S5_PiS5_S8_21rocsparse_index_base_,@function
_ZN9rocsparseL19bsric0_17_32_kernelILi64ELi32ELi32E21rocsparse_complex_numIdEEEv20rocsparse_direction_iiPKiS5_PT2_S5_PiS5_S8_21rocsparse_index_base_: ; @_ZN9rocsparseL19bsric0_17_32_kernelILi64ELi32ELi32E21rocsparse_complex_numIdEEEv20rocsparse_direction_iiPKiS5_PT2_S5_PiS5_S8_21rocsparse_index_base_
; %bb.0:
	s_load_dwordx8 s[8:15], s[0:1], 0x28
	s_mov_b32 s3, 0
	s_lshl_b64 s[2:3], s[2:3], 2
	v_and_b32_e32 v13, 0x3ff, v0
	v_bfe_u32 v12, v0, 10, 10
	s_waitcnt lgkmcnt(0)
	s_add_u32 s2, s12, s2
	s_addc_u32 s3, s13, s3
	s_load_dword s20, s[2:3], 0x0
	s_waitcnt lgkmcnt(0)
	s_ashr_i32 s21, s20, 31
	s_lshl_b64 s[12:13], s[20:21], 2
	s_add_u32 s2, s8, s12
	s_addc_u32 s3, s9, s13
	s_load_dword s33, s[2:3], 0x0
	s_load_dword s21, s[0:1], 0x48
	s_waitcnt lgkmcnt(0)
	s_cmp_lg_u32 s33, -1
	s_cbranch_scc0 .LBB68_124
; %bb.1:
	s_load_dwordx4 s[16:19], s[0:1], 0x10
	s_load_dwordx2 s[22:23], s[0:1], 0x20
	v_lshlrev_b32_e32 v0, 1, v12
	s_waitcnt lgkmcnt(0)
	s_add_u32 s2, s16, s12
	s_addc_u32 s3, s17, s13
	s_load_dword s2, s[2:3], 0x0
	s_waitcnt lgkmcnt(0)
	s_sub_i32 s48, s2, s21
	v_add3_u32 v0, v0, v13, s48
	v_cmp_ge_i32_e32 vcc, s33, v0
	s_and_saveexec_b64 s[2:3], vcc
	s_cbranch_execz .LBB68_4
; %bb.2:
	v_lshlrev_b32_e32 v1, 3, v12
	v_lshlrev_b32_e32 v2, 2, v13
	s_mov_b32 s4, 0xc700
	v_add3_u32 v2, v1, v2, s4
	s_mov_b64 s[4:5], 0
.LBB68_3:                               ; =>This Inner Loop Header: Depth=1
	v_ashrrev_i32_e32 v1, 31, v0
	v_lshl_add_u64 v[4:5], v[0:1], 2, s[18:19]
	global_load_dword v1, v[4:5], off
	v_add_u32_e32 v0, 64, v0
	v_cmp_lt_i32_e32 vcc, s33, v0
	s_or_b64 s[4:5], vcc, s[4:5]
	s_waitcnt vmcnt(0)
	v_subrev_u32_e32 v1, s21, v1
	ds_write_b32 v2, v1
	v_add_u32_e32 v2, 0x100, v2
	s_andn2_b64 exec, exec, s[4:5]
	s_cbranch_execnz .LBB68_3
.LBB68_4:
	s_or_b64 exec, exec, s[2:3]
	v_cmp_gt_u32_e32 vcc, 32, v13
	v_lshlrev_b32_e32 v24, 4, v13
	s_and_saveexec_b64 s[2:3], vcc
	s_cbranch_execz .LBB68_7
; %bb.5:
	v_mul_u32_u24_e32 v1, 0x210, v12
	s_mov_b32 s4, 0x8400
	v_mov_b32_e32 v2, 0
	v_add_u32_e32 v0, -2, v13
	v_add3_u32 v1, v1, v24, s4
	s_mov_b64 s[4:5], 0
	v_mov_b32_e32 v3, v2
	v_mov_b32_e32 v4, v2
	;; [unrolled: 1-line block ×3, first 2 shown]
.LBB68_6:                               ; =>This Inner Loop Header: Depth=1
	v_add_u32_e32 v0, 2, v0
	v_cmp_lt_u32_e32 vcc, 29, v0
	ds_write_b128 v1, v[2:5]
	s_or_b64 s[4:5], vcc, s[4:5]
	v_add_u32_e32 v1, 32, v1
	s_andn2_b64 exec, exec, s[4:5]
	s_cbranch_execnz .LBB68_6
.LBB68_7:
	s_or_b64 exec, exec, s[2:3]
	s_load_dword s46, s[0:1], 0x8
	s_load_dword s47, s[0:1], 0x0
	s_cmp_ge_i32 s48, s33
	s_waitcnt lgkmcnt(0)
	v_cmp_gt_i32_e64 s[0:1], s46, v13
	s_cbranch_scc1 .LBB68_79
; %bb.8:
	s_cmp_eq_u32 s47, 0
	s_cselect_b64 s[24:25], -1, 0
	s_cmp_lg_u32 s47, 0
	s_movk_i32 s6, 0x210
	v_mov_b32_e32 v0, 0x4200
	v_or_b32_e32 v1, v13, v12
	s_mul_i32 s7, s46, s48
	s_cselect_b64 s[26:27], -1, 0
	v_mad_u32_u24 v26, v12, s6, v0
	s_cmp_gt_i32 s46, 0
	v_cmp_ne_u32_e64 s[4:5], 0, v1
	v_mad_u32_u24 v28, v12, s6, v24
	v_add_u32_e32 v1, s7, v12
	v_mad_u32_u24 v32, v13, s6, v0
	v_mov_b32_e32 v0, 0
	s_mul_i32 s49, s46, s46
	v_cmp_gt_i32_e64 s[2:3], s46, v12
	v_mul_u32_u24_e32 v25, 0x210, v12
	v_mul_lo_u32 v27, s46, v12
	s_cselect_b64 s[28:29], -1, 0
	v_mul_lo_u32 v30, s46, v1
	v_mul_lo_u32 v29, v13, s46
	s_lshl_b32 s50, s46, 1
	v_add_u32_e32 v31, 0x8400, v28
	v_add_u32_e32 v33, 0x4200, v28
	v_mov_b32_e32 v1, v0
	v_mov_b32_e32 v2, v0
	v_mov_b32_e32 v3, v0
	v_mov_b32_e32 v34, 0x3ff00000
	s_mov_b32 s30, s48
	s_branch .LBB68_10
.LBB68_9:                               ;   in Loop: Header=BB68_10 Depth=1
	s_or_b64 exec, exec, s[6:7]
	s_add_i32 s30, s30, 1
	s_cmp_ge_i32 s30, s33
	buffer_wbl2 sc1
	s_waitcnt vmcnt(0)
	buffer_inv sc1
	v_add_u32_e32 v30, s49, v30
	s_cselect_b64 s[6:7], -1, 0
	s_and_b64 vcc, exec, s[6:7]
	s_cbranch_vccnz .LBB68_79
.LBB68_10:                              ; =>This Loop Header: Depth=1
                                        ;     Child Loop BB68_14 Depth 2
                                        ;     Child Loop BB68_26 Depth 2
	;; [unrolled: 1-line block ×4, first 2 shown]
                                        ;       Child Loop BB68_43 Depth 3
                                        ;         Child Loop BB68_48 Depth 4
                                        ;     Child Loop BB68_57 Depth 2
                                        ;       Child Loop BB68_64 Depth 3
                                        ;       Child Loop BB68_68 Depth 3
                                        ;     Child Loop BB68_73 Depth 2
	s_ashr_i32 s31, s30, 31
	s_lshl_b64 s[6:7], s[30:31], 2
	s_add_u32 s6, s18, s6
	s_addc_u32 s7, s19, s7
	s_load_dword s51, s[6:7], 0x0
	s_waitcnt lgkmcnt(0)
	s_sub_i32 s34, s51, s21
	s_ashr_i32 s35, s34, 31
	s_lshl_b64 s[6:7], s[34:35], 2
	s_add_u32 s36, s8, s6
	s_addc_u32 s37, s9, s7
	s_load_dword s52, s[36:37], 0x0
	s_waitcnt lgkmcnt(0)
	s_cmp_eq_u32 s52, -1
	s_cbranch_scc1 .LBB68_78
; %bb.11:                               ;   in Loop: Header=BB68_10 Depth=1
	s_add_u32 s36, s16, s6
	s_addc_u32 s37, s17, s7
	s_load_dword s35, s[36:37], 0x0
	s_mul_i32 s31, s30, s46
	s_and_saveexec_b64 s[36:37], s[0:1]
	s_cbranch_execz .LBB68_24
; %bb.12:                               ;   in Loop: Header=BB68_10 Depth=1
	s_mov_b64 s[38:39], 0
	v_mov_b32_e32 v6, v28
	v_mov_b32_e32 v7, v13
	s_branch .LBB68_14
.LBB68_13:                              ;   in Loop: Header=BB68_14 Depth=2
	s_or_b64 exec, exec, s[42:43]
	v_add_u32_e32 v7, 2, v7
	v_cmp_le_i32_e32 vcc, s46, v7
	s_waitcnt vmcnt(0)
	ds_write_b128 v6, v[8:11] offset:16896
	ds_write_b128 v6, v[0:3]
	s_or_b64 s[38:39], vcc, s[38:39]
	v_add_u32_e32 v6, 32, v6
	s_andn2_b64 exec, exec, s[38:39]
	s_cbranch_execz .LBB68_24
.LBB68_14:                              ;   Parent Loop BB68_10 Depth=1
                                        ; =>  This Inner Loop Header: Depth=2
	s_mov_b64 s[42:43], -1
	s_and_b64 vcc, exec, s[26:27]
	s_mov_b64 s[40:41], 0
                                        ; implicit-def: $vgpr4
	s_cbranch_vccz .LBB68_19
; %bb.15:                               ;   in Loop: Header=BB68_14 Depth=2
	s_mov_b64 s[42:43], 0
                                        ; implicit-def: $vgpr4
	s_and_saveexec_b64 s[44:45], s[2:3]
	s_xor_b64 s[44:45], exec, s[44:45]
; %bb.16:                               ;   in Loop: Header=BB68_14 Depth=2
	v_add_u32_e32 v4, s31, v7
	s_mov_b64 s[40:41], exec
	v_mad_u64_u32 v[4:5], s[54:55], v4, s46, v[12:13]
; %bb.17:                               ;   in Loop: Header=BB68_14 Depth=2
	s_or_b64 exec, exec, s[44:45]
	s_and_b64 vcc, exec, s[42:43]
	s_cbranch_vccnz .LBB68_20
.LBB68_18:                              ;   in Loop: Header=BB68_14 Depth=2
	v_mov_b64_e32 v[8:9], 0
	v_mov_b64_e32 v[10:11], 0
	s_and_saveexec_b64 s[42:43], s[40:41]
	s_cbranch_execz .LBB68_13
	s_branch .LBB68_23
.LBB68_19:                              ;   in Loop: Header=BB68_14 Depth=2
	s_and_b64 vcc, exec, s[42:43]
	s_cbranch_vccz .LBB68_18
.LBB68_20:                              ;   in Loop: Header=BB68_14 Depth=2
                                        ; implicit-def: $vgpr4
	s_and_saveexec_b64 s[42:43], s[2:3]
; %bb.21:                               ;   in Loop: Header=BB68_14 Depth=2
	v_add_u32_e32 v4, v30, v7
	s_or_b64 s[40:41], s[40:41], exec
; %bb.22:                               ;   in Loop: Header=BB68_14 Depth=2
	s_or_b64 exec, exec, s[42:43]
	v_mov_b64_e32 v[8:9], 0
	v_mov_b64_e32 v[10:11], 0
	s_and_saveexec_b64 s[42:43], s[40:41]
	s_cbranch_execz .LBB68_13
.LBB68_23:                              ;   in Loop: Header=BB68_14 Depth=2
	v_ashrrev_i32_e32 v5, 31, v4
	v_lshl_add_u64 v[4:5], v[4:5], 4, s[22:23]
	global_load_dwordx4 v[8:11], v[4:5], off
	s_branch .LBB68_13
.LBB68_24:                              ;   in Loop: Header=BB68_10 Depth=1
	s_or_b64 exec, exec, s[36:37]
	ds_read_b32 v4, v0 offset:50944
	s_waitcnt lgkmcnt(0)
	s_sub_i32 s36, s35, s21
	s_cmp_le_i32 s36, s52
	s_cselect_b64 s[38:39], -1, 0
	s_mov_b32 s37, 0
	v_cmp_ge_i32_e32 vcc, s34, v4
	s_and_b64 s[38:39], s[38:39], vcc
	s_andn2_b64 vcc, exec, s[38:39]
	s_cbranch_vccnz .LBB68_36
; %bb.25:                               ;   in Loop: Header=BB68_10 Depth=1
	s_mov_b32 s35, 0
	s_mov_b32 s40, 0
.LBB68_26:                              ;   Parent Loop BB68_10 Depth=1
                                        ; =>  This Inner Loop Header: Depth=2
	s_ashr_i32 s37, s36, 31
	s_lshl_b64 s[38:39], s[36:37], 2
	s_add_u32 s38, s18, s38
	s_addc_u32 s39, s19, s39
	s_load_dword s37, s[38:39], 0x0
	s_lshl_b32 s38, s40, 2
	v_mov_b32_e32 v4, s38
	ds_read_b32 v4, v4 offset:50944
	s_mov_b64 s[38:39], -1
	s_waitcnt lgkmcnt(0)
	s_sub_i32 s44, s37, s21
                                        ; implicit-def: $sgpr37
                                        ; implicit-def: $sgpr43
                                        ; implicit-def: $sgpr42
	v_cmp_ge_i32_e32 vcc, s44, v4
	v_readfirstlane_b32 s41, v4
	s_cbranch_vccz .LBB68_32
; %bb.27:                               ;   in Loop: Header=BB68_26 Depth=2
	s_cmp_le_i32 s44, s41
                                        ; implicit-def: $sgpr37
                                        ; implicit-def: $sgpr43
                                        ; implicit-def: $sgpr42
	s_cbranch_scc0 .LBB68_29
; %bb.28:                               ;   in Loop: Header=BB68_26 Depth=2
	s_add_i32 s37, s40, s48
	s_mul_i32 s37, s37, s49
	s_lshl_b32 s38, s35, 2
	v_mov_b32_e32 v4, s38
	v_mov_b32_e32 v5, s37
	s_mul_i32 s37, s36, s49
	v_mov_b32_e32 v6, s37
	v_add_u32_e32 v4, 0xc400, v4
	ds_write2_b32 v4, v6, v5 offset0:128 offset1:160
	s_add_i32 s42, s40, 1
	s_add_i32 s43, s36, 1
	;; [unrolled: 1-line block ×3, first 2 shown]
	s_mov_b64 s[38:39], 0
.LBB68_29:                              ;   in Loop: Header=BB68_26 Depth=2
	s_andn2_b64 vcc, exec, s[38:39]
	s_cbranch_vccnz .LBB68_31
; %bb.30:                               ;   in Loop: Header=BB68_26 Depth=2
	s_add_i32 s42, s40, 1
	s_mov_b32 s37, s35
	s_mov_b32 s43, s36
.LBB68_31:                              ;   in Loop: Header=BB68_26 Depth=2
	s_mov_b64 s[38:39], 0
.LBB68_32:                              ;   in Loop: Header=BB68_26 Depth=2
	s_andn2_b64 vcc, exec, s[38:39]
	s_cbranch_vccnz .LBB68_34
; %bb.33:                               ;   in Loop: Header=BB68_26 Depth=2
	s_add_i32 s43, s36, 1
	s_mov_b32 s42, s40
	s_mov_b32 s37, s35
.LBB68_34:                              ;   in Loop: Header=BB68_26 Depth=2
	s_cmp_le_i32 s43, s52
	s_cselect_b64 s[38:39], -1, 0
	s_cmp_le_i32 s41, s34
	s_cselect_b64 s[40:41], -1, 0
	s_and_b64 s[38:39], s[38:39], s[40:41]
	s_and_b64 vcc, exec, s[38:39]
	s_cbranch_vccz .LBB68_36
; %bb.35:                               ;   in Loop: Header=BB68_26 Depth=2
	s_mov_b32 s35, s37
	s_mov_b32 s36, s43
	;; [unrolled: 1-line block ×3, first 2 shown]
	s_branch .LBB68_26
.LBB68_36:                              ;   in Loop: Header=BB68_10 Depth=1
	s_add_u32 s6, s10, s6
	s_addc_u32 s7, s11, s7
	s_waitcnt lgkmcnt(0)
.LBB68_37:                              ;   Parent Loop BB68_10 Depth=1
                                        ; =>  This Inner Loop Header: Depth=2
	global_load_dword v4, v0, s[6:7] sc1
	s_waitcnt vmcnt(0)
	v_cmp_eq_u32_e32 vcc, 0, v4
	s_cbranch_vccnz .LBB68_37
; %bb.38:                               ;   in Loop: Header=BB68_10 Depth=1
	s_cmp_lt_i32 s37, 2
	buffer_inv sc1
	s_cbranch_scc1 .LBB68_54
; %bb.39:                               ;   in Loop: Header=BB68_10 Depth=1
	s_add_i32 s38, s37, -2
	s_mov_b32 s39, 0
	s_branch .LBB68_41
.LBB68_40:                              ;   in Loop: Header=BB68_41 Depth=2
	s_or_b64 exec, exec, s[6:7]
	s_add_i32 s6, s39, 1
	s_cmp_eq_u32 s39, s38
	s_mov_b32 s39, s6
	s_cbranch_scc1 .LBB68_54
.LBB68_41:                              ;   Parent Loop BB68_10 Depth=1
                                        ; =>  This Loop Header: Depth=2
                                        ;       Child Loop BB68_43 Depth 3
                                        ;         Child Loop BB68_48 Depth 4
	s_and_saveexec_b64 s[6:7], s[0:1]
	s_cbranch_execz .LBB68_40
; %bb.42:                               ;   in Loop: Header=BB68_41 Depth=2
	s_lshl_b32 s34, s39, 2
	v_mov_b32_e32 v4, s34
	v_add_u32_e32 v4, 0xc400, v4
	ds_read2_b32 v[4:5], v4 offset0:128 offset1:160
	s_mov_b64 s[34:35], 0
	v_mov_b32_e32 v39, v13
	s_waitcnt lgkmcnt(0)
	v_add_u32_e32 v35, v5, v27
	v_add_u32_e32 v36, v12, v5
	;; [unrolled: 1-line block ×4, first 2 shown]
.LBB68_43:                              ;   Parent Loop BB68_10 Depth=1
                                        ;     Parent Loop BB68_41 Depth=2
                                        ; =>    This Loop Header: Depth=3
                                        ;         Child Loop BB68_48 Depth 4
	v_mov_b64_e32 v[18:19], 0
	s_mov_b32 s40, 0
	v_mov_b32_e32 v14, v37
	v_mov_b32_e32 v16, v36
	v_mov_b64_e32 v[20:21], 0
	s_mov_b64 s[36:37], -1
	s_and_b64 vcc, exec, s[26:27]
                                        ; implicit-def: $vgpr4_vgpr5
                                        ; implicit-def: $vgpr22_vgpr23
	s_cbranch_vccz .LBB68_48
	s_branch .LBB68_45
.LBB68_44:                              ;   in Loop: Header=BB68_48 Depth=4
	v_mov_b64_e32 v[18:19], v[4:5]
	v_mov_b64_e32 v[20:21], v[22:23]
	s_mov_b64 s[36:37], -1
	s_and_b64 vcc, exec, s[26:27]
                                        ; implicit-def: $vgpr4_vgpr5
                                        ; implicit-def: $vgpr22_vgpr23
	s_cbranch_vccz .LBB68_48
.LBB68_45:                              ;   in Loop: Header=BB68_43 Depth=3
	v_ashrrev_i32_e32 v15, 31, v14
	v_lshl_add_u64 v[4:5], v[14:15], 4, s[22:23]
	global_load_dwordx4 v[4:7], v[4:5], off
	v_mov_b64_e32 v[8:9], 0
	v_mov_b64_e32 v[10:11], 0
	s_and_saveexec_b64 s[36:37], s[2:3]
	s_cbranch_execz .LBB68_47
; %bb.46:                               ;   in Loop: Header=BB68_43 Depth=3
	v_ashrrev_i32_e32 v17, 31, v16
	v_lshl_add_u64 v[8:9], v[16:17], 4, s[22:23]
	global_load_dwordx4 v[8:11], v[8:9], off
.LBB68_47:                              ;   in Loop: Header=BB68_43 Depth=3
	s_or_b64 exec, exec, s[36:37]
	s_waitcnt vmcnt(0)
	v_fma_f64 v[22:23], v[4:5], v[8:9], v[20:21]
	v_fmac_f64_e32 v[22:23], v[6:7], v[10:11]
	v_fma_f64 v[6:7], v[6:7], v[8:9], v[18:19]
	v_fma_f64 v[4:5], v[4:5], -v[10:11], v[6:7]
	s_mov_b64 s[36:37], 0
.LBB68_48:                              ;   Parent Loop BB68_10 Depth=1
                                        ;     Parent Loop BB68_41 Depth=2
                                        ;       Parent Loop BB68_43 Depth=3
                                        ; =>      This Inner Loop Header: Depth=4
	s_and_b64 vcc, exec, s[36:37]
	s_cbranch_vccz .LBB68_52
; %bb.49:                               ;   in Loop: Header=BB68_48 Depth=4
	v_add_u32_e32 v4, s40, v38
	v_ashrrev_i32_e32 v5, 31, v4
	v_lshl_add_u64 v[4:5], v[4:5], 4, s[22:23]
	global_load_dwordx4 v[4:7], v[4:5], off
	v_mov_b64_e32 v[8:9], 0
	v_mov_b64_e32 v[10:11], 0
	s_and_saveexec_b64 s[36:37], s[2:3]
	s_cbranch_execz .LBB68_51
; %bb.50:                               ;   in Loop: Header=BB68_48 Depth=4
	v_add_u32_e32 v8, s40, v35
	v_ashrrev_i32_e32 v9, 31, v8
	v_lshl_add_u64 v[8:9], v[8:9], 4, s[22:23]
	global_load_dwordx4 v[8:11], v[8:9], off
.LBB68_51:                              ;   in Loop: Header=BB68_48 Depth=4
	s_or_b64 exec, exec, s[36:37]
	s_waitcnt vmcnt(0)
	v_fmac_f64_e32 v[20:21], v[4:5], v[8:9]
	v_fmac_f64_e32 v[20:21], v[6:7], v[10:11]
	;; [unrolled: 1-line block ×3, first 2 shown]
	v_fma_f64 v[4:5], v[4:5], -v[10:11], v[18:19]
	v_mov_b64_e32 v[22:23], v[20:21]
.LBB68_52:                              ;   in Loop: Header=BB68_48 Depth=4
	s_add_i32 s40, s40, 1
	v_add_u32_e32 v16, s46, v16
	s_cmp_eq_u32 s46, s40
	v_add_u32_e32 v14, s46, v14
	s_cbranch_scc0 .LBB68_44
; %bb.53:                               ;   in Loop: Header=BB68_43 Depth=3
	v_lshl_add_u32 v10, v39, 4, v25
	ds_read_b128 v[6:9], v10
	v_add_u32_e32 v39, 2, v39
	v_cmp_le_i32_e32 vcc, s46, v39
	v_add_u32_e32 v37, 2, v37
	s_or_b64 s[34:35], vcc, s[34:35]
	s_waitcnt lgkmcnt(0)
	v_add_f64 v[6:7], v[22:23], v[6:7]
	v_add_f64 v[8:9], v[4:5], v[8:9]
	v_add_u32_e32 v38, s50, v38
	ds_write_b128 v10, v[6:9]
	s_andn2_b64 exec, exec, s[34:35]
	s_cbranch_execnz .LBB68_43
	s_branch .LBB68_40
.LBB68_54:                              ;   in Loop: Header=BB68_10 Depth=1
	s_andn2_b64 vcc, exec, s[28:29]
	s_waitcnt lgkmcnt(0)
	s_cbranch_vccnz .LBB68_69
; %bb.55:                               ;   in Loop: Header=BB68_10 Depth=1
	s_mul_i32 s36, s49, s52
	s_mov_b32 s37, 0
	v_mov_b32_e32 v21, s51
	v_mov_b32_e32 v18, v32
	s_mov_b32 s38, s36
	s_branch .LBB68_57
.LBB68_56:                              ;   in Loop: Header=BB68_57 Depth=2
	s_or_b64 exec, exec, s[6:7]
	s_add_i32 s37, s37, 1
	s_add_i32 s38, s38, 1
	s_cmp_eq_u32 s37, s46
	v_add_u32_e32 v18, 16, v18
	s_waitcnt lgkmcnt(0)
	s_cbranch_scc1 .LBB68_69
.LBB68_57:                              ;   Parent Loop BB68_10 Depth=1
                                        ; =>  This Loop Header: Depth=2
                                        ;       Child Loop BB68_64 Depth 3
                                        ;       Child Loop BB68_68 Depth 3
	s_mul_i32 s39, s37, s46
	s_add_i32 s39, s39, s36
	s_add_i32 s6, s39, s37
	s_ashr_i32 s7, s6, 31
	s_lshl_b64 s[6:7], s[6:7], 4
	s_add_u32 s6, s22, s6
	s_addc_u32 s7, s23, s7
	global_load_dwordx4 v[8:11], v0, s[6:7]
	v_lshl_add_u32 v19, s37, 4, v26
	ds_read_b128 v[4:7], v19
	s_waitcnt vmcnt(0)
	v_cmp_neq_f64_e32 vcc, 0, v[8:9]
	v_cmp_neq_f64_e64 s[6:7], 0, v[10:11]
	s_or_b64 vcc, vcc, s[6:7]
	v_cndmask_b32_e32 v15, v34, v9, vcc
	s_nor_b64 s[34:35], vcc, s[4:5]
	v_cndmask_b32_e32 v14, 0, v8, vcc
	v_cndmask_b32_e32 v17, 0, v11, vcc
	;; [unrolled: 1-line block ×3, first 2 shown]
	s_and_saveexec_b64 s[6:7], s[34:35]
	s_cbranch_execz .LBB68_61
; %bb.58:                               ;   in Loop: Header=BB68_57 Depth=2
	v_mbcnt_lo_u32_b32 v8, exec_lo, 0
	v_mbcnt_hi_u32_b32 v8, exec_hi, v8
	v_cmp_eq_u32_e32 vcc, 0, v8
	s_and_saveexec_b64 s[34:35], vcc
	s_cbranch_execz .LBB68_60
; %bb.59:                               ;   in Loop: Header=BB68_57 Depth=2
	global_atomic_smin v0, v21, s[14:15]
.LBB68_60:                              ;   in Loop: Header=BB68_57 Depth=2
	s_or_b64 exec, exec, s[34:35]
	v_mov_b64_e32 v[16:17], 0
	v_mov_b64_e32 v[14:15], 1.0
.LBB68_61:                              ;   in Loop: Header=BB68_57 Depth=2
	s_or_b64 exec, exec, s[6:7]
	v_lshl_add_u32 v8, s37, 4, v25
	ds_read_b128 v[8:11], v8
	s_cmp_eq_u32 s37, 0
	s_cbranch_scc1 .LBB68_66
; %bb.62:                               ;   in Loop: Header=BB68_57 Depth=2
	s_mov_b32 s34, 0
	s_mov_b32 s35, s37
	;; [unrolled: 1-line block ×3, first 2 shown]
	v_mov_b32_e32 v20, v26
	s_branch .LBB68_64
.LBB68_63:                              ;   in Loop: Header=BB68_64 Depth=3
	s_ashr_i32 s7, s6, 31
	s_lshl_b64 s[6:7], s[6:7], 4
	s_add_u32 s6, s22, s6
	s_addc_u32 s7, s23, s7
	global_load_dwordx4 v[36:39], v0, s[6:7]
	ds_read_b128 v[40:43], v20
	s_add_i32 s34, s34, 1
	s_add_i32 s40, s40, s46
	s_add_i32 s35, s35, -1
	s_cmp_eq_u32 s35, 0
	v_add_u32_e32 v20, 16, v20
	s_waitcnt vmcnt(0) lgkmcnt(0)
	v_fmac_f64_e32 v[8:9], v[36:37], v[40:41]
	v_fmac_f64_e32 v[10:11], v[38:39], v[40:41]
	;; [unrolled: 1-line block ×3, first 2 shown]
	v_fma_f64 v[10:11], v[36:37], -v[42:43], v[10:11]
	s_cbranch_scc1 .LBB68_66
.LBB68_64:                              ;   Parent Loop BB68_10 Depth=1
                                        ;     Parent Loop BB68_57 Depth=2
                                        ; =>    This Inner Loop Header: Depth=3
	s_andn2_b64 vcc, exec, s[24:25]
	s_mov_b32 s6, s40
	s_cbranch_vccnz .LBB68_63
; %bb.65:                               ;   in Loop: Header=BB68_64 Depth=3
	s_add_i32 s6, s34, s39
	s_branch .LBB68_63
.LBB68_66:                              ;   in Loop: Header=BB68_57 Depth=2
	v_mul_f64 v[22:23], v[16:17], v[16:17]
	v_fmac_f64_e32 v[22:23], v[14:15], v[14:15]
	v_div_scale_f64 v[36:37], s[6:7], v[22:23], v[22:23], 1.0
	v_rcp_f64_e32 v[38:39], v[36:37]
	s_waitcnt lgkmcnt(0)
	v_add_f64 v[8:9], v[4:5], -v[8:9]
	v_add_f64 v[6:7], v[6:7], -v[10:11]
	v_fma_f64 v[4:5], -v[36:37], v[38:39], 1.0
	v_fmac_f64_e32 v[38:39], v[38:39], v[4:5]
	v_fma_f64 v[4:5], -v[36:37], v[38:39], 1.0
	v_fmac_f64_e32 v[38:39], v[38:39], v[4:5]
	v_div_scale_f64 v[4:5], vcc, 1.0, v[22:23], 1.0
	v_mul_f64 v[10:11], v[4:5], v[38:39]
	v_fma_f64 v[4:5], -v[36:37], v[10:11], v[4:5]
	s_nop 1
	v_div_fmas_f64 v[4:5], v[4:5], v[38:39], v[10:11]
	v_div_fixup_f64 v[10:11], v[4:5], v[22:23], 1.0
	v_mul_f64 v[4:5], v[16:17], v[6:7]
	v_fmac_f64_e32 v[4:5], v[8:9], v[14:15]
	v_mul_f64 v[8:9], v[16:17], -v[8:9]
	v_fmac_f64_e32 v[8:9], v[6:7], v[14:15]
	v_mul_f64 v[4:5], v[10:11], v[4:5]
	v_mul_f64 v[6:7], v[10:11], v[8:9]
	ds_write_b128 v19, v[4:7]
	s_waitcnt lgkmcnt(0)
	s_and_saveexec_b64 s[6:7], s[0:1]
	s_cbranch_execz .LBB68_56
; %bb.67:                               ;   in Loop: Header=BB68_57 Depth=2
	s_mov_b64 s[34:35], 0
	v_mov_b32_e32 v8, v18
	v_mov_b32_e32 v9, v31
	;; [unrolled: 1-line block ×3, first 2 shown]
.LBB68_68:                              ;   Parent Loop BB68_10 Depth=1
                                        ;     Parent Loop BB68_57 Depth=2
                                        ; =>    This Inner Loop Header: Depth=3
	ds_read_b128 v[14:17], v8
	ds_read_b128 v[36:39], v9
	v_add_u32_e32 v10, 2, v10
	v_cmp_le_i32_e32 vcc, s46, v10
	s_or_b64 s[34:35], vcc, s[34:35]
	v_add_u32_e32 v8, 0x420, v8
	s_waitcnt lgkmcnt(0)
	v_fmac_f64_e32 v[36:37], v[4:5], v[14:15]
	v_fmac_f64_e32 v[38:39], v[6:7], v[14:15]
	;; [unrolled: 1-line block ×3, first 2 shown]
	v_fma_f64 v[38:39], v[4:5], -v[16:17], v[38:39]
	ds_write_b128 v9, v[36:39]
	v_add_u32_e32 v9, 32, v9
	s_andn2_b64 exec, exec, s[34:35]
	s_cbranch_execnz .LBB68_68
	s_branch .LBB68_56
.LBB68_69:                              ;   in Loop: Header=BB68_10 Depth=1
	s_and_saveexec_b64 s[6:7], s[0:1]
	s_cbranch_execz .LBB68_9
; %bb.70:                               ;   in Loop: Header=BB68_10 Depth=1
	s_mov_b64 s[34:35], 0
	v_mov_b32_e32 v6, v33
	v_mov_b32_e32 v7, v13
	s_branch .LBB68_73
.LBB68_71:                              ;   in Loop: Header=BB68_73 Depth=2
	ds_read2_b64 v[8:11], v6 offset1:1
	v_ashrrev_i32_e32 v5, 31, v4
	v_lshl_add_u64 v[4:5], v[4:5], 4, s[22:23]
	s_waitcnt lgkmcnt(0)
	global_store_dwordx4 v[4:5], v[8:11], off
.LBB68_72:                              ;   in Loop: Header=BB68_73 Depth=2
	s_or_b64 exec, exec, s[36:37]
	v_add_u32_e32 v7, 2, v7
	v_cmp_le_i32_e32 vcc, s46, v7
	s_or_b64 s[34:35], vcc, s[34:35]
	v_add_u32_e32 v6, 32, v6
	s_andn2_b64 exec, exec, s[34:35]
	s_cbranch_execz .LBB68_9
.LBB68_73:                              ;   Parent Loop BB68_10 Depth=1
                                        ; =>  This Inner Loop Header: Depth=2
	s_and_saveexec_b64 s[36:37], s[2:3]
	s_cbranch_execz .LBB68_72
; %bb.74:                               ;   in Loop: Header=BB68_73 Depth=2
	s_mov_b64 s[38:39], -1
	s_and_b64 vcc, exec, s[26:27]
                                        ; implicit-def: $vgpr4
	s_cbranch_vccz .LBB68_76
; %bb.75:                               ;   in Loop: Header=BB68_73 Depth=2
	v_add_u32_e32 v4, s31, v7
	v_mad_u64_u32 v[4:5], s[38:39], v4, s46, v[12:13]
	s_mov_b64 s[38:39], 0
.LBB68_76:                              ;   in Loop: Header=BB68_73 Depth=2
	s_andn2_b64 vcc, exec, s[38:39]
	s_cbranch_vccnz .LBB68_71
; %bb.77:                               ;   in Loop: Header=BB68_73 Depth=2
	v_add_u32_e32 v4, v30, v7
	s_branch .LBB68_71
.LBB68_78:                              ;   in Loop: Header=BB68_10 Depth=1
                                        ; implicit-def: $sgpr30
                                        ; implicit-def: $vgpr30
	s_cbranch_execz .LBB68_10
.LBB68_79:
	v_cmp_gt_i32_e64 s[0:1], s46, v13
	s_and_saveexec_b64 s[4:5], s[0:1]
	s_cbranch_execz .LBB68_92
; %bb.80:
	s_mul_i32 s26, s33, s46
	v_add_u32_e32 v0, s26, v12
	s_cmp_lg_u32 s47, 0
	v_mul_lo_u32 v2, v0, s46
	v_mul_u32_u24_e32 v0, 0x210, v12
	s_movk_i32 s8, 0x4200
	s_cselect_b64 s[6:7], -1, 0
	v_cmp_gt_i32_e64 s[2:3], s46, v12
	v_add3_u32 v3, v0, v24, s8
	s_mov_b64 s[8:9], 0
	v_mov_b32_e32 v4, v13
	s_branch .LBB68_82
.LBB68_81:                              ;   in Loop: Header=BB68_82 Depth=1
	s_or_b64 exec, exec, s[18:19]
	v_add_u32_e32 v4, 2, v4
	v_cmp_le_i32_e32 vcc, s46, v4
	s_waitcnt vmcnt(0)
	ds_write_b128 v3, v[6:9]
	s_or_b64 s[8:9], vcc, s[8:9]
	v_add_u32_e32 v3, 32, v3
	s_andn2_b64 exec, exec, s[8:9]
	s_cbranch_execz .LBB68_92
.LBB68_82:                              ; =>This Inner Loop Header: Depth=1
	s_and_b64 vcc, exec, s[6:7]
	s_cbranch_vccz .LBB68_89
; %bb.83:                               ;   in Loop: Header=BB68_82 Depth=1
	s_mov_b64 s[18:19], 0
	s_mov_b64 s[16:17], 0
                                        ; implicit-def: $vgpr0
	s_and_saveexec_b64 s[24:25], s[2:3]
	s_xor_b64 s[24:25], exec, s[24:25]
; %bb.84:                               ;   in Loop: Header=BB68_82 Depth=1
	v_add_u32_e32 v0, s26, v4
	s_mov_b64 s[16:17], exec
	v_mad_u64_u32 v[0:1], s[28:29], v0, s46, v[12:13]
; %bb.85:                               ;   in Loop: Header=BB68_82 Depth=1
	s_or_b64 exec, exec, s[24:25]
	s_and_b64 vcc, exec, s[18:19]
	s_cbranch_vccz .LBB68_90
.LBB68_86:                              ;   in Loop: Header=BB68_82 Depth=1
                                        ; implicit-def: $vgpr0
	s_and_saveexec_b64 s[18:19], s[2:3]
; %bb.87:                               ;   in Loop: Header=BB68_82 Depth=1
	v_add_u32_e32 v0, v2, v4
	s_or_b64 s[16:17], s[16:17], exec
; %bb.88:                               ;   in Loop: Header=BB68_82 Depth=1
	s_or_b64 exec, exec, s[18:19]
	v_mov_b64_e32 v[6:7], 0
	v_mov_b64_e32 v[8:9], 0
	s_and_saveexec_b64 s[18:19], s[16:17]
	s_cbranch_execz .LBB68_81
	s_branch .LBB68_91
.LBB68_89:                              ;   in Loop: Header=BB68_82 Depth=1
	s_mov_b64 s[16:17], 0
                                        ; implicit-def: $vgpr0
	s_cbranch_execnz .LBB68_86
.LBB68_90:                              ;   in Loop: Header=BB68_82 Depth=1
	v_mov_b64_e32 v[6:7], 0
	v_mov_b64_e32 v[8:9], 0
	s_and_saveexec_b64 s[18:19], s[16:17]
	s_cbranch_execz .LBB68_81
.LBB68_91:                              ;   in Loop: Header=BB68_82 Depth=1
	v_ashrrev_i32_e32 v1, 31, v0
	v_lshl_add_u64 v[0:1], v[0:1], 4, s[22:23]
	global_load_dwordx4 v[6:9], v[0:1], off
	s_branch .LBB68_81
.LBB68_92:
	s_or_b64 exec, exec, s[4:5]
	s_cmp_lt_i32 s46, 1
	s_waitcnt lgkmcnt(0)
	s_cbranch_scc1 .LBB68_111
; %bb.93:
	v_or_b32_e32 v2, v13, v12
	s_movk_i32 s4, 0x210
	v_mov_b32_e32 v0, 0x4200
	v_mul_u32_u24_e32 v1, 0x210, v12
	v_cmp_ne_u32_e64 s[2:3], 0, v2
	s_mov_b32 s6, 0x8400
	v_mov_b32_e32 v2, 0x8400
	v_mad_u32_u24 v10, v12, s4, v0
	s_add_i32 s5, s20, s21
	v_mad_u32_u24 v11, v12, s4, v2
	v_lshlrev_b32_e32 v2, 4, v12
	v_add3_u32 v16, v1, v24, s6
	s_mov_b32 s6, 0
	s_mov_b32 s18, 0
	v_add_u32_e32 v14, v10, v2
	v_add_u32_e32 v15, v11, v2
	v_mad_u32_u24 v17, v13, s4, v0
	s_brev_b32 s7, 8
	v_mov_b32_e32 v18, 0x260
	v_mov_b32_e32 v2, 0
	;; [unrolled: 1-line block ×6, first 2 shown]
	s_branch .LBB68_95
.LBB68_94:                              ;   in Loop: Header=BB68_95 Depth=1
	s_or_b64 exec, exec, s[4:5]
	s_add_i32 s18, s18, 1
	s_cmp_eq_u32 s18, s46
	v_add_u32_e32 v17, 16, v17
	s_waitcnt lgkmcnt(0)
	s_cbranch_scc1 .LBB68_111
.LBB68_95:                              ; =>This Loop Header: Depth=1
                                        ;     Child Loop BB68_110 Depth 2
	v_cmp_eq_u32_e32 vcc, s18, v12
	s_and_saveexec_b64 s[4:5], vcc
	s_cbranch_execz .LBB68_103
; %bb.96:                               ;   in Loop: Header=BB68_95 Depth=1
	ds_read_b128 v[4:7], v15
	ds_read_b128 v[26:29], v14
	s_waitcnt lgkmcnt(0)
	v_add_f64 v[0:1], v[26:27], -v[4:5]
	v_add_f64 v[8:9], v[28:29], -v[6:7]
	v_xor_b32_e32 v3, 0x80000000, v1
	v_cmp_gt_f64_e32 vcc, 0, v[0:1]
	v_xor_b32_e32 v4, 0x80000000, v9
                                        ; implicit-def: $vgpr6_vgpr7
	s_nop 0
	v_cndmask_b32_e32 v1, v1, v3, vcc
	v_cmp_gt_f64_e32 vcc, 0, v[8:9]
	s_nop 1
	v_cndmask_b32_e32 v5, v9, v4, vcc
	v_mov_b32_e32 v4, v8
	v_cmp_ngt_f64_e32 vcc, v[0:1], v[4:5]
	s_and_saveexec_b64 s[8:9], vcc
	s_xor_b64 s[8:9], exec, s[8:9]
	s_cbranch_execz .LBB68_100
; %bb.97:                               ;   in Loop: Header=BB68_95 Depth=1
	v_mov_b64_e32 v[6:7], 0
	v_cmp_neq_f64_e32 vcc, 0, v[8:9]
	s_and_saveexec_b64 s[16:17], vcc
	s_cbranch_execz .LBB68_99
; %bb.98:                               ;   in Loop: Header=BB68_95 Depth=1
	v_div_scale_f64 v[6:7], s[24:25], v[4:5], v[4:5], v[0:1]
	v_rcp_f64_e32 v[8:9], v[6:7]
	v_div_scale_f64 v[26:27], vcc, v[0:1], v[4:5], v[0:1]
	v_fma_f64 v[28:29], -v[6:7], v[8:9], 1.0
	v_fmac_f64_e32 v[8:9], v[8:9], v[28:29]
	v_fma_f64 v[28:29], -v[6:7], v[8:9], 1.0
	v_fmac_f64_e32 v[8:9], v[8:9], v[28:29]
	v_mul_f64 v[28:29], v[26:27], v[8:9]
	v_fma_f64 v[6:7], -v[6:7], v[28:29], v[26:27]
	v_div_fmas_f64 v[6:7], v[6:7], v[8:9], v[28:29]
	v_div_fixup_f64 v[0:1], v[6:7], v[4:5], v[0:1]
	v_fma_f64 v[0:1], v[0:1], v[0:1], 1.0
	v_cmp_gt_f64_e32 vcc, s[6:7], v[0:1]
	s_nop 1
	v_cndmask_b32_e32 v3, 0, v20, vcc
	v_ldexp_f64 v[0:1], v[0:1], v3
	v_rsq_f64_e32 v[6:7], v[0:1]
	v_cndmask_b32_e32 v3, 0, v21, vcc
	v_cmp_class_f64_e32 vcc, v[0:1], v18
	v_mul_f64 v[8:9], v[0:1], v[6:7]
	v_mul_f64 v[6:7], v[6:7], 0.5
	v_fma_f64 v[26:27], -v[6:7], v[8:9], 0.5
	v_fmac_f64_e32 v[8:9], v[8:9], v[26:27]
	v_fma_f64 v[28:29], -v[8:9], v[8:9], v[0:1]
	v_fmac_f64_e32 v[6:7], v[6:7], v[26:27]
	v_fmac_f64_e32 v[8:9], v[28:29], v[6:7]
	v_fma_f64 v[26:27], -v[8:9], v[8:9], v[0:1]
	v_fmac_f64_e32 v[8:9], v[26:27], v[6:7]
	v_ldexp_f64 v[6:7], v[8:9], v3
	v_cndmask_b32_e32 v1, v7, v1, vcc
	v_cndmask_b32_e32 v0, v6, v0, vcc
	v_mul_f64 v[6:7], v[4:5], v[0:1]
.LBB68_99:                              ;   in Loop: Header=BB68_95 Depth=1
	s_or_b64 exec, exec, s[16:17]
                                        ; implicit-def: $vgpr0_vgpr1
                                        ; implicit-def: $vgpr4_vgpr5
.LBB68_100:                             ;   in Loop: Header=BB68_95 Depth=1
	s_andn2_saveexec_b64 s[8:9], s[8:9]
	s_cbranch_execz .LBB68_102
; %bb.101:                              ;   in Loop: Header=BB68_95 Depth=1
	v_div_scale_f64 v[6:7], s[16:17], v[0:1], v[0:1], v[4:5]
	v_rcp_f64_e32 v[8:9], v[6:7]
	v_div_scale_f64 v[26:27], vcc, v[4:5], v[0:1], v[4:5]
	v_fma_f64 v[28:29], -v[6:7], v[8:9], 1.0
	v_fmac_f64_e32 v[8:9], v[8:9], v[28:29]
	v_fma_f64 v[28:29], -v[6:7], v[8:9], 1.0
	v_fmac_f64_e32 v[8:9], v[8:9], v[28:29]
	v_mul_f64 v[28:29], v[26:27], v[8:9]
	v_fma_f64 v[6:7], -v[6:7], v[28:29], v[26:27]
	v_div_fmas_f64 v[6:7], v[6:7], v[8:9], v[28:29]
	v_div_fixup_f64 v[4:5], v[6:7], v[0:1], v[4:5]
	v_fma_f64 v[4:5], v[4:5], v[4:5], 1.0
	v_cmp_gt_f64_e32 vcc, s[6:7], v[4:5]
	s_nop 1
	v_cndmask_b32_e32 v3, 0, v20, vcc
	v_ldexp_f64 v[4:5], v[4:5], v3
	v_rsq_f64_e32 v[6:7], v[4:5]
	v_cndmask_b32_e32 v3, 0, v21, vcc
	v_cmp_class_f64_e32 vcc, v[4:5], v18
	v_mul_f64 v[8:9], v[4:5], v[6:7]
	v_mul_f64 v[6:7], v[6:7], 0.5
	v_fma_f64 v[26:27], -v[6:7], v[8:9], 0.5
	v_fmac_f64_e32 v[8:9], v[8:9], v[26:27]
	v_fma_f64 v[28:29], -v[8:9], v[8:9], v[4:5]
	v_fmac_f64_e32 v[6:7], v[6:7], v[26:27]
	v_fmac_f64_e32 v[8:9], v[28:29], v[6:7]
	v_fma_f64 v[26:27], -v[8:9], v[8:9], v[4:5]
	v_fmac_f64_e32 v[8:9], v[26:27], v[6:7]
	v_ldexp_f64 v[6:7], v[8:9], v3
	v_cndmask_b32_e32 v5, v7, v5, vcc
	v_cndmask_b32_e32 v4, v6, v4, vcc
	v_mul_f64 v[6:7], v[0:1], v[4:5]
.LBB68_102:                             ;   in Loop: Header=BB68_95 Depth=1
	s_or_b64 exec, exec, s[8:9]
	v_cmp_gt_f64_e32 vcc, s[6:7], v[6:7]
	s_nop 1
	v_cndmask_b32_e32 v0, 0, v20, vcc
	v_ldexp_f64 v[0:1], v[6:7], v0
	v_rsq_f64_e32 v[4:5], v[0:1]
	v_cndmask_b32_e32 v3, 0, v21, vcc
	v_cmp_class_f64_e32 vcc, v[0:1], v18
	v_mul_f64 v[6:7], v[0:1], v[4:5]
	v_mul_f64 v[4:5], v[4:5], 0.5
	v_fma_f64 v[8:9], -v[4:5], v[6:7], 0.5
	v_fmac_f64_e32 v[6:7], v[6:7], v[8:9]
	v_fmac_f64_e32 v[4:5], v[4:5], v[8:9]
	v_fma_f64 v[8:9], -v[6:7], v[6:7], v[0:1]
	v_fmac_f64_e32 v[6:7], v[8:9], v[4:5]
	v_fma_f64 v[8:9], -v[6:7], v[6:7], v[0:1]
	v_fmac_f64_e32 v[6:7], v[8:9], v[4:5]
	v_ldexp_f64 v[4:5], v[6:7], v3
	v_cndmask_b32_e32 v1, v5, v1, vcc
	v_cndmask_b32_e32 v0, v4, v0, vcc
	v_mov_b32_e32 v3, v2
	ds_write_b128 v14, v[0:3]
.LBB68_103:                             ;   in Loop: Header=BB68_95 Depth=1
	s_or_b64 exec, exec, s[4:5]
	s_lshl_b32 s4, s18, 4
	s_mul_i32 s5, s18, 0x210
	s_add_i32 s5, s5, s4
	v_mov_b32_e32 v0, s5
	s_waitcnt lgkmcnt(0)
	ds_read_b128 v[26:29], v0 offset:16896
	v_add_u32_e32 v3, s4, v10
	ds_read_b128 v[4:7], v3
	s_waitcnt lgkmcnt(1)
	v_cmp_neq_f64_e32 vcc, 0, v[26:27]
	v_cmp_neq_f64_e64 s[4:5], 0, v[28:29]
	s_or_b64 vcc, vcc, s[4:5]
	v_cndmask_b32_e32 v1, 0, v29, vcc
	s_nor_b64 s[8:9], vcc, s[2:3]
	v_cndmask_b32_e32 v0, 0, v28, vcc
	v_cndmask_b32_e32 v9, v19, v27, vcc
	;; [unrolled: 1-line block ×3, first 2 shown]
	s_and_saveexec_b64 s[4:5], s[8:9]
	s_cbranch_execz .LBB68_107
; %bb.104:                              ;   in Loop: Header=BB68_95 Depth=1
	v_mbcnt_lo_u32_b32 v0, exec_lo, 0
	v_mbcnt_hi_u32_b32 v0, exec_hi, v0
	v_cmp_eq_u32_e32 vcc, 0, v0
	s_and_saveexec_b64 s[8:9], vcc
	s_cbranch_execz .LBB68_106
; %bb.105:                              ;   in Loop: Header=BB68_95 Depth=1
	global_atomic_smin v2, v22, s[14:15]
.LBB68_106:                             ;   in Loop: Header=BB68_95 Depth=1
	s_or_b64 exec, exec, s[8:9]
	v_mov_b64_e32 v[8:9], 1.0
	v_mov_b64_e32 v[0:1], 0
.LBB68_107:                             ;   in Loop: Header=BB68_95 Depth=1
	s_or_b64 exec, exec, s[4:5]
	v_cmp_lt_u32_e32 vcc, s18, v12
	s_and_saveexec_b64 s[4:5], vcc
	s_cbranch_execz .LBB68_94
; %bb.108:                              ;   in Loop: Header=BB68_95 Depth=1
	v_mul_f64 v[30:31], v[0:1], v[0:1]
	v_lshl_add_u32 v23, s18, 4, v11
	v_fmac_f64_e32 v[30:31], v[8:9], v[8:9]
	ds_read_b128 v[26:29], v23
	v_div_scale_f64 v[32:33], s[8:9], v[30:31], v[30:31], 1.0
	v_rcp_f64_e32 v[34:35], v[32:33]
	s_waitcnt lgkmcnt(0)
	v_add_f64 v[26:27], v[4:5], -v[26:27]
	v_add_f64 v[6:7], v[6:7], -v[28:29]
	v_fma_f64 v[4:5], -v[32:33], v[34:35], 1.0
	v_fmac_f64_e32 v[34:35], v[34:35], v[4:5]
	v_fma_f64 v[4:5], -v[32:33], v[34:35], 1.0
	v_fmac_f64_e32 v[34:35], v[34:35], v[4:5]
	v_div_scale_f64 v[4:5], vcc, 1.0, v[30:31], 1.0
	v_mul_f64 v[28:29], v[4:5], v[34:35]
	v_fma_f64 v[4:5], -v[32:33], v[28:29], v[4:5]
	s_nop 1
	v_div_fmas_f64 v[4:5], v[4:5], v[34:35], v[28:29]
	v_div_fixup_f64 v[28:29], v[4:5], v[30:31], 1.0
	v_mul_f64 v[4:5], v[0:1], v[6:7]
	v_mul_f64 v[0:1], v[0:1], -v[26:27]
	v_fmac_f64_e32 v[4:5], v[26:27], v[8:9]
	v_fmac_f64_e32 v[0:1], v[6:7], v[8:9]
	v_mul_f64 v[4:5], v[28:29], v[4:5]
	v_mul_f64 v[6:7], v[28:29], v[0:1]
	ds_write_b128 v3, v[4:7]
	s_waitcnt lgkmcnt(0)
	s_and_b64 exec, exec, s[0:1]
	s_cbranch_execz .LBB68_94
; %bb.109:                              ;   in Loop: Header=BB68_95 Depth=1
	s_mov_b64 s[8:9], 0
	v_mov_b32_e32 v0, v17
	v_mov_b32_e32 v1, v16
	;; [unrolled: 1-line block ×3, first 2 shown]
.LBB68_110:                             ;   Parent Loop BB68_95 Depth=1
                                        ; =>  This Inner Loop Header: Depth=2
	ds_read_b128 v[26:29], v0
	ds_read_b128 v[30:33], v1
	v_add_u32_e32 v3, 2, v3
	v_cmp_le_i32_e32 vcc, s46, v3
	s_or_b64 s[8:9], vcc, s[8:9]
	v_add_u32_e32 v0, 0x420, v0
	s_waitcnt lgkmcnt(0)
	v_fmac_f64_e32 v[30:31], v[4:5], v[26:27]
	v_fmac_f64_e32 v[32:33], v[6:7], v[26:27]
	;; [unrolled: 1-line block ×3, first 2 shown]
	v_fma_f64 v[32:33], v[4:5], -v[28:29], v[32:33]
	ds_write_b128 v1, v[30:33]
	v_add_u32_e32 v1, 32, v1
	s_andn2_b64 exec, exec, s[8:9]
	s_cbranch_execnz .LBB68_110
	s_branch .LBB68_94
.LBB68_111:
	s_and_saveexec_b64 s[2:3], s[0:1]
	s_cbranch_execz .LBB68_120
; %bb.112:
	s_mul_i32 s33, s33, s46
	v_add_u32_e32 v0, s33, v12
	s_cmp_lg_u32 s47, 0
	v_mul_lo_u32 v2, v0, s46
	v_mul_u32_u24_e32 v0, 0x210, v12
	s_movk_i32 s6, 0x4200
	v_cmp_gt_i32_e64 s[0:1], s46, v12
	s_cselect_b64 s[4:5], -1, 0
	v_add3_u32 v3, v0, v24, s6
	s_mov_b64 s[6:7], 0
	v_mov_b32_e32 v4, v13
	s_branch .LBB68_116
.LBB68_113:                             ;   in Loop: Header=BB68_116 Depth=1
	v_add_u32_e32 v0, v2, v4
.LBB68_114:                             ;   in Loop: Header=BB68_116 Depth=1
	ds_read2_b64 v[6:9], v3 offset1:1
	v_ashrrev_i32_e32 v1, 31, v0
	v_lshl_add_u64 v[0:1], v[0:1], 4, s[22:23]
	s_waitcnt lgkmcnt(0)
	global_store_dwordx4 v[0:1], v[6:9], off
.LBB68_115:                             ;   in Loop: Header=BB68_116 Depth=1
	s_or_b64 exec, exec, s[8:9]
	v_add_u32_e32 v4, 2, v4
	v_cmp_le_i32_e32 vcc, s46, v4
	s_or_b64 s[6:7], vcc, s[6:7]
	v_add_u32_e32 v3, 32, v3
	s_andn2_b64 exec, exec, s[6:7]
	s_cbranch_execz .LBB68_120
.LBB68_116:                             ; =>This Inner Loop Header: Depth=1
	s_and_saveexec_b64 s[8:9], s[0:1]
	s_cbranch_execz .LBB68_115
; %bb.117:                              ;   in Loop: Header=BB68_116 Depth=1
	s_and_b64 vcc, exec, s[4:5]
	s_cbranch_vccz .LBB68_119
; %bb.118:                              ;   in Loop: Header=BB68_116 Depth=1
	v_add_u32_e32 v0, s33, v4
	v_mad_u64_u32 v[0:1], s[16:17], v0, s46, v[12:13]
	s_cbranch_execnz .LBB68_114
	s_branch .LBB68_113
.LBB68_119:                             ;   in Loop: Header=BB68_116 Depth=1
                                        ; implicit-def: $vgpr0
	s_branch .LBB68_113
.LBB68_120:
	s_or_b64 exec, exec, s[2:3]
	v_or_b32_e32 v0, v13, v12
	v_cmp_eq_u32_e32 vcc, 0, v0
	s_and_saveexec_b64 s[0:1], vcc
	s_cbranch_execz .LBB68_122
; %bb.121:
	s_add_u32 s2, s10, s12
	s_addc_u32 s3, s11, s13
	v_mov_b32_e32 v0, 0
	v_mov_b32_e32 v1, 1
	buffer_wbl2 sc1
	s_waitcnt vmcnt(0)
	global_store_dword v0, v1, s[2:3] sc1
.LBB68_122:
	s_or_b64 exec, exec, s[0:1]
.LBB68_123:
	s_endpgm
.LBB68_124:
	s_cbranch_execz .LBB68_123
; %bb.125:
	v_or_b32_e32 v0, v13, v12
	v_cmp_eq_u32_e32 vcc, 0, v0
	s_and_saveexec_b64 s[0:1], vcc
	s_cbranch_execz .LBB68_123
; %bb.126:
	v_mbcnt_lo_u32_b32 v0, exec_lo, 0
	v_mbcnt_hi_u32_b32 v0, exec_hi, v0
	v_cmp_eq_u32_e32 vcc, 0, v0
	s_and_saveexec_b64 s[0:1], vcc
	s_cbranch_execz .LBB68_128
; %bb.127:
	s_add_i32 s2, s20, s21
	v_mov_b32_e32 v0, 0
	v_mov_b32_e32 v1, s2
	global_atomic_smin v0, v1, s[14:15]
.LBB68_128:
	s_or_b64 exec, exec, s[0:1]
	s_add_u32 s0, s10, s12
	s_addc_u32 s1, s11, s13
	v_mov_b32_e32 v0, 0
	v_mov_b32_e32 v1, 1
	buffer_wbl2 sc1
	s_waitcnt vmcnt(0)
	global_store_dword v0, v1, s[0:1] sc1
	s_endpgm
	.section	.rodata,"a",@progbits
	.p2align	6, 0x0
	.amdhsa_kernel _ZN9rocsparseL19bsric0_17_32_kernelILi64ELi32ELi32E21rocsparse_complex_numIdEEEv20rocsparse_direction_iiPKiS5_PT2_S5_PiS5_S8_21rocsparse_index_base_
		.amdhsa_group_segment_fixed_size 51072
		.amdhsa_private_segment_fixed_size 0
		.amdhsa_kernarg_size 76
		.amdhsa_user_sgpr_count 2
		.amdhsa_user_sgpr_dispatch_ptr 0
		.amdhsa_user_sgpr_queue_ptr 0
		.amdhsa_user_sgpr_kernarg_segment_ptr 1
		.amdhsa_user_sgpr_dispatch_id 0
		.amdhsa_user_sgpr_kernarg_preload_length 0
		.amdhsa_user_sgpr_kernarg_preload_offset 0
		.amdhsa_user_sgpr_private_segment_size 0
		.amdhsa_uses_dynamic_stack 0
		.amdhsa_enable_private_segment 0
		.amdhsa_system_sgpr_workgroup_id_x 1
		.amdhsa_system_sgpr_workgroup_id_y 0
		.amdhsa_system_sgpr_workgroup_id_z 0
		.amdhsa_system_sgpr_workgroup_info 0
		.amdhsa_system_vgpr_workitem_id 1
		.amdhsa_next_free_vgpr 257
		.amdhsa_next_free_sgpr 96
		.amdhsa_accum_offset 44
		.amdhsa_reserve_vcc 1
		.amdhsa_float_round_mode_32 0
		.amdhsa_float_round_mode_16_64 0
		.amdhsa_float_denorm_mode_32 3
		.amdhsa_float_denorm_mode_16_64 3
		.amdhsa_dx10_clamp 1
		.amdhsa_ieee_mode 1
		.amdhsa_fp16_overflow 0
		.amdhsa_tg_split 0
		.amdhsa_exception_fp_ieee_invalid_op 0
		.amdhsa_exception_fp_denorm_src 0
		.amdhsa_exception_fp_ieee_div_zero 0
		.amdhsa_exception_fp_ieee_overflow 0
		.amdhsa_exception_fp_ieee_underflow 0
		.amdhsa_exception_fp_ieee_inexact 0
		.amdhsa_exception_int_div_zero 0
	.end_amdhsa_kernel
	.section	.text._ZN9rocsparseL19bsric0_17_32_kernelILi64ELi32ELi32E21rocsparse_complex_numIdEEEv20rocsparse_direction_iiPKiS5_PT2_S5_PiS5_S8_21rocsparse_index_base_,"axG",@progbits,_ZN9rocsparseL19bsric0_17_32_kernelILi64ELi32ELi32E21rocsparse_complex_numIdEEEv20rocsparse_direction_iiPKiS5_PT2_S5_PiS5_S8_21rocsparse_index_base_,comdat
.Lfunc_end68:
	.size	_ZN9rocsparseL19bsric0_17_32_kernelILi64ELi32ELi32E21rocsparse_complex_numIdEEEv20rocsparse_direction_iiPKiS5_PT2_S5_PiS5_S8_21rocsparse_index_base_, .Lfunc_end68-_ZN9rocsparseL19bsric0_17_32_kernelILi64ELi32ELi32E21rocsparse_complex_numIdEEEv20rocsparse_direction_iiPKiS5_PT2_S5_PiS5_S8_21rocsparse_index_base_
                                        ; -- End function
	.set _ZN9rocsparseL19bsric0_17_32_kernelILi64ELi32ELi32E21rocsparse_complex_numIdEEEv20rocsparse_direction_iiPKiS5_PT2_S5_PiS5_S8_21rocsparse_index_base_.num_vgpr, 44
	.set _ZN9rocsparseL19bsric0_17_32_kernelILi64ELi32ELi32E21rocsparse_complex_numIdEEEv20rocsparse_direction_iiPKiS5_PT2_S5_PiS5_S8_21rocsparse_index_base_.num_agpr, 0
	.set _ZN9rocsparseL19bsric0_17_32_kernelILi64ELi32ELi32E21rocsparse_complex_numIdEEEv20rocsparse_direction_iiPKiS5_PT2_S5_PiS5_S8_21rocsparse_index_base_.numbered_sgpr, 56
	.set _ZN9rocsparseL19bsric0_17_32_kernelILi64ELi32ELi32E21rocsparse_complex_numIdEEEv20rocsparse_direction_iiPKiS5_PT2_S5_PiS5_S8_21rocsparse_index_base_.num_named_barrier, 0
	.set _ZN9rocsparseL19bsric0_17_32_kernelILi64ELi32ELi32E21rocsparse_complex_numIdEEEv20rocsparse_direction_iiPKiS5_PT2_S5_PiS5_S8_21rocsparse_index_base_.private_seg_size, 0
	.set _ZN9rocsparseL19bsric0_17_32_kernelILi64ELi32ELi32E21rocsparse_complex_numIdEEEv20rocsparse_direction_iiPKiS5_PT2_S5_PiS5_S8_21rocsparse_index_base_.uses_vcc, 1
	.set _ZN9rocsparseL19bsric0_17_32_kernelILi64ELi32ELi32E21rocsparse_complex_numIdEEEv20rocsparse_direction_iiPKiS5_PT2_S5_PiS5_S8_21rocsparse_index_base_.uses_flat_scratch, 0
	.set _ZN9rocsparseL19bsric0_17_32_kernelILi64ELi32ELi32E21rocsparse_complex_numIdEEEv20rocsparse_direction_iiPKiS5_PT2_S5_PiS5_S8_21rocsparse_index_base_.has_dyn_sized_stack, 0
	.set _ZN9rocsparseL19bsric0_17_32_kernelILi64ELi32ELi32E21rocsparse_complex_numIdEEEv20rocsparse_direction_iiPKiS5_PT2_S5_PiS5_S8_21rocsparse_index_base_.has_recursion, 0
	.set _ZN9rocsparseL19bsric0_17_32_kernelILi64ELi32ELi32E21rocsparse_complex_numIdEEEv20rocsparse_direction_iiPKiS5_PT2_S5_PiS5_S8_21rocsparse_index_base_.has_indirect_call, 0
	.section	.AMDGPU.csdata,"",@progbits
; Kernel info:
; codeLenInByte = 4360
; TotalNumSgprs: 62
; NumVgprs: 44
; NumAgprs: 0
; TotalNumVgprs: 44
; ScratchSize: 0
; MemoryBound: 1
; FloatMode: 240
; IeeeMode: 1
; LDSByteSize: 51072 bytes/workgroup (compile time only)
; SGPRBlocks: 12
; VGPRBlocks: 32
; NumSGPRsForWavesPerEU: 102
; NumVGPRsForWavesPerEU: 257
; AccumOffset: 44
; Occupancy: 1
; WaveLimiterHint : 1
; COMPUTE_PGM_RSRC2:SCRATCH_EN: 0
; COMPUTE_PGM_RSRC2:USER_SGPR: 2
; COMPUTE_PGM_RSRC2:TRAP_HANDLER: 0
; COMPUTE_PGM_RSRC2:TGID_X_EN: 1
; COMPUTE_PGM_RSRC2:TGID_Y_EN: 0
; COMPUTE_PGM_RSRC2:TGID_Z_EN: 0
; COMPUTE_PGM_RSRC2:TIDIG_COMP_CNT: 1
; COMPUTE_PGM_RSRC3_GFX90A:ACCUM_OFFSET: 10
; COMPUTE_PGM_RSRC3_GFX90A:TG_SPLIT: 0
	.section	.text._ZN9rocsparseL23bsric0_binsearch_kernelILj64ELj64ELb0E21rocsparse_complex_numIdEEEv20rocsparse_direction_iiPKiS5_PT2_S5_PiS5_S8_21rocsparse_index_base_,"axG",@progbits,_ZN9rocsparseL23bsric0_binsearch_kernelILj64ELj64ELb0E21rocsparse_complex_numIdEEEv20rocsparse_direction_iiPKiS5_PT2_S5_PiS5_S8_21rocsparse_index_base_,comdat
	.globl	_ZN9rocsparseL23bsric0_binsearch_kernelILj64ELj64ELb0E21rocsparse_complex_numIdEEEv20rocsparse_direction_iiPKiS5_PT2_S5_PiS5_S8_21rocsparse_index_base_ ; -- Begin function _ZN9rocsparseL23bsric0_binsearch_kernelILj64ELj64ELb0E21rocsparse_complex_numIdEEEv20rocsparse_direction_iiPKiS5_PT2_S5_PiS5_S8_21rocsparse_index_base_
	.p2align	8
	.type	_ZN9rocsparseL23bsric0_binsearch_kernelILj64ELj64ELb0E21rocsparse_complex_numIdEEEv20rocsparse_direction_iiPKiS5_PT2_S5_PiS5_S8_21rocsparse_index_base_,@function
_ZN9rocsparseL23bsric0_binsearch_kernelILj64ELj64ELb0E21rocsparse_complex_numIdEEEv20rocsparse_direction_iiPKiS5_PT2_S5_PiS5_S8_21rocsparse_index_base_: ; @_ZN9rocsparseL23bsric0_binsearch_kernelILj64ELj64ELb0E21rocsparse_complex_numIdEEEv20rocsparse_direction_iiPKiS5_PT2_S5_PiS5_S8_21rocsparse_index_base_
; %bb.0:
	s_load_dwordx8 s[16:23], s[0:1], 0x28
	s_ashr_i32 s3, s2, 31
	s_lshl_b64 s[2:3], s[2:3], 2
	v_mov_b32_e32 v1, 0
	s_load_dword s33, s[0:1], 0x48
	s_waitcnt lgkmcnt(0)
	s_add_u32 s2, s20, s2
	s_addc_u32 s3, s21, s3
	global_load_dword v10, v1, s[2:3]
	s_waitcnt vmcnt(0)
	v_ashrrev_i32_e32 v11, 31, v10
	v_lshlrev_b64 v[2:3], 2, v[10:11]
	v_lshl_add_u64 v[2:3], s[16:17], 0, v[2:3]
	global_load_dword v1, v[2:3], off
	s_waitcnt vmcnt(0)
	v_readfirstlane_b32 s2, v1
	s_cmp_lg_u32 s2, -1
	s_cselect_b64 s[2:3], -1, 0
	s_and_saveexec_b64 s[4:5], s[2:3]
	s_xor_b64 s[14:15], exec, s[4:5]
	s_cbranch_execz .LBB69_76
; %bb.1:
	s_load_dword s52, s[0:1], 0x8
	s_waitcnt lgkmcnt(0)
	v_cmp_gt_i32_e32 vcc, s52, v0
	s_and_saveexec_b64 s[20:21], vcc
	s_cbranch_execz .LBB69_73
; %bb.2:
	s_load_dwordx4 s[24:27], s[0:1], 0x10
	s_load_dword s4, s[0:1], 0x0
	s_load_dwordx2 s[28:29], s[0:1], 0x20
	s_mul_i32 s53, s52, s52
	s_mov_b32 s34, 0
	s_waitcnt lgkmcnt(0)
	v_lshl_add_u64 v[2:3], v[10:11], 2, s[24:25]
	global_load_dwordx2 v[2:3], v[2:3], off
	s_cmp_eq_u32 s4, 0
	s_cselect_b64 s[2:3], -1, 0
	s_cmp_lg_u32 s4, 0
	v_cmp_ne_u32_e64 s[0:1], 0, v0
	s_mov_b64 s[30:31], 0
	v_mov_b32_e32 v4, 0
	s_brev_b32 s35, 8
	v_mov_b32_e32 v36, 0x260
	v_mov_b32_e32 v37, 0x3ff00000
	;; [unrolled: 1-line block ×4, first 2 shown]
	v_mul_lo_u32 v40, v1, s53
	s_cselect_b64 s[36:37], -1, 0
	s_waitcnt vmcnt(0)
	v_subrev_u32_e32 v41, s33, v2
	v_xad_u32 v42, s33, -1, v3
	v_add_u32_e32 v2, v42, v41
	v_ashrrev_i32_e32 v12, 1, v2
	v_mul_lo_u32 v43, s53, v41
	v_ashrrev_i32_e32 v13, 31, v12
	v_cmp_lt_i32_e64 s[4:5], v41, v1
	v_cmp_ge_i32_e64 s[6:7], v41, v1
	v_cmp_lt_i32_e64 s[8:9], v41, v42
	v_add_u32_e32 v44, v43, v0
	v_lshl_add_u64 v[14:15], v[12:13], 2, s[26:27]
	v_mov_b32_e32 v13, v0
	s_branch .LBB69_4
.LBB69_3:                               ;   in Loop: Header=BB69_4 Depth=1
	v_add_u32_e32 v13, 64, v13
	v_cmp_le_i32_e32 vcc, s52, v13
	s_or_b64 s[30:31], vcc, s[30:31]
	v_add_u32_e32 v44, 64, v44
	s_andn2_b64 exec, exec, s[30:31]
	s_cbranch_execz .LBB69_73
.LBB69_4:                               ; =>This Loop Header: Depth=1
                                        ;     Child Loop BB69_10 Depth 2
                                        ;       Child Loop BB69_13 Depth 3
                                        ;       Child Loop BB69_17 Depth 3
                                        ;         Child Loop BB69_19 Depth 4
                                        ;         Child Loop BB69_26 Depth 4
                                        ;           Child Loop BB69_28 Depth 5
                                        ;           Child Loop BB69_34 Depth 5
                                        ;     Child Loop BB69_41 Depth 2
                                        ;       Child Loop BB69_51 Depth 3
                                        ;       Child Loop BB69_59 Depth 3
                                        ;         Child Loop BB69_61 Depth 4
                                        ;       Child Loop BB69_69 Depth 3
	v_mul_lo_u32 v45, v13, s52
	s_and_saveexec_b64 s[10:11], s[6:7]
	s_xor_b64 s[10:11], exec, s[10:11]
; %bb.5:                                ;   in Loop: Header=BB69_4 Depth=1
	v_mul_lo_u32 v45, v13, s52
; %bb.6:                                ;   in Loop: Header=BB69_4 Depth=1
	s_or_saveexec_b64 s[38:39], s[10:11]
	v_mov_b64_e32 v[16:17], 0
	v_mov_b64_e32 v[18:19], 0
	s_xor_b64 exec, exec, s[38:39]
	s_cbranch_execz .LBB69_38
; %bb.7:                                ;   in Loop: Header=BB69_4 Depth=1
	v_mov_b64_e32 v[16:17], 0
	s_mov_b64 s[40:41], 0
	v_mov_b32_e32 v2, v41
	v_mov_b64_e32 v[18:19], 0
                                        ; implicit-def: $sgpr42_sgpr43
	s_branch .LBB69_10
.LBB69_8:                               ;   in Loop: Header=BB69_10 Depth=2
	v_add_u32_e32 v2, 1, v2
	v_cmp_ge_i32_e32 vcc, v2, v1
	s_andn2_b64 s[10:11], s[42:43], exec
	s_and_b64 s[12:13], vcc, exec
	s_or_b64 s[42:43], s[10:11], s[12:13]
.LBB69_9:                               ;   in Loop: Header=BB69_10 Depth=2
	s_or_b64 exec, exec, s[44:45]
	s_and_b64 s[10:11], exec, s[42:43]
	s_or_b64 s[40:41], s[10:11], s[40:41]
	s_andn2_b64 exec, exec, s[40:41]
	s_cbranch_execz .LBB69_37
.LBB69_10:                              ;   Parent Loop BB69_4 Depth=1
                                        ; =>  This Loop Header: Depth=2
                                        ;       Child Loop BB69_13 Depth 3
                                        ;       Child Loop BB69_17 Depth 3
                                        ;         Child Loop BB69_19 Depth 4
                                        ;         Child Loop BB69_26 Depth 4
                                        ;           Child Loop BB69_28 Depth 5
                                        ;           Child Loop BB69_34 Depth 5
	v_ashrrev_i32_e32 v3, 31, v2
	v_lshl_add_u64 v[6:7], v[2:3], 2, s[26:27]
	global_load_dword v3, v[6:7], off
	s_or_b64 s[42:43], s[42:43], exec
	s_waitcnt vmcnt(0)
	v_subrev_u32_e32 v6, s33, v3
	v_ashrrev_i32_e32 v7, 31, v6
	v_lshl_add_u64 v[8:9], v[6:7], 2, s[16:17]
	global_load_dword v5, v[8:9], off
	s_waitcnt vmcnt(0)
	v_cmp_ne_u32_e32 vcc, -1, v5
	s_and_saveexec_b64 s[44:45], vcc
	s_cbranch_execz .LBB69_9
; %bb.11:                               ;   in Loop: Header=BB69_10 Depth=2
	v_lshlrev_b64 v[8:9], 2, v[6:7]
	v_lshl_add_u64 v[20:21], s[24:25], 0, v[8:9]
	v_lshl_add_u64 v[8:9], s[18:19], 0, v[8:9]
	global_load_dword v7, v[20:21], off
	s_nop 0
	global_load_dword v20, v[8:9], off sc1
	s_waitcnt vmcnt(0)
	v_cmp_eq_u32_e32 vcc, 0, v20
	s_and_saveexec_b64 s[10:11], vcc
	s_cbranch_execz .LBB69_14
; %bb.12:                               ;   in Loop: Header=BB69_10 Depth=2
	s_mov_b64 s[12:13], 0
.LBB69_13:                              ;   Parent Loop BB69_4 Depth=1
                                        ;     Parent Loop BB69_10 Depth=2
                                        ; =>    This Inner Loop Header: Depth=3
	global_load_dword v20, v[8:9], off sc1
	s_waitcnt vmcnt(0)
	v_cmp_ne_u32_e32 vcc, 0, v20
	s_or_b64 s[12:13], vcc, s[12:13]
	s_andn2_b64 exec, exec, s[12:13]
	s_cbranch_execnz .LBB69_13
.LBB69_14:                              ;   in Loop: Header=BB69_10 Depth=2
	s_or_b64 exec, exec, s[10:11]
	v_subrev_u32_e32 v46, s33, v7
	v_mul_lo_u32 v47, v6, s52
	v_mul_lo_u32 v6, v2, s53
	v_add_u32_e32 v48, v6, v13
	v_add_u32_e32 v49, v6, v45
	v_cmp_le_i32_e64 s[10:11], v46, v5
	v_mul_lo_u32 v50, s53, v46
	s_mov_b32 s54, 0
	buffer_inv sc1
	s_branch .LBB69_17
.LBB69_15:                              ;   in Loop: Header=BB69_17 Depth=3
	s_or_b64 exec, exec, s[46:47]
.LBB69_16:                              ;   in Loop: Header=BB69_17 Depth=3
	s_or_b64 exec, exec, s[12:13]
	v_mul_f64 v[30:31], v[22:23], v[22:23]
	v_fmac_f64_e32 v[30:31], v[20:21], v[20:21]
	v_div_scale_f64 v[32:33], s[12:13], v[30:31], v[30:31], 1.0
	v_rcp_f64_e32 v[34:35], v[32:33]
	s_waitcnt vmcnt(0)
	v_add_f64 v[28:29], v[6:7], -v[28:29]
	v_add_f64 v[8:9], v[8:9], -v[26:27]
	s_add_i32 s54, s54, 1
	v_fma_f64 v[6:7], -v[32:33], v[34:35], 1.0
	v_fmac_f64_e32 v[34:35], v[34:35], v[6:7]
	v_fma_f64 v[6:7], -v[32:33], v[34:35], 1.0
	v_fmac_f64_e32 v[34:35], v[34:35], v[6:7]
	v_div_scale_f64 v[6:7], vcc, 1.0, v[30:31], 1.0
	v_mul_f64 v[26:27], v[6:7], v[34:35]
	v_fma_f64 v[6:7], -v[32:33], v[26:27], v[6:7]
	s_cmp_eq_u32 s54, s52
	s_nop 0
	v_div_fmas_f64 v[6:7], v[6:7], v[34:35], v[26:27]
	v_div_fixup_f64 v[26:27], v[6:7], v[30:31], 1.0
	v_mul_f64 v[6:7], v[22:23], v[8:9]
	v_mul_f64 v[22:23], v[22:23], -v[28:29]
	v_fmac_f64_e32 v[6:7], v[28:29], v[20:21]
	v_fmac_f64_e32 v[22:23], v[8:9], v[20:21]
	v_mul_f64 v[6:7], v[26:27], v[6:7]
	v_mul_f64 v[8:9], v[26:27], v[22:23]
	v_fmac_f64_e32 v[18:19], v[6:7], v[6:7]
	v_fmac_f64_e32 v[16:17], v[8:9], v[6:7]
	;; [unrolled: 1-line block ×3, first 2 shown]
	v_fma_f64 v[16:17], v[6:7], -v[8:9], v[16:17]
	v_add_u32_e32 v50, 1, v50
	global_store_dwordx4 v[24:25], v[6:9], off
	s_cbranch_scc1 .LBB69_8
.LBB69_17:                              ;   Parent Loop BB69_4 Depth=1
                                        ;     Parent Loop BB69_10 Depth=2
                                        ; =>    This Loop Header: Depth=3
                                        ;         Child Loop BB69_19 Depth 4
                                        ;         Child Loop BB69_26 Depth 4
                                        ;           Child Loop BB69_28 Depth 5
                                        ;           Child Loop BB69_34 Depth 5
	s_mul_i32 s55, s54, s52
	s_add_i32 s12, s55, s54
	v_mul_lo_u32 v6, v5, s53
	v_add_u32_e32 v6, s12, v6
	v_ashrrev_i32_e32 v7, 31, v6
	v_lshl_add_u64 v[6:7], v[6:7], 4, s[28:29]
	global_load_dwordx4 v[6:9], v[6:7], off
	s_waitcnt vmcnt(0)
	v_cmp_neq_f64_e32 vcc, 0, v[6:7]
	v_cmp_neq_f64_e64 s[12:13], 0, v[8:9]
	s_or_b64 vcc, vcc, s[12:13]
	v_cndmask_b32_e32 v21, v37, v7, vcc
	s_nor_b64 s[46:47], vcc, s[0:1]
	v_cndmask_b32_e32 v20, 0, v6, vcc
	v_cndmask_b32_e32 v23, 0, v9, vcc
	;; [unrolled: 1-line block ×3, first 2 shown]
	s_and_saveexec_b64 s[12:13], s[46:47]
	s_cbranch_execz .LBB69_23
; %bb.18:                               ;   in Loop: Header=BB69_17 Depth=3
	s_mov_b64 s[46:47], exec
	s_brev_b32 s48, -2
.LBB69_19:                              ;   Parent Loop BB69_4 Depth=1
                                        ;     Parent Loop BB69_10 Depth=2
                                        ;       Parent Loop BB69_17 Depth=3
                                        ; =>      This Inner Loop Header: Depth=4
	s_ff1_i32_b64 s49, s[46:47]
	v_readlane_b32 s56, v3, s49
	s_lshl_b64 s[50:51], 1, s49
	s_min_i32 s48, s48, s56
	s_andn2_b64 s[46:47], s[46:47], s[50:51]
	s_cmp_lg_u64 s[46:47], 0
	s_cbranch_scc1 .LBB69_19
; %bb.20:                               ;   in Loop: Header=BB69_17 Depth=3
	v_mbcnt_lo_u32_b32 v6, exec_lo, 0
	v_mbcnt_hi_u32_b32 v6, exec_hi, v6
	v_cmp_eq_u32_e32 vcc, 0, v6
	s_and_saveexec_b64 s[46:47], vcc
	s_xor_b64 s[46:47], exec, s[46:47]
	s_cbranch_execz .LBB69_22
; %bb.21:                               ;   in Loop: Header=BB69_17 Depth=3
	v_mov_b32_e32 v6, s48
	global_atomic_smin v4, v6, s[22:23]
.LBB69_22:                              ;   in Loop: Header=BB69_17 Depth=3
	s_or_b64 exec, exec, s[46:47]
	v_mov_b64_e32 v[20:21], 1.0
	v_mov_b64_e32 v[22:23], 0
.LBB69_23:                              ;   in Loop: Header=BB69_17 Depth=3
	s_or_b64 exec, exec, s[12:13]
	v_add_u32_e32 v6, s54, v49
	v_add_u32_e32 v7, s55, v48
	v_cndmask_b32_e64 v6, v7, v6, s[2:3]
	v_ashrrev_i32_e32 v7, 31, v6
	v_lshl_add_u64 v[24:25], v[6:7], 4, s[28:29]
	global_load_dwordx4 v[6:9], v[24:25], off
	v_mov_b64_e32 v[26:27], 0
	v_mov_b64_e32 v[28:29], 0
	s_and_saveexec_b64 s[12:13], s[10:11]
	s_cbranch_execz .LBB69_16
; %bb.24:                               ;   in Loop: Header=BB69_17 Depth=3
	global_load_dword v51, v[14:15], off
	v_add_u32_e32 v52, s54, v47
	v_mov_b64_e32 v[26:27], 0
	s_mov_b64 s[46:47], 0
	v_mov_b32_e32 v53, v50
	v_mov_b32_e32 v30, v46
	v_mov_b64_e32 v[28:29], 0
	s_branch .LBB69_26
.LBB69_25:                              ;   in Loop: Header=BB69_26 Depth=4
	s_or_b64 exec, exec, s[48:49]
	v_add_u32_e32 v31, 1, v30
	v_cmp_ge_i32_e32 vcc, v30, v5
	v_add_u32_e32 v53, s53, v53
	s_or_b64 s[46:47], vcc, s[46:47]
	v_mov_b32_e32 v30, v31
	s_andn2_b64 exec, exec, s[46:47]
	s_cbranch_execz .LBB69_15
.LBB69_26:                              ;   Parent Loop BB69_4 Depth=1
                                        ;     Parent Loop BB69_10 Depth=2
                                        ;       Parent Loop BB69_17 Depth=3
                                        ; =>      This Loop Header: Depth=4
                                        ;           Child Loop BB69_28 Depth 5
                                        ;           Child Loop BB69_34 Depth 5
	v_ashrrev_i32_e32 v31, 31, v30
	v_lshl_add_u64 v[32:33], v[30:31], 2, s[26:27]
	global_load_dword v31, v[32:33], off
	s_waitcnt vmcnt(1)
	v_mov_b32_e32 v33, v51
	v_mov_b32_e32 v32, v12
	s_and_saveexec_b64 s[48:49], s[8:9]
	s_cbranch_execz .LBB69_30
; %bb.27:                               ;   in Loop: Header=BB69_26 Depth=4
	s_mov_b64 s[50:51], 0
	v_mov_b32_e32 v33, v51
	v_mov_b32_e32 v32, v12
	;; [unrolled: 1-line block ×4, first 2 shown]
.LBB69_28:                              ;   Parent Loop BB69_4 Depth=1
                                        ;     Parent Loop BB69_10 Depth=2
                                        ;       Parent Loop BB69_17 Depth=3
                                        ;         Parent Loop BB69_26 Depth=4
                                        ; =>        This Inner Loop Header: Depth=5
	v_add_u32_e32 v54, 1, v32
	s_waitcnt vmcnt(0)
	v_cmp_lt_i32_e32 vcc, v33, v31
	s_nop 1
	v_cndmask_b32_e32 v35, v32, v35, vcc
	v_cndmask_b32_e32 v34, v34, v54, vcc
	v_add_u32_e32 v32, v35, v34
	v_ashrrev_i32_e32 v32, 1, v32
	v_ashrrev_i32_e32 v33, 31, v32
	v_lshl_add_u64 v[54:55], v[32:33], 2, s[26:27]
	global_load_dword v33, v[54:55], off
	v_cmp_ge_i32_e32 vcc, v34, v35
	s_or_b64 s[50:51], vcc, s[50:51]
	s_andn2_b64 exec, exec, s[50:51]
	s_cbranch_execnz .LBB69_28
; %bb.29:                               ;   in Loop: Header=BB69_26 Depth=4
	s_or_b64 exec, exec, s[50:51]
.LBB69_30:                              ;   in Loop: Header=BB69_26 Depth=4
	s_or_b64 exec, exec, s[48:49]
	s_waitcnt vmcnt(0)
	v_cmp_eq_u32_e32 vcc, v33, v31
	s_and_saveexec_b64 s[48:49], vcc
	s_cbranch_execz .LBB69_25
; %bb.31:                               ;   in Loop: Header=BB69_26 Depth=4
	v_subrev_u32_e32 v31, s33, v31
	v_mul_lo_u32 v33, v30, s53
	v_mul_lo_u32 v32, v32, s53
	v_mul_lo_u32 v31, v31, s52
	v_add_u32_e32 v54, s55, v33
	v_add_u32_e32 v55, v32, v45
	;; [unrolled: 1-line block ×3, first 2 shown]
	s_mov_b32 s56, 0
	v_mov_b32_e32 v57, v53
	s_branch .LBB69_34
.LBB69_32:                              ;   in Loop: Header=BB69_34 Depth=5
	v_ashrrev_i32_e32 v35, 31, v34
	v_ashrrev_i32_e32 v33, 31, v32
	v_lshl_add_u64 v[34:35], v[34:35], 4, s[28:29]
	v_lshl_add_u64 v[58:59], v[32:33], 4, s[28:29]
	global_load_dwordx4 v[32:35], v[34:35], off
	s_nop 0
	global_load_dwordx4 v[58:61], v[58:59], off
	s_waitcnt vmcnt(0)
	v_fmac_f64_e32 v[28:29], v[32:33], v[58:59]
	v_fmac_f64_e32 v[26:27], v[34:35], v[58:59]
	;; [unrolled: 1-line block ×3, first 2 shown]
	v_fma_f64 v[26:27], v[32:33], -v[60:61], v[26:27]
.LBB69_33:                              ;   in Loop: Header=BB69_34 Depth=5
	s_or_b64 exec, exec, s[50:51]
	s_add_i32 s56, s56, 1
	v_add_u32_e32 v56, s52, v56
	s_cmp_lg_u32 s52, s56
	v_add_u32_e32 v57, s52, v57
	s_cbranch_scc0 .LBB69_25
.LBB69_34:                              ;   Parent Loop BB69_4 Depth=1
                                        ;     Parent Loop BB69_10 Depth=2
                                        ;       Parent Loop BB69_17 Depth=3
                                        ;         Parent Loop BB69_26 Depth=4
                                        ; =>        This Inner Loop Header: Depth=5
	v_add_u32_e32 v32, s56, v31
	v_cmp_lt_i32_e32 vcc, v32, v52
	s_and_saveexec_b64 s[50:51], vcc
	s_cbranch_execz .LBB69_33
; %bb.35:                               ;   in Loop: Header=BB69_34 Depth=5
	s_andn2_b64 vcc, exec, s[2:3]
	v_mov_b32_e32 v32, v56
	v_mov_b32_e32 v34, v57
	s_cbranch_vccnz .LBB69_32
; %bb.36:                               ;   in Loop: Header=BB69_34 Depth=5
	v_add_u32_e32 v34, s56, v54
	v_add_u32_e32 v32, s56, v55
	s_branch .LBB69_32
.LBB69_37:                              ;   in Loop: Header=BB69_4 Depth=1
	s_or_b64 exec, exec, s[40:41]
.LBB69_38:                              ;   in Loop: Header=BB69_4 Depth=1
	s_or_b64 exec, exec, s[38:39]
	v_add_u32_e32 v32, v45, v40
	s_mov_b32 s42, 0
	v_mov_b32_e32 v33, v43
	s_branch .LBB69_41
.LBB69_39:                              ;   in Loop: Header=BB69_41 Depth=2
	v_mul_f64 v[28:29], v[2:3], v[2:3]
	v_fmac_f64_e32 v[28:29], v[20:21], v[20:21]
	v_div_scale_f64 v[30:31], s[12:13], v[28:29], v[28:29], 1.0
	v_rcp_f64_e32 v[34:35], v[30:31]
	s_waitcnt vmcnt(0)
	v_add_f64 v[24:25], v[6:7], -v[24:25]
	v_add_f64 v[8:9], v[8:9], -v[26:27]
	v_fma_f64 v[6:7], -v[30:31], v[34:35], 1.0
	v_fmac_f64_e32 v[34:35], v[34:35], v[6:7]
	v_fma_f64 v[6:7], -v[30:31], v[34:35], 1.0
	v_fmac_f64_e32 v[34:35], v[34:35], v[6:7]
	v_div_scale_f64 v[6:7], vcc, 1.0, v[28:29], 1.0
	v_mul_f64 v[26:27], v[6:7], v[34:35]
	v_fma_f64 v[6:7], -v[30:31], v[26:27], v[6:7]
	s_nop 1
	v_div_fmas_f64 v[6:7], v[6:7], v[34:35], v[26:27]
	v_div_fixup_f64 v[26:27], v[6:7], v[28:29], 1.0
	v_mul_f64 v[6:7], v[2:3], v[8:9]
	v_mul_f64 v[2:3], v[2:3], -v[24:25]
	v_fmac_f64_e32 v[6:7], v[24:25], v[20:21]
	v_fmac_f64_e32 v[2:3], v[8:9], v[20:21]
	v_mul_f64 v[6:7], v[26:27], v[6:7]
	v_mul_f64 v[8:9], v[26:27], v[2:3]
	v_fmac_f64_e32 v[18:19], v[6:7], v[6:7]
	v_fmac_f64_e32 v[16:17], v[8:9], v[6:7]
	;; [unrolled: 1-line block ×3, first 2 shown]
	v_fma_f64 v[16:17], v[6:7], -v[8:9], v[16:17]
	global_store_dwordx4 v[22:23], v[6:9], off
.LBB69_40:                              ;   in Loop: Header=BB69_41 Depth=2
	s_or_b64 exec, exec, s[10:11]
	s_add_i32 s42, s42, 1
	s_cmp_eq_u32 s42, s52
	v_add_u32_e32 v33, 1, v33
	buffer_wbl2 sc1
	s_waitcnt vmcnt(0)
	buffer_inv sc1
	s_cbranch_scc1 .LBB69_3
.LBB69_41:                              ;   Parent Loop BB69_4 Depth=1
                                        ; =>  This Loop Header: Depth=2
                                        ;       Child Loop BB69_51 Depth 3
                                        ;       Child Loop BB69_59 Depth 3
                                        ;         Child Loop BB69_61 Depth 4
                                        ;       Child Loop BB69_69 Depth 3
	s_mul_i32 s43, s42, s52
	v_add_u32_e32 v34, s43, v40
	v_add_u32_e32 v2, s42, v34
	v_ashrrev_i32_e32 v3, 31, v2
	v_cmp_eq_u32_e32 vcc, s42, v13
	v_lshl_add_u64 v[6:7], v[2:3], 4, s[28:29]
	s_and_saveexec_b64 s[10:11], vcc
	s_cbranch_execz .LBB69_49
; %bb.42:                               ;   in Loop: Header=BB69_41 Depth=2
	global_load_dwordx4 v[20:23], v[6:7], off
	s_waitcnt vmcnt(0)
	v_add_f64 v[2:3], v[20:21], -v[18:19]
	v_add_f64 v[22:23], v[22:23], -v[16:17]
	v_xor_b32_e32 v5, 0x80000000, v3
	v_cmp_gt_f64_e32 vcc, 0, v[2:3]
	v_xor_b32_e32 v8, 0x80000000, v23
                                        ; implicit-def: $vgpr20_vgpr21
	s_nop 0
	v_cndmask_b32_e32 v3, v3, v5, vcc
	v_cmp_gt_f64_e32 vcc, 0, v[22:23]
	s_nop 1
	v_cndmask_b32_e32 v9, v23, v8, vcc
	v_mov_b32_e32 v8, v22
	v_cmp_ngt_f64_e32 vcc, v[2:3], v[8:9]
	s_and_saveexec_b64 s[12:13], vcc
	s_xor_b64 s[12:13], exec, s[12:13]
	s_cbranch_execz .LBB69_46
; %bb.43:                               ;   in Loop: Header=BB69_41 Depth=2
	v_mov_b64_e32 v[20:21], 0
	v_cmp_neq_f64_e32 vcc, 0, v[22:23]
	s_and_saveexec_b64 s[38:39], vcc
	s_cbranch_execz .LBB69_45
; %bb.44:                               ;   in Loop: Header=BB69_41 Depth=2
	v_div_scale_f64 v[20:21], s[40:41], v[8:9], v[8:9], v[2:3]
	v_rcp_f64_e32 v[22:23], v[20:21]
	v_div_scale_f64 v[24:25], vcc, v[2:3], v[8:9], v[2:3]
	v_fma_f64 v[26:27], -v[20:21], v[22:23], 1.0
	v_fmac_f64_e32 v[22:23], v[22:23], v[26:27]
	v_fma_f64 v[26:27], -v[20:21], v[22:23], 1.0
	v_fmac_f64_e32 v[22:23], v[22:23], v[26:27]
	v_mul_f64 v[26:27], v[24:25], v[22:23]
	v_fma_f64 v[20:21], -v[20:21], v[26:27], v[24:25]
	v_div_fmas_f64 v[20:21], v[20:21], v[22:23], v[26:27]
	v_div_fixup_f64 v[2:3], v[20:21], v[8:9], v[2:3]
	v_fma_f64 v[2:3], v[2:3], v[2:3], 1.0
	v_cmp_gt_f64_e32 vcc, s[34:35], v[2:3]
	s_nop 1
	v_cndmask_b32_e32 v5, 0, v38, vcc
	v_ldexp_f64 v[2:3], v[2:3], v5
	v_rsq_f64_e32 v[20:21], v[2:3]
	v_cndmask_b32_e32 v5, 0, v39, vcc
	v_cmp_class_f64_e32 vcc, v[2:3], v36
	v_mul_f64 v[22:23], v[2:3], v[20:21]
	v_mul_f64 v[20:21], v[20:21], 0.5
	v_fma_f64 v[24:25], -v[20:21], v[22:23], 0.5
	v_fmac_f64_e32 v[22:23], v[22:23], v[24:25]
	v_fma_f64 v[26:27], -v[22:23], v[22:23], v[2:3]
	v_fmac_f64_e32 v[20:21], v[20:21], v[24:25]
	v_fmac_f64_e32 v[22:23], v[26:27], v[20:21]
	v_fma_f64 v[24:25], -v[22:23], v[22:23], v[2:3]
	v_fmac_f64_e32 v[22:23], v[24:25], v[20:21]
	v_ldexp_f64 v[20:21], v[22:23], v5
	v_cndmask_b32_e32 v3, v21, v3, vcc
	v_cndmask_b32_e32 v2, v20, v2, vcc
	v_mul_f64 v[20:21], v[8:9], v[2:3]
.LBB69_45:                              ;   in Loop: Header=BB69_41 Depth=2
	s_or_b64 exec, exec, s[38:39]
                                        ; implicit-def: $vgpr2_vgpr3
                                        ; implicit-def: $vgpr8_vgpr9
.LBB69_46:                              ;   in Loop: Header=BB69_41 Depth=2
	s_andn2_saveexec_b64 s[12:13], s[12:13]
	s_cbranch_execz .LBB69_48
; %bb.47:                               ;   in Loop: Header=BB69_41 Depth=2
	v_div_scale_f64 v[20:21], s[38:39], v[2:3], v[2:3], v[8:9]
	v_rcp_f64_e32 v[22:23], v[20:21]
	v_div_scale_f64 v[24:25], vcc, v[8:9], v[2:3], v[8:9]
	v_fma_f64 v[26:27], -v[20:21], v[22:23], 1.0
	v_fmac_f64_e32 v[22:23], v[22:23], v[26:27]
	v_fma_f64 v[26:27], -v[20:21], v[22:23], 1.0
	v_fmac_f64_e32 v[22:23], v[22:23], v[26:27]
	v_mul_f64 v[26:27], v[24:25], v[22:23]
	v_fma_f64 v[20:21], -v[20:21], v[26:27], v[24:25]
	v_div_fmas_f64 v[20:21], v[20:21], v[22:23], v[26:27]
	v_div_fixup_f64 v[8:9], v[20:21], v[2:3], v[8:9]
	v_fma_f64 v[8:9], v[8:9], v[8:9], 1.0
	v_cmp_gt_f64_e32 vcc, s[34:35], v[8:9]
	s_nop 1
	v_cndmask_b32_e32 v5, 0, v38, vcc
	v_ldexp_f64 v[8:9], v[8:9], v5
	v_rsq_f64_e32 v[20:21], v[8:9]
	v_cndmask_b32_e32 v5, 0, v39, vcc
	v_cmp_class_f64_e32 vcc, v[8:9], v36
	v_mul_f64 v[22:23], v[8:9], v[20:21]
	v_mul_f64 v[20:21], v[20:21], 0.5
	v_fma_f64 v[24:25], -v[20:21], v[22:23], 0.5
	v_fmac_f64_e32 v[22:23], v[22:23], v[24:25]
	v_fma_f64 v[26:27], -v[22:23], v[22:23], v[8:9]
	v_fmac_f64_e32 v[20:21], v[20:21], v[24:25]
	v_fmac_f64_e32 v[22:23], v[26:27], v[20:21]
	v_fma_f64 v[24:25], -v[22:23], v[22:23], v[8:9]
	v_fmac_f64_e32 v[22:23], v[24:25], v[20:21]
	v_ldexp_f64 v[20:21], v[22:23], v5
	v_cndmask_b32_e32 v9, v21, v9, vcc
	v_cndmask_b32_e32 v8, v20, v8, vcc
	v_mul_f64 v[20:21], v[2:3], v[8:9]
.LBB69_48:                              ;   in Loop: Header=BB69_41 Depth=2
	s_or_b64 exec, exec, s[12:13]
	v_cmp_gt_f64_e32 vcc, s[34:35], v[20:21]
	s_nop 1
	v_cndmask_b32_e32 v2, 0, v38, vcc
	v_ldexp_f64 v[2:3], v[20:21], v2
	v_rsq_f64_e32 v[8:9], v[2:3]
	v_cndmask_b32_e32 v5, 0, v39, vcc
	v_cmp_class_f64_e32 vcc, v[2:3], v36
	v_mul_f64 v[20:21], v[2:3], v[8:9]
	v_mul_f64 v[8:9], v[8:9], 0.5
	v_fma_f64 v[22:23], -v[8:9], v[20:21], 0.5
	v_fmac_f64_e32 v[20:21], v[20:21], v[22:23]
	v_fmac_f64_e32 v[8:9], v[8:9], v[22:23]
	v_fma_f64 v[22:23], -v[20:21], v[20:21], v[2:3]
	v_fmac_f64_e32 v[20:21], v[22:23], v[8:9]
	v_fma_f64 v[22:23], -v[20:21], v[20:21], v[2:3]
	v_fmac_f64_e32 v[20:21], v[22:23], v[8:9]
	v_ldexp_f64 v[8:9], v[20:21], v5
	v_cndmask_b32_e32 v3, v9, v3, vcc
	v_cndmask_b32_e32 v2, v8, v2, vcc
	v_mov_b32_e32 v5, v4
	global_store_dwordx4 v[6:7], v[2:5], off
.LBB69_49:                              ;   in Loop: Header=BB69_41 Depth=2
	s_or_b64 exec, exec, s[10:11]
	buffer_wbl2 sc1
	s_waitcnt vmcnt(0)
	buffer_inv sc1
	global_load_dwordx4 v[6:9], v[6:7], off
	s_waitcnt vmcnt(0)
	v_cmp_neq_f64_e32 vcc, 0, v[6:7]
	v_cmp_neq_f64_e64 s[10:11], 0, v[8:9]
	s_or_b64 vcc, vcc, s[10:11]
	v_cndmask_b32_e32 v3, 0, v9, vcc
	s_nor_b64 s[12:13], vcc, s[0:1]
	v_cndmask_b32_e32 v2, 0, v8, vcc
	v_cndmask_b32_e32 v21, v37, v7, vcc
	;; [unrolled: 1-line block ×3, first 2 shown]
	s_and_saveexec_b64 s[10:11], s[12:13]
	s_cbranch_execz .LBB69_55
; %bb.50:                               ;   in Loop: Header=BB69_41 Depth=2
	s_mov_b64 s[12:13], exec
	s_brev_b32 s38, -2
.LBB69_51:                              ;   Parent Loop BB69_4 Depth=1
                                        ;     Parent Loop BB69_41 Depth=2
                                        ; =>    This Inner Loop Header: Depth=3
	s_ff1_i32_b64 s39, s[12:13]
	v_add_u32_e32 v2, s33, v10
	s_lshl_b64 s[40:41], 1, s39
	v_readlane_b32 s44, v2, s39
	s_min_i32 s38, s38, s44
	s_andn2_b64 s[12:13], s[12:13], s[40:41]
	s_cmp_lg_u64 s[12:13], 0
	s_cbranch_scc1 .LBB69_51
; %bb.52:                               ;   in Loop: Header=BB69_41 Depth=2
	v_mbcnt_lo_u32_b32 v2, exec_lo, 0
	v_mbcnt_hi_u32_b32 v2, exec_hi, v2
	v_cmp_eq_u32_e32 vcc, 0, v2
	s_and_saveexec_b64 s[12:13], vcc
	s_xor_b64 s[12:13], exec, s[12:13]
	s_cbranch_execz .LBB69_54
; %bb.53:                               ;   in Loop: Header=BB69_41 Depth=2
	v_mov_b32_e32 v2, s38
	global_atomic_smin v4, v2, s[22:23]
.LBB69_54:                              ;   in Loop: Header=BB69_41 Depth=2
	s_or_b64 exec, exec, s[12:13]
	v_mov_b64_e32 v[2:3], 0
	v_mov_b64_e32 v[20:21], 1.0
.LBB69_55:                              ;   in Loop: Header=BB69_41 Depth=2
	s_or_b64 exec, exec, s[10:11]
	v_cmp_lt_i32_e32 vcc, s42, v13
	s_and_saveexec_b64 s[10:11], vcc
	s_cbranch_execz .LBB69_40
; %bb.56:                               ;   in Loop: Header=BB69_41 Depth=2
	v_add_u32_e32 v5, s42, v32
	v_add_u32_e32 v6, v34, v13
	v_cndmask_b32_e64 v6, v6, v5, s[2:3]
	v_ashrrev_i32_e32 v7, 31, v6
	v_lshl_add_u64 v[22:23], v[6:7], 4, s[28:29]
	global_load_dwordx4 v[6:9], v[22:23], off
	v_mov_b64_e32 v[24:25], 0
	v_mov_b64_e32 v[26:27], 0
	s_and_saveexec_b64 s[12:13], s[4:5]
	s_cbranch_execz .LBB69_66
; %bb.57:                               ;   in Loop: Header=BB69_41 Depth=2
	v_mov_b64_e32 v[24:25], 0
	s_mov_b64 s[38:39], 0
	v_mov_b32_e32 v5, v33
	v_mov_b32_e32 v35, v44
	;; [unrolled: 1-line block ×3, first 2 shown]
	v_mov_b64_e32 v[26:27], 0
	s_branch .LBB69_59
.LBB69_58:                              ;   in Loop: Header=BB69_59 Depth=3
	v_add_u32_e32 v46, 1, v46
	v_cmp_ge_i32_e32 vcc, v46, v1
	v_add_u32_e32 v35, s53, v35
	s_or_b64 s[38:39], vcc, s[38:39]
	v_add_u32_e32 v5, s53, v5
	s_andn2_b64 exec, exec, s[38:39]
	s_cbranch_execz .LBB69_65
.LBB69_59:                              ;   Parent Loop BB69_4 Depth=1
                                        ;     Parent Loop BB69_41 Depth=2
                                        ; =>    This Loop Header: Depth=3
                                        ;         Child Loop BB69_61 Depth 4
	v_mul_lo_u32 v28, v46, s53
	v_add_u32_e32 v47, s43, v28
	v_add_u32_e32 v48, v28, v45
	s_mov_b32 s44, 0
	s_mov_b32 s45, s52
	;; [unrolled: 1-line block ×3, first 2 shown]
	s_branch .LBB69_61
.LBB69_60:                              ;   in Loop: Header=BB69_61 Depth=4
	v_ashrrev_i32_e32 v31, 31, v30
	v_lshl_add_u64 v[54:55], v[30:31], 4, s[28:29]
	v_ashrrev_i32_e32 v29, 31, v28
	v_lshl_add_u64 v[56:57], v[28:29], 4, s[28:29]
	global_load_dwordx4 v[28:31], v[54:55], off
	global_load_dwordx4 v[50:53], v[56:57], off
	s_add_i32 s46, s46, 1
	s_add_i32 s44, s44, s52
	s_add_i32 s45, s45, -1
	s_cmp_eq_u32 s45, 0
	s_waitcnt vmcnt(0)
	v_fmac_f64_e32 v[24:25], v[50:51], v[28:29]
	v_fmac_f64_e32 v[26:27], v[52:53], v[28:29]
	;; [unrolled: 1-line block ×3, first 2 shown]
	v_fma_f64 v[26:27], v[50:51], -v[30:31], v[26:27]
	s_cbranch_scc1 .LBB69_58
.LBB69_61:                              ;   Parent Loop BB69_4 Depth=1
                                        ;     Parent Loop BB69_41 Depth=2
                                        ;       Parent Loop BB69_59 Depth=3
                                        ; =>      This Inner Loop Header: Depth=4
	s_mov_b64 s[40:41], -1
	s_and_b64 vcc, exec, s[36:37]
                                        ; implicit-def: $vgpr30
                                        ; implicit-def: $vgpr28
	s_cbranch_vccz .LBB69_63
; %bb.62:                               ;   in Loop: Header=BB69_61 Depth=4
	v_add_u32_e32 v28, s44, v5
	v_add_u32_e32 v30, s44, v35
	s_mov_b64 s[40:41], 0
.LBB69_63:                              ;   in Loop: Header=BB69_61 Depth=4
	s_andn2_b64 vcc, exec, s[40:41]
	s_cbranch_vccnz .LBB69_60
; %bb.64:                               ;   in Loop: Header=BB69_61 Depth=4
	v_add_u32_e32 v28, s46, v47
	v_add_u32_e32 v30, s46, v48
	s_branch .LBB69_60
.LBB69_65:                              ;   in Loop: Header=BB69_41 Depth=2
	s_or_b64 exec, exec, s[38:39]
.LBB69_66:                              ;   in Loop: Header=BB69_41 Depth=2
	s_or_b64 exec, exec, s[12:13]
	s_cmp_eq_u32 s42, 0
	s_cbranch_scc1 .LBB69_39
; %bb.67:                               ;   in Loop: Header=BB69_41 Depth=2
	s_mov_b32 s38, 0
	v_mov_b32_e32 v5, v40
	s_branch .LBB69_69
.LBB69_68:                              ;   in Loop: Header=BB69_69 Depth=3
	v_ashrrev_i32_e32 v31, 31, v30
	v_lshl_add_u64 v[50:51], v[30:31], 4, s[28:29]
	v_ashrrev_i32_e32 v29, 31, v28
	v_lshl_add_u64 v[52:53], v[28:29], 4, s[28:29]
	global_load_dwordx4 v[28:31], v[50:51], off
	global_load_dwordx4 v[46:49], v[52:53], off
	s_add_i32 s38, s38, 1
	s_cmp_eq_u32 s42, s38
	v_add_u32_e32 v5, s52, v5
	s_waitcnt vmcnt(0)
	v_fmac_f64_e32 v[24:25], v[46:47], v[28:29]
	v_fmac_f64_e32 v[26:27], v[48:49], v[28:29]
	;; [unrolled: 1-line block ×3, first 2 shown]
	v_fma_f64 v[26:27], v[46:47], -v[30:31], v[26:27]
	s_cbranch_scc1 .LBB69_39
.LBB69_69:                              ;   Parent Loop BB69_4 Depth=1
                                        ;     Parent Loop BB69_41 Depth=2
                                        ; =>    This Inner Loop Header: Depth=3
	s_mov_b64 s[12:13], -1
	s_and_b64 vcc, exec, s[36:37]
                                        ; implicit-def: $vgpr30
                                        ; implicit-def: $vgpr28
	s_cbranch_vccz .LBB69_71
; %bb.70:                               ;   in Loop: Header=BB69_69 Depth=3
	v_add_u32_e32 v28, s42, v5
	v_add_u32_e32 v30, v13, v5
	s_mov_b64 s[12:13], 0
.LBB69_71:                              ;   in Loop: Header=BB69_69 Depth=3
	s_andn2_b64 vcc, exec, s[12:13]
	s_cbranch_vccnz .LBB69_68
; %bb.72:                               ;   in Loop: Header=BB69_69 Depth=3
	v_add_u32_e32 v28, s38, v34
	v_add_u32_e32 v30, s38, v32
	s_branch .LBB69_68
.LBB69_73:
	s_or_b64 exec, exec, s[20:21]
	v_cmp_eq_u32_e32 vcc, 63, v0
	s_and_saveexec_b64 s[0:1], vcc
	s_cbranch_execz .LBB69_75
; %bb.74:
	v_lshl_add_u64 v[0:1], v[10:11], 2, s[18:19]
	v_mov_b32_e32 v2, 1
	buffer_wbl2 sc1
	global_store_dword v[0:1], v2, off sc1
.LBB69_75:
	s_or_b64 exec, exec, s[0:1]
                                        ; implicit-def: $vgpr0
                                        ; implicit-def: $vgpr10_vgpr11
.LBB69_76:
	s_andn2_saveexec_b64 s[0:1], s[14:15]
	s_cbranch_execz .LBB69_83
; %bb.77:
	v_cmp_eq_u32_e32 vcc, 63, v0
	s_and_saveexec_b64 s[0:1], vcc
	s_cbranch_execz .LBB69_83
; %bb.78:
	s_mov_b64 s[0:1], exec
	v_add_u32_e32 v0, s33, v10
	s_brev_b32 s2, -2
.LBB69_79:                              ; =>This Inner Loop Header: Depth=1
	s_ff1_i32_b64 s3, s[0:1]
	v_readlane_b32 s6, v0, s3
	s_lshl_b64 s[4:5], 1, s3
	s_min_i32 s2, s2, s6
	s_andn2_b64 s[0:1], s[0:1], s[4:5]
	s_cmp_lg_u64 s[0:1], 0
	s_cbranch_scc1 .LBB69_79
; %bb.80:
	v_mbcnt_lo_u32_b32 v0, exec_lo, 0
	v_mbcnt_hi_u32_b32 v0, exec_hi, v0
	v_cmp_eq_u32_e32 vcc, 0, v0
	s_and_saveexec_b64 s[0:1], vcc
	s_xor_b64 s[0:1], exec, s[0:1]
	s_cbranch_execz .LBB69_82
; %bb.81:
	v_mov_b32_e32 v0, 0
	v_mov_b32_e32 v1, s2
	global_atomic_smin v0, v1, s[22:23]
.LBB69_82:
	s_or_b64 exec, exec, s[0:1]
	v_lshl_add_u64 v[0:1], v[10:11], 2, s[18:19]
	v_mov_b32_e32 v2, 1
	buffer_wbl2 sc1
	s_waitcnt vmcnt(0)
	global_store_dword v[0:1], v2, off sc1
.LBB69_83:
	s_endpgm
	.section	.rodata,"a",@progbits
	.p2align	6, 0x0
	.amdhsa_kernel _ZN9rocsparseL23bsric0_binsearch_kernelILj64ELj64ELb0E21rocsparse_complex_numIdEEEv20rocsparse_direction_iiPKiS5_PT2_S5_PiS5_S8_21rocsparse_index_base_
		.amdhsa_group_segment_fixed_size 0
		.amdhsa_private_segment_fixed_size 0
		.amdhsa_kernarg_size 76
		.amdhsa_user_sgpr_count 2
		.amdhsa_user_sgpr_dispatch_ptr 0
		.amdhsa_user_sgpr_queue_ptr 0
		.amdhsa_user_sgpr_kernarg_segment_ptr 1
		.amdhsa_user_sgpr_dispatch_id 0
		.amdhsa_user_sgpr_kernarg_preload_length 0
		.amdhsa_user_sgpr_kernarg_preload_offset 0
		.amdhsa_user_sgpr_private_segment_size 0
		.amdhsa_uses_dynamic_stack 0
		.amdhsa_enable_private_segment 0
		.amdhsa_system_sgpr_workgroup_id_x 1
		.amdhsa_system_sgpr_workgroup_id_y 0
		.amdhsa_system_sgpr_workgroup_id_z 0
		.amdhsa_system_sgpr_workgroup_info 0
		.amdhsa_system_vgpr_workitem_id 0
		.amdhsa_next_free_vgpr 62
		.amdhsa_next_free_sgpr 57
		.amdhsa_accum_offset 64
		.amdhsa_reserve_vcc 1
		.amdhsa_float_round_mode_32 0
		.amdhsa_float_round_mode_16_64 0
		.amdhsa_float_denorm_mode_32 3
		.amdhsa_float_denorm_mode_16_64 3
		.amdhsa_dx10_clamp 1
		.amdhsa_ieee_mode 1
		.amdhsa_fp16_overflow 0
		.amdhsa_tg_split 0
		.amdhsa_exception_fp_ieee_invalid_op 0
		.amdhsa_exception_fp_denorm_src 0
		.amdhsa_exception_fp_ieee_div_zero 0
		.amdhsa_exception_fp_ieee_overflow 0
		.amdhsa_exception_fp_ieee_underflow 0
		.amdhsa_exception_fp_ieee_inexact 0
		.amdhsa_exception_int_div_zero 0
	.end_amdhsa_kernel
	.section	.text._ZN9rocsparseL23bsric0_binsearch_kernelILj64ELj64ELb0E21rocsparse_complex_numIdEEEv20rocsparse_direction_iiPKiS5_PT2_S5_PiS5_S8_21rocsparse_index_base_,"axG",@progbits,_ZN9rocsparseL23bsric0_binsearch_kernelILj64ELj64ELb0E21rocsparse_complex_numIdEEEv20rocsparse_direction_iiPKiS5_PT2_S5_PiS5_S8_21rocsparse_index_base_,comdat
.Lfunc_end69:
	.size	_ZN9rocsparseL23bsric0_binsearch_kernelILj64ELj64ELb0E21rocsparse_complex_numIdEEEv20rocsparse_direction_iiPKiS5_PT2_S5_PiS5_S8_21rocsparse_index_base_, .Lfunc_end69-_ZN9rocsparseL23bsric0_binsearch_kernelILj64ELj64ELb0E21rocsparse_complex_numIdEEEv20rocsparse_direction_iiPKiS5_PT2_S5_PiS5_S8_21rocsparse_index_base_
                                        ; -- End function
	.set _ZN9rocsparseL23bsric0_binsearch_kernelILj64ELj64ELb0E21rocsparse_complex_numIdEEEv20rocsparse_direction_iiPKiS5_PT2_S5_PiS5_S8_21rocsparse_index_base_.num_vgpr, 62
	.set _ZN9rocsparseL23bsric0_binsearch_kernelILj64ELj64ELb0E21rocsparse_complex_numIdEEEv20rocsparse_direction_iiPKiS5_PT2_S5_PiS5_S8_21rocsparse_index_base_.num_agpr, 0
	.set _ZN9rocsparseL23bsric0_binsearch_kernelILj64ELj64ELb0E21rocsparse_complex_numIdEEEv20rocsparse_direction_iiPKiS5_PT2_S5_PiS5_S8_21rocsparse_index_base_.numbered_sgpr, 57
	.set _ZN9rocsparseL23bsric0_binsearch_kernelILj64ELj64ELb0E21rocsparse_complex_numIdEEEv20rocsparse_direction_iiPKiS5_PT2_S5_PiS5_S8_21rocsparse_index_base_.num_named_barrier, 0
	.set _ZN9rocsparseL23bsric0_binsearch_kernelILj64ELj64ELb0E21rocsparse_complex_numIdEEEv20rocsparse_direction_iiPKiS5_PT2_S5_PiS5_S8_21rocsparse_index_base_.private_seg_size, 0
	.set _ZN9rocsparseL23bsric0_binsearch_kernelILj64ELj64ELb0E21rocsparse_complex_numIdEEEv20rocsparse_direction_iiPKiS5_PT2_S5_PiS5_S8_21rocsparse_index_base_.uses_vcc, 1
	.set _ZN9rocsparseL23bsric0_binsearch_kernelILj64ELj64ELb0E21rocsparse_complex_numIdEEEv20rocsparse_direction_iiPKiS5_PT2_S5_PiS5_S8_21rocsparse_index_base_.uses_flat_scratch, 0
	.set _ZN9rocsparseL23bsric0_binsearch_kernelILj64ELj64ELb0E21rocsparse_complex_numIdEEEv20rocsparse_direction_iiPKiS5_PT2_S5_PiS5_S8_21rocsparse_index_base_.has_dyn_sized_stack, 0
	.set _ZN9rocsparseL23bsric0_binsearch_kernelILj64ELj64ELb0E21rocsparse_complex_numIdEEEv20rocsparse_direction_iiPKiS5_PT2_S5_PiS5_S8_21rocsparse_index_base_.has_recursion, 0
	.set _ZN9rocsparseL23bsric0_binsearch_kernelILj64ELj64ELb0E21rocsparse_complex_numIdEEEv20rocsparse_direction_iiPKiS5_PT2_S5_PiS5_S8_21rocsparse_index_base_.has_indirect_call, 0
	.section	.AMDGPU.csdata,"",@progbits
; Kernel info:
; codeLenInByte = 3268
; TotalNumSgprs: 63
; NumVgprs: 62
; NumAgprs: 0
; TotalNumVgprs: 62
; ScratchSize: 0
; MemoryBound: 0
; FloatMode: 240
; IeeeMode: 1
; LDSByteSize: 0 bytes/workgroup (compile time only)
; SGPRBlocks: 7
; VGPRBlocks: 7
; NumSGPRsForWavesPerEU: 63
; NumVGPRsForWavesPerEU: 62
; AccumOffset: 64
; Occupancy: 8
; WaveLimiterHint : 1
; COMPUTE_PGM_RSRC2:SCRATCH_EN: 0
; COMPUTE_PGM_RSRC2:USER_SGPR: 2
; COMPUTE_PGM_RSRC2:TRAP_HANDLER: 0
; COMPUTE_PGM_RSRC2:TGID_X_EN: 1
; COMPUTE_PGM_RSRC2:TGID_Y_EN: 0
; COMPUTE_PGM_RSRC2:TGID_Z_EN: 0
; COMPUTE_PGM_RSRC2:TIDIG_COMP_CNT: 0
; COMPUTE_PGM_RSRC3_GFX90A:ACCUM_OFFSET: 15
; COMPUTE_PGM_RSRC3_GFX90A:TG_SPLIT: 0
	.section	.text._ZN9rocsparseL17bsric0_2_8_kernelILi64ELi64ELi8E21rocsparse_complex_numIdEEEv20rocsparse_direction_iiPKiS5_PT2_S5_PiS5_S8_21rocsparse_index_base_,"axG",@progbits,_ZN9rocsparseL17bsric0_2_8_kernelILi64ELi64ELi8E21rocsparse_complex_numIdEEEv20rocsparse_direction_iiPKiS5_PT2_S5_PiS5_S8_21rocsparse_index_base_,comdat
	.globl	_ZN9rocsparseL17bsric0_2_8_kernelILi64ELi64ELi8E21rocsparse_complex_numIdEEEv20rocsparse_direction_iiPKiS5_PT2_S5_PiS5_S8_21rocsparse_index_base_ ; -- Begin function _ZN9rocsparseL17bsric0_2_8_kernelILi64ELi64ELi8E21rocsparse_complex_numIdEEEv20rocsparse_direction_iiPKiS5_PT2_S5_PiS5_S8_21rocsparse_index_base_
	.p2align	8
	.type	_ZN9rocsparseL17bsric0_2_8_kernelILi64ELi64ELi8E21rocsparse_complex_numIdEEEv20rocsparse_direction_iiPKiS5_PT2_S5_PiS5_S8_21rocsparse_index_base_,@function
_ZN9rocsparseL17bsric0_2_8_kernelILi64ELi64ELi8E21rocsparse_complex_numIdEEEv20rocsparse_direction_iiPKiS5_PT2_S5_PiS5_S8_21rocsparse_index_base_: ; @_ZN9rocsparseL17bsric0_2_8_kernelILi64ELi64ELi8E21rocsparse_complex_numIdEEEv20rocsparse_direction_iiPKiS5_PT2_S5_PiS5_S8_21rocsparse_index_base_
; %bb.0:
	s_load_dwordx8 s[12:19], s[0:1], 0x28
	s_mov_b32 s3, 0
	s_lshl_b64 s[2:3], s[2:3], 2
	v_and_b32_e32 v13, 0x3ff, v0
	v_bfe_u32 v22, v0, 10, 10
	s_waitcnt lgkmcnt(0)
	s_add_u32 s2, s16, s2
	s_addc_u32 s3, s17, s3
	s_load_dword s16, s[2:3], 0x0
	s_waitcnt lgkmcnt(0)
	s_ashr_i32 s17, s16, 31
	s_lshl_b64 s[10:11], s[16:17], 2
	s_add_u32 s2, s12, s10
	s_addc_u32 s3, s13, s11
	s_load_dword s33, s[2:3], 0x0
	s_load_dword s17, s[0:1], 0x48
	s_waitcnt lgkmcnt(0)
	s_cmp_lg_u32 s33, -1
	s_cbranch_scc0 .LBB70_92
; %bb.1:
	s_load_dwordx4 s[20:23], s[0:1], 0x10
	s_load_dwordx2 s[24:25], s[0:1], 0x20
	v_lshlrev_b32_e32 v1, 3, v22
	v_add_u32_e32 v2, v1, v13
	s_waitcnt lgkmcnt(0)
	s_add_u32 s2, s20, s10
	s_addc_u32 s3, s21, s11
	s_load_dword s26, s[2:3], 0x0
	s_waitcnt lgkmcnt(0)
	s_sub_i32 s40, s26, s17
	v_add_u32_e32 v0, s40, v2
	v_cmp_ge_i32_e32 vcc, s33, v0
	s_and_saveexec_b64 s[2:3], vcc
	s_cbranch_execz .LBB70_14
; %bb.2:
	v_add_u32_e32 v2, s26, v2
	v_subrev_u32_e32 v2, s17, v2
	v_add_u32_e32 v2, 64, v2
	s_add_i32 s4, s33, 1
	v_max_i32_e32 v2, s4, v2
	v_not_b32_e32 v3, v13
	v_add3_u32 v2, s17, v2, v3
	v_add_u32_e32 v1, s26, v1
	v_sub_u32_e32 v1, v2, v1
	v_cmp_lt_u32_e32 vcc, 63, v1
	s_mov_b64 s[6:7], -1
	s_and_saveexec_b64 s[4:5], vcc
	s_cbranch_execz .LBB70_11
; %bb.3:
	v_lshrrev_b32_e32 v4, 6, v1
	v_add_u32_e32 v2, -1, v4
	v_add_u32_e32 v1, 64, v0
	v_lshrrev_b32_e32 v3, 1, v2
	v_add_u32_e32 v5, 1, v3
	v_cmp_lt_u32_e32 vcc, 13, v2
	v_mov_b64_e32 v[2:3], v[0:1]
	s_and_saveexec_b64 s[6:7], vcc
	s_cbranch_execz .LBB70_7
; %bb.4:
	v_and_b32_e32 v6, -8, v5
	s_mov_b64 s[8:9], 0
	v_mov_b64_e32 v[2:3], v[0:1]
.LBB70_5:                               ; =>This Inner Loop Header: Depth=1
	v_ashrrev_i32_e32 v11, 31, v2
	v_mov_b32_e32 v10, v2
	v_ashrrev_i32_e32 v9, 31, v3
	v_mov_b32_e32 v8, v3
	v_add_u32_e32 v14, 0x80, v2
	v_add_u32_e32 v16, 0x80, v3
	v_lshl_add_u64 v[10:11], v[10:11], 2, s[22:23]
	v_add_u32_e32 v18, 0x100, v2
	v_add_u32_e32 v20, 0x100, v3
	;; [unrolled: 1-line block ×12, first 2 shown]
	v_lshl_add_u64 v[8:9], v[8:9], 2, s[22:23]
	v_ashrrev_i32_e32 v17, 31, v16
	v_ashrrev_i32_e32 v15, 31, v14
	global_load_dword v1, v[10:11], off
	global_load_dword v7, v[8:9], off
	v_ashrrev_i32_e32 v21, 31, v20
	v_ashrrev_i32_e32 v19, 31, v18
	;; [unrolled: 1-line block ×12, first 2 shown]
	v_lshl_add_u64 v[8:9], v[14:15], 2, s[22:23]
	v_lshl_add_u64 v[10:11], v[16:17], 2, s[22:23]
	;; [unrolled: 1-line block ×13, first 2 shown]
	global_load_dword v12, v[10:11], off
	v_lshl_add_u64 v[10:11], v[42:43], 2, s[22:23]
	global_load_dword v15, v[8:9], off
	global_load_dword v17, v[46:47], off
	;; [unrolled: 1-line block ×13, first 2 shown]
	v_subrev_u32_e32 v9, s40, v2
	v_add_u32_e32 v6, -8, v6
	v_subrev_u32_e32 v8, s40, v3
	v_lshlrev_b32_e32 v9, 2, v9
	v_subrev_u32_e32 v11, s40, v14
	v_cmp_eq_u32_e32 vcc, 0, v6
	v_add_u32_e32 v3, 0x400, v3
	v_add_u32_e32 v2, 0x400, v2
	v_lshlrev_b32_e32 v8, 2, v8
	v_subrev_u32_e32 v10, s40, v16
	v_subrev_u32_e32 v14, s40, v20
	;; [unrolled: 1-line block ×13, first 2 shown]
	v_lshlrev_b32_e32 v11, 2, v11
	s_or_b64 s[8:9], vcc, s[8:9]
	v_lshlrev_b32_e32 v10, 2, v10
	v_lshlrev_b32_e32 v16, 2, v16
	;; [unrolled: 1-line block ×13, first 2 shown]
	s_waitcnt vmcnt(15)
	v_subrev_u32_e32 v1, s17, v1
	s_waitcnt vmcnt(14)
	v_subrev_u32_e32 v7, s17, v7
	ds_write_b32 v9, v1 offset:5120
	ds_write_b32 v8, v7 offset:5120
	s_waitcnt vmcnt(12)
	v_subrev_u32_e32 v7, s17, v15
	s_waitcnt vmcnt(11)
	v_subrev_u32_e32 v8, s17, v17
	;; [unrolled: 2-line block ×8, first 2 shown]
	v_subrev_u32_e32 v1, s17, v12
	v_subrev_u32_e32 v12, s17, v21
	;; [unrolled: 1-line block ×3, first 2 shown]
	s_waitcnt vmcnt(2)
	v_subrev_u32_e32 v27, s17, v35
	s_waitcnt vmcnt(1)
	v_subrev_u32_e32 v29, s17, v37
	;; [unrolled: 2-line block ×3, first 2 shown]
	ds_write_b32 v11, v7 offset:5120
	ds_write_b32 v10, v1 offset:5120
	;; [unrolled: 1-line block ×14, first 2 shown]
	s_andn2_b64 exec, exec, s[8:9]
	s_cbranch_execnz .LBB70_5
; %bb.6:
	s_or_b64 exec, exec, s[8:9]
.LBB70_7:
	s_or_b64 exec, exec, s[6:7]
	v_and_b32_e32 v1, 7, v5
	v_cmp_ne_u32_e32 vcc, 0, v1
	s_and_saveexec_b64 s[6:7], vcc
	s_cbranch_execz .LBB70_10
; %bb.8:
	s_mov_b64 s[8:9], 0
.LBB70_9:                               ; =>This Inner Loop Header: Depth=1
	v_ashrrev_i32_e32 v7, 31, v3
	v_mov_b32_e32 v6, v3
	v_ashrrev_i32_e32 v9, 31, v2
	v_mov_b32_e32 v8, v2
	v_lshl_add_u64 v[6:7], v[6:7], 2, s[22:23]
	v_lshl_add_u64 v[8:9], v[8:9], 2, s[22:23]
	global_load_dword v5, v[6:7], off
	global_load_dword v10, v[8:9], off
	v_add_u32_e32 v1, -1, v1
	v_subrev_u32_e32 v7, s40, v2
	v_cmp_eq_u32_e32 vcc, 0, v1
	v_subrev_u32_e32 v6, s40, v3
	v_add_u32_e32 v3, 0x80, v3
	v_add_u32_e32 v2, 0x80, v2
	v_lshlrev_b32_e32 v7, 2, v7
	s_or_b64 s[8:9], vcc, s[8:9]
	v_lshlrev_b32_e32 v6, 2, v6
	s_waitcnt vmcnt(1)
	v_subrev_u32_e32 v5, s17, v5
	s_waitcnt vmcnt(0)
	v_subrev_u32_e32 v8, s17, v10
	ds_write_b32 v7, v8 offset:5120
	ds_write_b32 v6, v5 offset:5120
	s_andn2_b64 exec, exec, s[8:9]
	s_cbranch_execnz .LBB70_9
.LBB70_10:
	s_or_b64 exec, exec, s[6:7]
	v_add_u32_e32 v1, 1, v4
	v_and_b32_e32 v2, 0x7fffffe, v1
	v_cmp_ne_u32_e32 vcc, v1, v2
	v_lshl_add_u32 v0, v2, 6, v0
	s_orn2_b64 s[6:7], vcc, exec
.LBB70_11:
	s_or_b64 exec, exec, s[4:5]
	s_and_b64 exec, exec, s[6:7]
	s_cbranch_execz .LBB70_14
; %bb.12:
	v_add_u32_e32 v1, s17, v0
	v_subrev_u32_e32 v1, s26, v1
	v_mov_b32_e32 v2, 0x1400
	v_lshl_add_u32 v4, v1, 2, v2
	v_ashrrev_i32_e32 v1, 31, v0
	v_lshl_add_u64 v[2:3], v[0:1], 2, s[22:23]
	s_mov_b64 s[4:5], 0
	s_mov_b64 s[6:7], 0x100
.LBB70_13:                              ; =>This Inner Loop Header: Depth=1
	global_load_dword v1, v[2:3], off
	v_add_u32_e32 v0, 64, v0
	v_cmp_lt_i32_e32 vcc, s33, v0
	v_lshl_add_u64 v[2:3], v[2:3], 0, s[6:7]
	s_or_b64 s[4:5], vcc, s[4:5]
	s_waitcnt vmcnt(0)
	v_subrev_u32_e32 v1, s17, v1
	ds_write_b32 v4, v1
	v_add_u32_e32 v4, 0x100, v4
	s_andn2_b64 exec, exec, s[4:5]
	s_cbranch_execnz .LBB70_13
.LBB70_14:
	s_or_b64 exec, exec, s[2:3]
	s_load_dword s42, s[0:1], 0x0
	s_load_dword s41, s[0:1], 0x8
	s_movk_i32 s6, 0x90
	v_mov_b32_e32 v0, 0xd80
	v_mad_u32_u24 v24, v22, s6, v0
	v_mov_b32_e32 v0, 0
	v_lshl_add_u32 v23, v13, 4, v24
	v_mov_b32_e32 v1, v0
	v_mov_b32_e32 v2, v0
	;; [unrolled: 1-line block ×3, first 2 shown]
	s_cmp_ge_i32 s40, s33
	ds_write_b128 v23, v[0:3]
	s_waitcnt lgkmcnt(0)
	s_cbranch_scc1 .LBB70_67
; %bb.15:
	s_cmp_lg_u32 s42, 0
	s_cselect_b64 s[26:27], -1, 0
	s_cmp_eq_u32 s42, 0
	v_cmp_gt_i32_e64 s[0:1], s41, v13
	v_cmp_gt_i32_e64 s[2:3], s41, v22
	s_cselect_b64 vcc, -1, 0
	s_and_b64 s[28:29], s[0:1], s[2:3]
	v_mov_b32_e32 v2, 0x900
	v_lshlrev_b32_e32 v3, 4, v13
	s_cmp_gt_i32 s41, 0
	v_mov_b32_e32 v4, 0x480
	v_mad_u32_u24 v1, v22, s6, v2
	v_mad_u32_u24 v26, v22, s6, v3
	;; [unrolled: 1-line block ×4, first 2 shown]
	s_cselect_b64 s[6:7], -1, 0
	v_add_u32_e32 v25, v1, v3
	v_add_u32_e32 v30, v29, v3
	v_or_b32_e32 v3, v13, v22
	v_cndmask_b32_e64 v2, 0, 1, s[6:7]
	s_mul_i32 s43, s41, s41
	v_mul_lo_u32 v27, s41, v13
	v_mul_lo_u32 v28, s41, v22
	v_cmp_ne_u32_e64 s[4:5], 0, v3
	v_cndmask_b32_e32 v12, v22, v13, vcc
	v_cndmask_b32_e32 v32, v13, v22, vcc
	v_cmp_ne_u32_e64 s[6:7], 1, v2
	v_mov_b32_e32 v33, 0x3ff00000
	s_mov_b32 s30, s40
	s_branch .LBB70_17
.LBB70_16:                              ;   in Loop: Header=BB70_17 Depth=1
	s_or_b64 exec, exec, s[8:9]
	s_add_i32 s30, s30, 1
	s_cmp_ge_i32 s30, s33
	s_cselect_b64 s[8:9], -1, 0
	buffer_wbl2 sc1
	s_waitcnt vmcnt(0)
	buffer_inv sc1
	s_and_b64 vcc, exec, s[8:9]
	s_cbranch_vccnz .LBB70_67
.LBB70_17:                              ; =>This Loop Header: Depth=1
                                        ;     Child Loop BB70_22 Depth 2
                                        ;     Child Loop BB70_33 Depth 2
	;; [unrolled: 1-line block ×4, first 2 shown]
                                        ;       Child Loop BB70_63 Depth 3
	s_ashr_i32 s31, s30, 31
	s_lshl_b64 s[8:9], s[30:31], 2
	s_add_u32 s8, s22, s8
	s_addc_u32 s9, s23, s9
	s_load_dword s31, s[8:9], 0x0
	s_waitcnt lgkmcnt(0)
	s_sub_i32 s34, s31, s17
	s_ashr_i32 s35, s34, 31
	s_lshl_b64 s[8:9], s[34:35], 2
	s_add_u32 s36, s12, s8
	s_addc_u32 s37, s13, s9
	s_load_dword s35, s[36:37], 0x0
	s_waitcnt lgkmcnt(0)
	s_cmp_eq_u32 s35, -1
	s_cbranch_scc1 .LBB70_66
; %bb.18:                               ;   in Loop: Header=BB70_17 Depth=1
	s_add_u32 s36, s20, s8
	v_mov_b64_e32 v[2:3], 0
	s_mul_i32 s38, s30, s41
	s_addc_u32 s37, s21, s9
	v_add_u32_e32 v34, s38, v32
	v_mov_b64_e32 v[4:5], v[2:3]
	s_and_saveexec_b64 s[38:39], s[28:29]
	s_cbranch_execz .LBB70_20
; %bb.19:                               ;   in Loop: Header=BB70_17 Depth=1
	v_mad_u64_u32 v[2:3], s[44:45], v34, s41, v[12:13]
	v_ashrrev_i32_e32 v3, 31, v2
	v_lshl_add_u64 v[2:3], v[2:3], 4, s[24:25]
	global_load_dwordx4 v[2:5], v[2:3], off
.LBB70_20:                              ;   in Loop: Header=BB70_17 Depth=1
	s_or_b64 exec, exec, s[38:39]
	s_load_dword s36, s[36:37], 0x0
	ds_read_b32 v6, v0 offset:5120
	s_mov_b32 s37, 0
	s_waitcnt vmcnt(0)
	ds_write_b128 v25, v[2:5]
	s_waitcnt lgkmcnt(0)
	s_sub_i32 s36, s36, s17
	s_cmp_le_i32 s36, s35
	v_cmp_ge_i32_e32 vcc, s34, v6
	s_cselect_b64 s[38:39], -1, 0
	s_and_b64 s[38:39], s[38:39], vcc
	s_andn2_b64 vcc, exec, s[38:39]
	s_cbranch_vccnz .LBB70_32
; %bb.21:                               ;   in Loop: Header=BB70_17 Depth=1
	s_mov_b32 s44, 0
	s_mov_b32 s45, 0
.LBB70_22:                              ;   Parent Loop BB70_17 Depth=1
                                        ; =>  This Inner Loop Header: Depth=2
	s_ashr_i32 s37, s36, 31
	s_lshl_b64 s[38:39], s[36:37], 2
	s_add_u32 s38, s22, s38
	s_addc_u32 s39, s23, s39
	s_load_dword s37, s[38:39], 0x0
	s_lshl_b32 s38, s45, 2
	v_mov_b32_e32 v2, s38
	ds_read_b32 v2, v2 offset:5120
	s_mov_b64 s[38:39], -1
	s_waitcnt lgkmcnt(0)
	s_sub_i32 s49, s37, s17
                                        ; implicit-def: $sgpr37
                                        ; implicit-def: $sgpr48
                                        ; implicit-def: $sgpr47
	v_cmp_ge_i32_e32 vcc, s49, v2
	v_readfirstlane_b32 s46, v2
	s_cbranch_vccz .LBB70_28
; %bb.23:                               ;   in Loop: Header=BB70_22 Depth=2
	s_cmp_le_i32 s49, s46
                                        ; implicit-def: $sgpr37
                                        ; implicit-def: $sgpr48
                                        ; implicit-def: $sgpr47
	s_cbranch_scc0 .LBB70_25
; %bb.24:                               ;   in Loop: Header=BB70_22 Depth=2
	s_add_i32 s37, s45, s40
	s_mul_i32 s37, s37, s43
	s_lshl_b32 s38, s44, 2
	v_mov_b32_e32 v3, s37
	s_mul_i32 s37, s36, s43
	v_mov_b32_e32 v2, s38
	v_mov_b32_e32 v4, s37
	ds_write2st64_b32 v2, v4, v3 offset0:18 offset1:19
	s_add_i32 s47, s45, 1
	s_add_i32 s48, s36, 1
	;; [unrolled: 1-line block ×3, first 2 shown]
	s_mov_b64 s[38:39], 0
.LBB70_25:                              ;   in Loop: Header=BB70_22 Depth=2
	s_andn2_b64 vcc, exec, s[38:39]
	s_cbranch_vccnz .LBB70_27
; %bb.26:                               ;   in Loop: Header=BB70_22 Depth=2
	s_add_i32 s47, s45, 1
	s_mov_b32 s37, s44
	s_mov_b32 s48, s36
.LBB70_27:                              ;   in Loop: Header=BB70_22 Depth=2
	s_mov_b64 s[38:39], 0
.LBB70_28:                              ;   in Loop: Header=BB70_22 Depth=2
	s_andn2_b64 vcc, exec, s[38:39]
	s_cbranch_vccnz .LBB70_30
; %bb.29:                               ;   in Loop: Header=BB70_22 Depth=2
	s_add_i32 s48, s36, 1
	s_mov_b32 s47, s45
	s_mov_b32 s37, s44
.LBB70_30:                              ;   in Loop: Header=BB70_22 Depth=2
	s_cmp_le_i32 s48, s35
	s_cselect_b64 s[38:39], -1, 0
	s_cmp_le_i32 s46, s34
	s_cselect_b64 s[44:45], -1, 0
	s_and_b64 s[38:39], s[38:39], s[44:45]
	s_and_b64 vcc, exec, s[38:39]
	s_cbranch_vccz .LBB70_32
; %bb.31:                               ;   in Loop: Header=BB70_22 Depth=2
	s_mov_b32 s44, s37
	s_mov_b32 s36, s48
	;; [unrolled: 1-line block ×3, first 2 shown]
	s_branch .LBB70_22
.LBB70_32:                              ;   in Loop: Header=BB70_17 Depth=1
	s_add_u32 s8, s14, s8
	s_addc_u32 s9, s15, s9
	s_waitcnt lgkmcnt(0)
.LBB70_33:                              ;   Parent Loop BB70_17 Depth=1
                                        ; =>  This Inner Loop Header: Depth=2
	global_load_dword v2, v0, s[8:9] sc1
	s_waitcnt vmcnt(0)
	v_cmp_eq_u32_e32 vcc, 0, v2
	s_cbranch_vccnz .LBB70_33
; %bb.34:                               ;   in Loop: Header=BB70_17 Depth=1
	v_mov_b64_e32 v[4:5], 0
	v_mov_b64_e32 v[6:7], 0
	;; [unrolled: 1-line block ×3, first 2 shown]
	buffer_inv sc1
	s_and_saveexec_b64 s[8:9], s[28:29]
	s_cbranch_execz .LBB70_36
; %bb.35:                               ;   in Loop: Header=BB70_17 Depth=1
	s_mul_i32 s35, s35, s41
	v_add_u32_e32 v2, s35, v32
	v_mad_u64_u32 v[2:3], s[34:35], v2, s41, v[12:13]
	v_ashrrev_i32_e32 v3, 31, v2
	v_lshl_add_u64 v[2:3], v[2:3], 4, s[24:25]
	global_load_dwordx4 v[6:9], v[2:3], off
.LBB70_36:                              ;   in Loop: Header=BB70_17 Depth=1
	s_or_b64 exec, exec, s[8:9]
	s_cmp_lt_i32 s37, 2
	v_mov_b64_e32 v[2:3], 0
	s_waitcnt vmcnt(0)
	ds_write_b128 v26, v[6:9]
	s_waitcnt lgkmcnt(0)
	s_cbranch_scc1 .LBB70_55
; %bb.37:                               ;   in Loop: Header=BB70_17 Depth=1
	s_add_i32 s34, s37, -2
	v_mov_b64_e32 v[14:15], 0
	s_mov_b32 s35, 0
	v_mov_b64_e32 v[16:17], 0
	s_and_b64 vcc, exec, s[6:7]
	s_cbranch_vccz .LBB70_40
	s_branch .LBB70_39
.LBB70_38:                              ;   in Loop: Header=BB70_17 Depth=1
	s_mov_b32 s35, s8
	v_mov_b64_e32 v[14:15], v[4:5]
	v_mov_b64_e32 v[16:17], v[2:3]
	s_and_b64 vcc, exec, s[6:7]
	s_cbranch_vccz .LBB70_40
.LBB70_39:                              ;   in Loop: Header=BB70_17 Depth=1
	v_mov_b64_e32 v[4:5], v[14:15]
	v_mov_b64_e32 v[2:3], v[16:17]
	s_branch .LBB70_54
.LBB70_40:                              ;   in Loop: Header=BB70_17 Depth=1
	s_lshl_b32 s8, s35, 2
	v_mov_b32_e32 v2, s8
	ds_read2st64_b32 v[2:3], v2 offset0:18 offset1:19
	s_mov_b32 s36, 0
	s_waitcnt lgkmcnt(0)
	v_add_u32_e32 v35, v2, v27
	v_add_u32_e32 v36, v3, v28
	;; [unrolled: 1-line block ×4, first 2 shown]
	s_mov_b64 s[8:9], -1
	s_and_b64 vcc, exec, s[26:27]
                                        ; implicit-def: $vgpr4_vgpr5
	s_cbranch_vccz .LBB70_47
	s_branch .LBB70_42
.LBB70_41:                              ;   in Loop: Header=BB70_47 Depth=2
	v_mov_b64_e32 v[14:15], v[4:5]
	v_mov_b64_e32 v[16:17], v[2:3]
	s_mov_b64 s[8:9], -1
	s_and_b64 vcc, exec, s[26:27]
                                        ; implicit-def: $vgpr4_vgpr5
	s_cbranch_vccz .LBB70_47
.LBB70_42:                              ;   in Loop: Header=BB70_17 Depth=1
	v_mov_b64_e32 v[4:5], 0
	v_mov_b64_e32 v[8:9], 0
	;; [unrolled: 1-line block ×3, first 2 shown]
	s_and_saveexec_b64 s[8:9], s[0:1]
	s_cbranch_execz .LBB70_44
; %bb.43:                               ;   in Loop: Header=BB70_17 Depth=1
	v_ashrrev_i32_e32 v21, 31, v20
	v_lshl_add_u64 v[2:3], v[20:21], 4, s[24:25]
	global_load_dwordx4 v[8:11], v[2:3], off
.LBB70_44:                              ;   in Loop: Header=BB70_17 Depth=1
	s_or_b64 exec, exec, s[8:9]
	v_mov_b64_e32 v[6:7], 0
	s_and_saveexec_b64 s[8:9], s[2:3]
	s_cbranch_execz .LBB70_46
; %bb.45:                               ;   in Loop: Header=BB70_17 Depth=1
	v_ashrrev_i32_e32 v19, 31, v18
	v_lshl_add_u64 v[2:3], v[18:19], 4, s[24:25]
	global_load_dwordx4 v[4:7], v[2:3], off
.LBB70_46:                              ;   in Loop: Header=BB70_17 Depth=1
	s_or_b64 exec, exec, s[8:9]
	s_waitcnt vmcnt(0)
	v_fma_f64 v[2:3], v[8:9], v[4:5], v[16:17]
	v_fma_f64 v[4:5], v[10:11], v[4:5], v[14:15]
	v_fmac_f64_e32 v[2:3], v[10:11], v[6:7]
	v_fma_f64 v[4:5], v[8:9], -v[6:7], v[4:5]
	s_mov_b64 s[8:9], 0
.LBB70_47:                              ;   Parent Loop BB70_17 Depth=1
                                        ; =>  This Inner Loop Header: Depth=2
	s_and_b64 vcc, exec, s[8:9]
	s_cbranch_vccz .LBB70_53
; %bb.48:                               ;   in Loop: Header=BB70_47 Depth=2
	v_mov_b64_e32 v[2:3], 0
	v_mov_b64_e32 v[6:7], 0
	;; [unrolled: 1-line block ×3, first 2 shown]
	s_and_saveexec_b64 s[8:9], s[0:1]
	s_cbranch_execz .LBB70_50
; %bb.49:                               ;   in Loop: Header=BB70_47 Depth=2
	v_add_u32_e32 v4, s36, v35
	v_ashrrev_i32_e32 v5, 31, v4
	v_lshl_add_u64 v[4:5], v[4:5], 4, s[24:25]
	global_load_dwordx4 v[6:9], v[4:5], off
.LBB70_50:                              ;   in Loop: Header=BB70_47 Depth=2
	s_or_b64 exec, exec, s[8:9]
	v_mov_b64_e32 v[4:5], 0
	s_and_saveexec_b64 s[8:9], s[2:3]
	s_cbranch_execz .LBB70_52
; %bb.51:                               ;   in Loop: Header=BB70_47 Depth=2
	v_add_u32_e32 v2, s36, v36
	v_ashrrev_i32_e32 v3, 31, v2
	v_lshl_add_u64 v[2:3], v[2:3], 4, s[24:25]
	global_load_dwordx4 v[2:5], v[2:3], off
.LBB70_52:                              ;   in Loop: Header=BB70_47 Depth=2
	s_or_b64 exec, exec, s[8:9]
	s_waitcnt vmcnt(0)
	v_fmac_f64_e32 v[16:17], v[6:7], v[2:3]
	v_fmac_f64_e32 v[16:17], v[8:9], v[4:5]
	;; [unrolled: 1-line block ×3, first 2 shown]
	v_fma_f64 v[4:5], v[6:7], -v[4:5], v[14:15]
	v_mov_b64_e32 v[2:3], v[16:17]
.LBB70_53:                              ;   in Loop: Header=BB70_47 Depth=2
	s_add_i32 s36, s36, 1
	v_add_u32_e32 v18, s41, v18
	s_cmp_eq_u32 s41, s36
	v_add_u32_e32 v20, s41, v20
	s_cbranch_scc0 .LBB70_41
.LBB70_54:                              ;   in Loop: Header=BB70_17 Depth=1
	s_add_i32 s8, s35, 1
	s_cmp_eq_u32 s35, s34
	s_cbranch_scc0 .LBB70_38
.LBB70_55:                              ;   in Loop: Header=BB70_17 Depth=1
	s_and_b64 vcc, exec, s[6:7]
	ds_write_b128 v30, v[2:5]
	s_waitcnt lgkmcnt(0)
	s_cbranch_vccnz .LBB70_64
; %bb.56:                               ;   in Loop: Header=BB70_17 Depth=1
	s_mov_b32 s36, 0
	v_mov_b32_e32 v18, s31
	s_mov_b32 s31, 0
	s_branch .LBB70_58
.LBB70_57:                              ;   in Loop: Header=BB70_58 Depth=2
	v_mul_f64 v[20:21], v[10:11], v[10:11]
	v_fmac_f64_e32 v[20:21], v[14:15], v[14:15]
	v_div_scale_f64 v[36:37], s[8:9], v[20:21], v[20:21], 1.0
	v_rcp_f64_e32 v[38:39], v[36:37]
	s_waitcnt lgkmcnt(0)
	v_add_f64 v[6:7], v[2:3], -v[6:7]
	v_add_f64 v[4:5], v[4:5], -v[8:9]
	s_addk_i32 s36, 0x90
	v_fma_f64 v[2:3], -v[36:37], v[38:39], 1.0
	v_fmac_f64_e32 v[38:39], v[38:39], v[2:3]
	v_fma_f64 v[2:3], -v[36:37], v[38:39], 1.0
	v_fmac_f64_e32 v[38:39], v[38:39], v[2:3]
	v_div_scale_f64 v[2:3], vcc, 1.0, v[20:21], 1.0
	v_mul_f64 v[8:9], v[2:3], v[38:39]
	v_fma_f64 v[2:3], -v[36:37], v[8:9], v[2:3]
	s_nop 1
	v_div_fmas_f64 v[2:3], v[2:3], v[38:39], v[8:9]
	v_div_fixup_f64 v[8:9], v[2:3], v[20:21], 1.0
	v_mul_f64 v[2:3], v[10:11], v[4:5]
	v_fmac_f64_e32 v[2:3], v[6:7], v[14:15]
	v_mul_f64 v[6:7], v[10:11], -v[6:7]
	v_fmac_f64_e32 v[6:7], v[4:5], v[14:15]
	v_mul_f64 v[2:3], v[8:9], v[2:3]
	v_mul_f64 v[4:5], v[8:9], v[6:7]
	v_lshl_add_u32 v6, s31, 4, v31
	ds_write_b128 v16, v[2:5]
	s_waitcnt lgkmcnt(0)
	ds_read_b128 v[6:9], v6
	ds_read_b128 v[14:17], v23
	s_add_i32 s31, s31, 1
	s_cmp_eq_u32 s31, s41
	s_waitcnt lgkmcnt(0)
	v_fmac_f64_e32 v[14:15], v[2:3], v[6:7]
	v_fmac_f64_e32 v[16:17], v[4:5], v[6:7]
	;; [unrolled: 1-line block ×3, first 2 shown]
	v_fma_f64 v[16:17], v[2:3], -v[8:9], v[16:17]
	ds_write_b128 v23, v[14:17]
	s_waitcnt lgkmcnt(0)
	s_cbranch_scc1 .LBB70_64
.LBB70_58:                              ;   Parent Loop BB70_17 Depth=1
                                        ; =>  This Loop Header: Depth=2
                                        ;       Child Loop BB70_63 Depth 3
	s_lshl_b32 s8, s31, 4
	s_mul_i32 s9, s31, 0x90
	s_add_i32 s9, s9, s8
	v_mov_b32_e32 v2, s9
	ds_read_b128 v[6:9], v2
	v_add_u32_e32 v16, s8, v1
	ds_read_b128 v[2:5], v16
	s_waitcnt lgkmcnt(1)
	v_cmp_neq_f64_e32 vcc, 0, v[6:7]
	v_cmp_neq_f64_e64 s[8:9], 0, v[8:9]
	s_or_b64 vcc, vcc, s[8:9]
	v_cndmask_b32_e32 v11, 0, v9, vcc
	s_nor_b64 s[34:35], vcc, s[4:5]
	v_cndmask_b32_e32 v10, 0, v8, vcc
	v_cndmask_b32_e32 v15, v33, v7, vcc
	v_cndmask_b32_e32 v14, 0, v6, vcc
	s_and_saveexec_b64 s[8:9], s[34:35]
	s_cbranch_execz .LBB70_62
; %bb.59:                               ;   in Loop: Header=BB70_58 Depth=2
	v_mbcnt_lo_u32_b32 v6, exec_lo, 0
	v_mbcnt_hi_u32_b32 v6, exec_hi, v6
	v_cmp_eq_u32_e32 vcc, 0, v6
	s_and_saveexec_b64 s[34:35], vcc
	s_cbranch_execz .LBB70_61
; %bb.60:                               ;   in Loop: Header=BB70_58 Depth=2
	global_atomic_smin v0, v18, s[18:19]
.LBB70_61:                              ;   in Loop: Header=BB70_58 Depth=2
	s_or_b64 exec, exec, s[34:35]
	v_mov_b64_e32 v[14:15], 1.0
	v_mov_b64_e32 v[10:11], 0
.LBB70_62:                              ;   in Loop: Header=BB70_58 Depth=2
	s_or_b64 exec, exec, s[8:9]
	v_lshl_add_u32 v6, s31, 4, v29
	ds_read_b128 v[6:9], v6
	s_cmp_eq_u32 s31, 0
	v_mov_b32_e32 v17, v1
	s_mov_b32 s8, s36
	s_mov_b32 s9, s31
	s_cbranch_scc1 .LBB70_57
.LBB70_63:                              ;   Parent Loop BB70_17 Depth=1
                                        ;     Parent Loop BB70_58 Depth=2
                                        ; =>    This Inner Loop Header: Depth=3
	v_mov_b32_e32 v19, s8
	ds_read_b128 v[36:39], v17
	ds_read_b128 v[40:43], v19
	s_add_i32 s9, s9, -1
	s_add_i32 s8, s8, 16
	v_add_u32_e32 v17, 16, v17
	s_cmp_eq_u32 s9, 0
	s_waitcnt lgkmcnt(0)
	v_fmac_f64_e32 v[6:7], v[40:41], v[36:37]
	v_fmac_f64_e32 v[8:9], v[42:43], v[36:37]
	;; [unrolled: 1-line block ×3, first 2 shown]
	v_fma_f64 v[8:9], v[40:41], -v[38:39], v[8:9]
	s_cbranch_scc0 .LBB70_63
	s_branch .LBB70_57
.LBB70_64:                              ;   in Loop: Header=BB70_17 Depth=1
	s_and_saveexec_b64 s[8:9], s[28:29]
	s_cbranch_execz .LBB70_16
; %bb.65:                               ;   in Loop: Header=BB70_17 Depth=1
	ds_read2_b64 v[2:5], v25 offset1:1
	v_mad_u64_u32 v[6:7], s[34:35], v34, s41, v[12:13]
	v_ashrrev_i32_e32 v7, 31, v6
	v_lshl_add_u64 v[6:7], v[6:7], 4, s[24:25]
	s_waitcnt lgkmcnt(0)
	global_store_dwordx4 v[6:7], v[2:5], off
	s_branch .LBB70_16
.LBB70_66:                              ;   in Loop: Header=BB70_17 Depth=1
                                        ; implicit-def: $sgpr30
	s_cbranch_execz .LBB70_17
.LBB70_67:
	s_cmp_eq_u32 s42, 0
	v_max_i32_e32 v0, v13, v22
	s_cselect_b64 vcc, -1, 0
	v_cmp_gt_i32_e64 s[0:1], s41, v0
	v_cndmask_b32_e32 v0, v13, v22, vcc
	s_mul_i32 s33, s33, s41
	v_mov_b64_e32 v[6:7], 0
	v_cndmask_b32_e32 v4, v22, v13, vcc
	v_add_u32_e32 v5, s33, v0
	v_mov_b64_e32 v[8:9], 0
	s_and_saveexec_b64 s[2:3], s[0:1]
	s_cbranch_execz .LBB70_69
; %bb.68:
	v_mad_u64_u32 v[0:1], s[4:5], v5, s41, v[4:5]
	v_ashrrev_i32_e32 v1, 31, v0
	v_lshl_add_u64 v[0:1], v[0:1], 4, s[24:25]
	global_load_dwordx4 v[6:9], v[0:1], off
.LBB70_69:
	s_or_b64 exec, exec, s[2:3]
	s_movk_i32 s4, 0x90
	v_mov_b32_e32 v0, 0x900
	v_mad_u32_u24 v14, v22, s4, v0
	s_movk_i32 s20, 0x900
	v_lshl_add_u32 v12, v13, 4, v14
	s_cmp_lt_i32 s41, 1
	s_waitcnt vmcnt(0)
	ds_write_b128 v12, v[6:9]
	s_waitcnt lgkmcnt(0)
	s_cbranch_scc1 .LBB70_86
; %bb.70:
	v_or_b32_e32 v1, v13, v22
	v_cmp_ne_u32_e64 s[2:3], 0, v1
	s_add_i32 s5, s16, s17
	v_lshlrev_b32_e32 v1, 4, v22
	s_mov_b32 s6, 0
	s_mov_b32 s21, 0
	v_add_u32_e32 v15, v14, v1
	v_add_u32_e32 v16, v24, v1
	v_mad_u32_u24 v17, v13, s4, v0
	s_brev_b32 s7, 8
	v_mov_b32_e32 v18, 0x260
	v_mov_b32_e32 v2, 0
	v_mov_b32_e32 v24, s5
	v_mov_b32_e32 v19, 0x100
	v_mov_b32_e32 v20, 0xffffff80
	v_mov_b32_e32 v21, 0x3ff00000
	s_branch .LBB70_72
.LBB70_71:                              ;   in Loop: Header=BB70_72 Depth=1
	s_or_b64 exec, exec, s[4:5]
	s_add_i32 s21, s21, 1
	s_addk_i32 s20, 0xa0
	v_add_u32_e32 v14, 16, v14
	s_cmp_eq_u32 s41, s21
	v_add_u32_e32 v17, 16, v17
	s_waitcnt lgkmcnt(0)
	s_cbranch_scc1 .LBB70_86
.LBB70_72:                              ; =>This Inner Loop Header: Depth=1
	v_cmp_eq_u32_e32 vcc, s21, v22
	s_and_saveexec_b64 s[4:5], vcc
	s_cbranch_execz .LBB70_80
; %bb.73:                               ;   in Loop: Header=BB70_72 Depth=1
	ds_read_b128 v[6:9], v16
	ds_read_b128 v[26:29], v15
	s_waitcnt lgkmcnt(0)
	v_add_f64 v[0:1], v[26:27], -v[6:7]
	v_add_f64 v[10:11], v[28:29], -v[8:9]
	v_xor_b32_e32 v3, 0x80000000, v1
	v_cmp_gt_f64_e32 vcc, 0, v[0:1]
	v_xor_b32_e32 v6, 0x80000000, v11
                                        ; implicit-def: $vgpr8_vgpr9
	s_nop 0
	v_cndmask_b32_e32 v1, v1, v3, vcc
	v_cmp_gt_f64_e32 vcc, 0, v[10:11]
	s_nop 1
	v_cndmask_b32_e32 v7, v11, v6, vcc
	v_mov_b32_e32 v6, v10
	v_cmp_ngt_f64_e32 vcc, v[0:1], v[6:7]
	s_and_saveexec_b64 s[8:9], vcc
	s_xor_b64 s[8:9], exec, s[8:9]
	s_cbranch_execz .LBB70_77
; %bb.74:                               ;   in Loop: Header=BB70_72 Depth=1
	v_mov_b64_e32 v[8:9], 0
	v_cmp_neq_f64_e32 vcc, 0, v[10:11]
	s_and_saveexec_b64 s[12:13], vcc
	s_cbranch_execz .LBB70_76
; %bb.75:                               ;   in Loop: Header=BB70_72 Depth=1
	v_div_scale_f64 v[8:9], s[22:23], v[6:7], v[6:7], v[0:1]
	v_rcp_f64_e32 v[10:11], v[8:9]
	v_div_scale_f64 v[26:27], vcc, v[0:1], v[6:7], v[0:1]
	v_fma_f64 v[28:29], -v[8:9], v[10:11], 1.0
	v_fmac_f64_e32 v[10:11], v[10:11], v[28:29]
	v_fma_f64 v[28:29], -v[8:9], v[10:11], 1.0
	v_fmac_f64_e32 v[10:11], v[10:11], v[28:29]
	v_mul_f64 v[28:29], v[26:27], v[10:11]
	v_fma_f64 v[8:9], -v[8:9], v[28:29], v[26:27]
	v_div_fmas_f64 v[8:9], v[8:9], v[10:11], v[28:29]
	v_div_fixup_f64 v[0:1], v[8:9], v[6:7], v[0:1]
	v_fma_f64 v[0:1], v[0:1], v[0:1], 1.0
	v_cmp_gt_f64_e32 vcc, s[6:7], v[0:1]
	s_nop 1
	v_cndmask_b32_e32 v3, 0, v19, vcc
	v_ldexp_f64 v[0:1], v[0:1], v3
	v_rsq_f64_e32 v[8:9], v[0:1]
	v_cndmask_b32_e32 v3, 0, v20, vcc
	v_cmp_class_f64_e32 vcc, v[0:1], v18
	v_mul_f64 v[10:11], v[0:1], v[8:9]
	v_mul_f64 v[8:9], v[8:9], 0.5
	v_fma_f64 v[26:27], -v[8:9], v[10:11], 0.5
	v_fmac_f64_e32 v[10:11], v[10:11], v[26:27]
	v_fma_f64 v[28:29], -v[10:11], v[10:11], v[0:1]
	v_fmac_f64_e32 v[8:9], v[8:9], v[26:27]
	v_fmac_f64_e32 v[10:11], v[28:29], v[8:9]
	v_fma_f64 v[26:27], -v[10:11], v[10:11], v[0:1]
	v_fmac_f64_e32 v[10:11], v[26:27], v[8:9]
	v_ldexp_f64 v[8:9], v[10:11], v3
	v_cndmask_b32_e32 v1, v9, v1, vcc
	v_cndmask_b32_e32 v0, v8, v0, vcc
	v_mul_f64 v[8:9], v[6:7], v[0:1]
.LBB70_76:                              ;   in Loop: Header=BB70_72 Depth=1
	s_or_b64 exec, exec, s[12:13]
                                        ; implicit-def: $vgpr0_vgpr1
                                        ; implicit-def: $vgpr6_vgpr7
.LBB70_77:                              ;   in Loop: Header=BB70_72 Depth=1
	s_andn2_saveexec_b64 s[8:9], s[8:9]
	s_cbranch_execz .LBB70_79
; %bb.78:                               ;   in Loop: Header=BB70_72 Depth=1
	v_div_scale_f64 v[8:9], s[12:13], v[0:1], v[0:1], v[6:7]
	v_rcp_f64_e32 v[10:11], v[8:9]
	v_div_scale_f64 v[26:27], vcc, v[6:7], v[0:1], v[6:7]
	v_fma_f64 v[28:29], -v[8:9], v[10:11], 1.0
	v_fmac_f64_e32 v[10:11], v[10:11], v[28:29]
	v_fma_f64 v[28:29], -v[8:9], v[10:11], 1.0
	v_fmac_f64_e32 v[10:11], v[10:11], v[28:29]
	v_mul_f64 v[28:29], v[26:27], v[10:11]
	v_fma_f64 v[8:9], -v[8:9], v[28:29], v[26:27]
	v_div_fmas_f64 v[8:9], v[8:9], v[10:11], v[28:29]
	v_div_fixup_f64 v[6:7], v[8:9], v[0:1], v[6:7]
	v_fma_f64 v[6:7], v[6:7], v[6:7], 1.0
	v_cmp_gt_f64_e32 vcc, s[6:7], v[6:7]
	s_nop 1
	v_cndmask_b32_e32 v3, 0, v19, vcc
	v_ldexp_f64 v[6:7], v[6:7], v3
	v_rsq_f64_e32 v[8:9], v[6:7]
	v_cndmask_b32_e32 v3, 0, v20, vcc
	v_cmp_class_f64_e32 vcc, v[6:7], v18
	v_mul_f64 v[10:11], v[6:7], v[8:9]
	v_mul_f64 v[8:9], v[8:9], 0.5
	v_fma_f64 v[26:27], -v[8:9], v[10:11], 0.5
	v_fmac_f64_e32 v[10:11], v[10:11], v[26:27]
	v_fma_f64 v[28:29], -v[10:11], v[10:11], v[6:7]
	v_fmac_f64_e32 v[8:9], v[8:9], v[26:27]
	v_fmac_f64_e32 v[10:11], v[28:29], v[8:9]
	v_fma_f64 v[26:27], -v[10:11], v[10:11], v[6:7]
	v_fmac_f64_e32 v[10:11], v[26:27], v[8:9]
	v_ldexp_f64 v[8:9], v[10:11], v3
	v_cndmask_b32_e32 v7, v9, v7, vcc
	v_cndmask_b32_e32 v6, v8, v6, vcc
	v_mul_f64 v[8:9], v[0:1], v[6:7]
.LBB70_79:                              ;   in Loop: Header=BB70_72 Depth=1
	s_or_b64 exec, exec, s[8:9]
	v_cmp_gt_f64_e32 vcc, s[6:7], v[8:9]
	s_nop 1
	v_cndmask_b32_e32 v0, 0, v19, vcc
	v_ldexp_f64 v[0:1], v[8:9], v0
	v_rsq_f64_e32 v[6:7], v[0:1]
	v_cndmask_b32_e32 v3, 0, v20, vcc
	v_cmp_class_f64_e32 vcc, v[0:1], v18
	v_mul_f64 v[8:9], v[0:1], v[6:7]
	v_mul_f64 v[6:7], v[6:7], 0.5
	v_fma_f64 v[10:11], -v[6:7], v[8:9], 0.5
	v_fmac_f64_e32 v[8:9], v[8:9], v[10:11]
	v_fmac_f64_e32 v[6:7], v[6:7], v[10:11]
	v_fma_f64 v[10:11], -v[8:9], v[8:9], v[0:1]
	v_fmac_f64_e32 v[8:9], v[10:11], v[6:7]
	v_fma_f64 v[10:11], -v[8:9], v[8:9], v[0:1]
	v_fmac_f64_e32 v[8:9], v[10:11], v[6:7]
	v_ldexp_f64 v[6:7], v[8:9], v3
	v_cndmask_b32_e32 v1, v7, v1, vcc
	v_cndmask_b32_e32 v0, v6, v0, vcc
	v_mov_b32_e32 v3, v2
	ds_write_b128 v15, v[0:3]
.LBB70_80:                              ;   in Loop: Header=BB70_72 Depth=1
	s_or_b64 exec, exec, s[4:5]
	v_mov_b32_e32 v0, s20
	s_waitcnt lgkmcnt(0)
	ds_read_b128 v[6:9], v0
	s_waitcnt lgkmcnt(0)
	v_cmp_neq_f64_e32 vcc, 0, v[6:7]
	v_cmp_neq_f64_e64 s[4:5], 0, v[8:9]
	s_or_b64 vcc, vcc, s[4:5]
	v_cndmask_b32_e32 v1, 0, v9, vcc
	s_nor_b64 s[8:9], vcc, s[2:3]
	v_cndmask_b32_e32 v0, 0, v8, vcc
	v_cndmask_b32_e32 v7, v21, v7, vcc
	;; [unrolled: 1-line block ×3, first 2 shown]
	s_and_saveexec_b64 s[4:5], s[8:9]
	s_cbranch_execz .LBB70_84
; %bb.81:                               ;   in Loop: Header=BB70_72 Depth=1
	v_mbcnt_lo_u32_b32 v0, exec_lo, 0
	v_mbcnt_hi_u32_b32 v0, exec_hi, v0
	v_cmp_eq_u32_e32 vcc, 0, v0
	s_and_saveexec_b64 s[8:9], vcc
	s_cbranch_execz .LBB70_83
; %bb.82:                               ;   in Loop: Header=BB70_72 Depth=1
	global_atomic_smin v2, v24, s[18:19]
.LBB70_83:                              ;   in Loop: Header=BB70_72 Depth=1
	s_or_b64 exec, exec, s[8:9]
	v_mov_b64_e32 v[6:7], 1.0
	v_mov_b64_e32 v[0:1], 0
.LBB70_84:                              ;   in Loop: Header=BB70_72 Depth=1
	s_or_b64 exec, exec, s[4:5]
	v_cmp_lt_u32_e32 vcc, s21, v22
	s_and_saveexec_b64 s[4:5], vcc
	s_cbranch_execz .LBB70_71
; %bb.85:                               ;   in Loop: Header=BB70_72 Depth=1
	v_mul_f64 v[30:31], v[0:1], v[0:1]
	v_fmac_f64_e32 v[30:31], v[6:7], v[6:7]
	ds_read_b128 v[8:11], v14
	ds_read_b128 v[26:29], v14 offset:1152
	v_div_scale_f64 v[32:33], s[8:9], v[30:31], v[30:31], 1.0
	v_rcp_f64_e32 v[34:35], v[32:33]
	s_waitcnt lgkmcnt(0)
	v_add_f64 v[26:27], v[8:9], -v[26:27]
	v_add_f64 v[10:11], v[10:11], -v[28:29]
	v_fma_f64 v[8:9], -v[32:33], v[34:35], 1.0
	v_fmac_f64_e32 v[34:35], v[34:35], v[8:9]
	v_fma_f64 v[8:9], -v[32:33], v[34:35], 1.0
	v_fmac_f64_e32 v[34:35], v[34:35], v[8:9]
	v_div_scale_f64 v[8:9], vcc, 1.0, v[30:31], 1.0
	v_mul_f64 v[28:29], v[8:9], v[34:35]
	v_fma_f64 v[8:9], -v[32:33], v[28:29], v[8:9]
	s_nop 1
	v_div_fmas_f64 v[8:9], v[8:9], v[34:35], v[28:29]
	v_div_fixup_f64 v[28:29], v[8:9], v[30:31], 1.0
	v_mul_f64 v[8:9], v[0:1], v[10:11]
	v_mul_f64 v[0:1], v[0:1], -v[26:27]
	v_fmac_f64_e32 v[8:9], v[26:27], v[6:7]
	v_fmac_f64_e32 v[0:1], v[10:11], v[6:7]
	v_mul_f64 v[8:9], v[28:29], v[8:9]
	v_mul_f64 v[10:11], v[28:29], v[0:1]
	ds_write_b128 v14, v[8:11]
	s_waitcnt lgkmcnt(0)
	ds_read_b128 v[26:29], v17
	ds_read_b128 v[30:33], v23
	s_waitcnt lgkmcnt(0)
	v_fmac_f64_e32 v[30:31], v[8:9], v[26:27]
	v_fmac_f64_e32 v[32:33], v[10:11], v[26:27]
	;; [unrolled: 1-line block ×3, first 2 shown]
	v_fma_f64 v[32:33], v[8:9], -v[28:29], v[32:33]
	ds_write_b128 v23, v[30:33]
	s_branch .LBB70_71
.LBB70_86:
	s_and_saveexec_b64 s[2:3], s[0:1]
	s_cbranch_execz .LBB70_88
; %bb.87:
	ds_read2_b64 v[0:3], v12 offset1:1
	v_mad_u64_u32 v[4:5], s[0:1], v5, s41, v[4:5]
	v_ashrrev_i32_e32 v5, 31, v4
	v_lshl_add_u64 v[4:5], v[4:5], 4, s[24:25]
	s_waitcnt lgkmcnt(0)
	global_store_dwordx4 v[4:5], v[0:3], off
.LBB70_88:
	s_or_b64 exec, exec, s[2:3]
	s_nop 0
	v_or_b32_e32 v0, v13, v22
	v_cmp_eq_u32_e32 vcc, 0, v0
	s_and_saveexec_b64 s[0:1], vcc
	s_cbranch_execz .LBB70_90
; %bb.89:
	s_add_u32 s2, s14, s10
	s_addc_u32 s3, s15, s11
	v_mov_b32_e32 v0, 0
	v_mov_b32_e32 v1, 1
	buffer_wbl2 sc1
	s_waitcnt vmcnt(0)
	global_store_dword v0, v1, s[2:3] sc1
.LBB70_90:
	s_or_b64 exec, exec, s[0:1]
.LBB70_91:
	s_endpgm
.LBB70_92:
	s_cbranch_execz .LBB70_91
; %bb.93:
	v_or_b32_e32 v0, v13, v22
	v_cmp_eq_u32_e32 vcc, 0, v0
	s_and_saveexec_b64 s[0:1], vcc
	s_cbranch_execz .LBB70_91
; %bb.94:
	v_mbcnt_lo_u32_b32 v0, exec_lo, 0
	v_mbcnt_hi_u32_b32 v0, exec_hi, v0
	v_cmp_eq_u32_e32 vcc, 0, v0
	s_and_saveexec_b64 s[0:1], vcc
	s_cbranch_execz .LBB70_96
; %bb.95:
	s_add_i32 s2, s16, s17
	v_mov_b32_e32 v0, 0
	v_mov_b32_e32 v1, s2
	global_atomic_smin v0, v1, s[18:19]
.LBB70_96:
	s_or_b64 exec, exec, s[0:1]
	s_add_u32 s0, s14, s10
	s_addc_u32 s1, s15, s11
	v_mov_b32_e32 v0, 0
	v_mov_b32_e32 v1, 1
	buffer_wbl2 sc1
	s_waitcnt vmcnt(0)
	global_store_dword v0, v1, s[0:1] sc1
	s_endpgm
	.section	.rodata,"a",@progbits
	.p2align	6, 0x0
	.amdhsa_kernel _ZN9rocsparseL17bsric0_2_8_kernelILi64ELi64ELi8E21rocsparse_complex_numIdEEEv20rocsparse_direction_iiPKiS5_PT2_S5_PiS5_S8_21rocsparse_index_base_
		.amdhsa_group_segment_fixed_size 5376
		.amdhsa_private_segment_fixed_size 0
		.amdhsa_kernarg_size 76
		.amdhsa_user_sgpr_count 2
		.amdhsa_user_sgpr_dispatch_ptr 0
		.amdhsa_user_sgpr_queue_ptr 0
		.amdhsa_user_sgpr_kernarg_segment_ptr 1
		.amdhsa_user_sgpr_dispatch_id 0
		.amdhsa_user_sgpr_kernarg_preload_length 0
		.amdhsa_user_sgpr_kernarg_preload_offset 0
		.amdhsa_user_sgpr_private_segment_size 0
		.amdhsa_uses_dynamic_stack 0
		.amdhsa_enable_private_segment 0
		.amdhsa_system_sgpr_workgroup_id_x 1
		.amdhsa_system_sgpr_workgroup_id_y 0
		.amdhsa_system_sgpr_workgroup_id_z 0
		.amdhsa_system_sgpr_workgroup_info 0
		.amdhsa_system_vgpr_workitem_id 1
		.amdhsa_next_free_vgpr 66
		.amdhsa_next_free_sgpr 50
		.amdhsa_accum_offset 68
		.amdhsa_reserve_vcc 1
		.amdhsa_float_round_mode_32 0
		.amdhsa_float_round_mode_16_64 0
		.amdhsa_float_denorm_mode_32 3
		.amdhsa_float_denorm_mode_16_64 3
		.amdhsa_dx10_clamp 1
		.amdhsa_ieee_mode 1
		.amdhsa_fp16_overflow 0
		.amdhsa_tg_split 0
		.amdhsa_exception_fp_ieee_invalid_op 0
		.amdhsa_exception_fp_denorm_src 0
		.amdhsa_exception_fp_ieee_div_zero 0
		.amdhsa_exception_fp_ieee_overflow 0
		.amdhsa_exception_fp_ieee_underflow 0
		.amdhsa_exception_fp_ieee_inexact 0
		.amdhsa_exception_int_div_zero 0
	.end_amdhsa_kernel
	.section	.text._ZN9rocsparseL17bsric0_2_8_kernelILi64ELi64ELi8E21rocsparse_complex_numIdEEEv20rocsparse_direction_iiPKiS5_PT2_S5_PiS5_S8_21rocsparse_index_base_,"axG",@progbits,_ZN9rocsparseL17bsric0_2_8_kernelILi64ELi64ELi8E21rocsparse_complex_numIdEEEv20rocsparse_direction_iiPKiS5_PT2_S5_PiS5_S8_21rocsparse_index_base_,comdat
.Lfunc_end70:
	.size	_ZN9rocsparseL17bsric0_2_8_kernelILi64ELi64ELi8E21rocsparse_complex_numIdEEEv20rocsparse_direction_iiPKiS5_PT2_S5_PiS5_S8_21rocsparse_index_base_, .Lfunc_end70-_ZN9rocsparseL17bsric0_2_8_kernelILi64ELi64ELi8E21rocsparse_complex_numIdEEEv20rocsparse_direction_iiPKiS5_PT2_S5_PiS5_S8_21rocsparse_index_base_
                                        ; -- End function
	.set _ZN9rocsparseL17bsric0_2_8_kernelILi64ELi64ELi8E21rocsparse_complex_numIdEEEv20rocsparse_direction_iiPKiS5_PT2_S5_PiS5_S8_21rocsparse_index_base_.num_vgpr, 66
	.set _ZN9rocsparseL17bsric0_2_8_kernelILi64ELi64ELi8E21rocsparse_complex_numIdEEEv20rocsparse_direction_iiPKiS5_PT2_S5_PiS5_S8_21rocsparse_index_base_.num_agpr, 0
	.set _ZN9rocsparseL17bsric0_2_8_kernelILi64ELi64ELi8E21rocsparse_complex_numIdEEEv20rocsparse_direction_iiPKiS5_PT2_S5_PiS5_S8_21rocsparse_index_base_.numbered_sgpr, 50
	.set _ZN9rocsparseL17bsric0_2_8_kernelILi64ELi64ELi8E21rocsparse_complex_numIdEEEv20rocsparse_direction_iiPKiS5_PT2_S5_PiS5_S8_21rocsparse_index_base_.num_named_barrier, 0
	.set _ZN9rocsparseL17bsric0_2_8_kernelILi64ELi64ELi8E21rocsparse_complex_numIdEEEv20rocsparse_direction_iiPKiS5_PT2_S5_PiS5_S8_21rocsparse_index_base_.private_seg_size, 0
	.set _ZN9rocsparseL17bsric0_2_8_kernelILi64ELi64ELi8E21rocsparse_complex_numIdEEEv20rocsparse_direction_iiPKiS5_PT2_S5_PiS5_S8_21rocsparse_index_base_.uses_vcc, 1
	.set _ZN9rocsparseL17bsric0_2_8_kernelILi64ELi64ELi8E21rocsparse_complex_numIdEEEv20rocsparse_direction_iiPKiS5_PT2_S5_PiS5_S8_21rocsparse_index_base_.uses_flat_scratch, 0
	.set _ZN9rocsparseL17bsric0_2_8_kernelILi64ELi64ELi8E21rocsparse_complex_numIdEEEv20rocsparse_direction_iiPKiS5_PT2_S5_PiS5_S8_21rocsparse_index_base_.has_dyn_sized_stack, 0
	.set _ZN9rocsparseL17bsric0_2_8_kernelILi64ELi64ELi8E21rocsparse_complex_numIdEEEv20rocsparse_direction_iiPKiS5_PT2_S5_PiS5_S8_21rocsparse_index_base_.has_recursion, 0
	.set _ZN9rocsparseL17bsric0_2_8_kernelILi64ELi64ELi8E21rocsparse_complex_numIdEEEv20rocsparse_direction_iiPKiS5_PT2_S5_PiS5_S8_21rocsparse_index_base_.has_indirect_call, 0
	.section	.AMDGPU.csdata,"",@progbits
; Kernel info:
; codeLenInByte = 4768
; TotalNumSgprs: 56
; NumVgprs: 66
; NumAgprs: 0
; TotalNumVgprs: 66
; ScratchSize: 0
; MemoryBound: 1
; FloatMode: 240
; IeeeMode: 1
; LDSByteSize: 5376 bytes/workgroup (compile time only)
; SGPRBlocks: 6
; VGPRBlocks: 8
; NumSGPRsForWavesPerEU: 56
; NumVGPRsForWavesPerEU: 66
; AccumOffset: 68
; Occupancy: 7
; WaveLimiterHint : 1
; COMPUTE_PGM_RSRC2:SCRATCH_EN: 0
; COMPUTE_PGM_RSRC2:USER_SGPR: 2
; COMPUTE_PGM_RSRC2:TRAP_HANDLER: 0
; COMPUTE_PGM_RSRC2:TGID_X_EN: 1
; COMPUTE_PGM_RSRC2:TGID_Y_EN: 0
; COMPUTE_PGM_RSRC2:TGID_Z_EN: 0
; COMPUTE_PGM_RSRC2:TIDIG_COMP_CNT: 1
; COMPUTE_PGM_RSRC3_GFX90A:ACCUM_OFFSET: 16
; COMPUTE_PGM_RSRC3_GFX90A:TG_SPLIT: 0
	.section	.text._ZN9rocsparseL18bsric0_9_16_kernelILi64ELi64ELi16E21rocsparse_complex_numIdEEEv20rocsparse_direction_iiPKiS5_PT2_S5_PiS5_S8_21rocsparse_index_base_,"axG",@progbits,_ZN9rocsparseL18bsric0_9_16_kernelILi64ELi64ELi16E21rocsparse_complex_numIdEEEv20rocsparse_direction_iiPKiS5_PT2_S5_PiS5_S8_21rocsparse_index_base_,comdat
	.globl	_ZN9rocsparseL18bsric0_9_16_kernelILi64ELi64ELi16E21rocsparse_complex_numIdEEEv20rocsparse_direction_iiPKiS5_PT2_S5_PiS5_S8_21rocsparse_index_base_ ; -- Begin function _ZN9rocsparseL18bsric0_9_16_kernelILi64ELi64ELi16E21rocsparse_complex_numIdEEEv20rocsparse_direction_iiPKiS5_PT2_S5_PiS5_S8_21rocsparse_index_base_
	.p2align	8
	.type	_ZN9rocsparseL18bsric0_9_16_kernelILi64ELi64ELi16E21rocsparse_complex_numIdEEEv20rocsparse_direction_iiPKiS5_PT2_S5_PiS5_S8_21rocsparse_index_base_,@function
_ZN9rocsparseL18bsric0_9_16_kernelILi64ELi64ELi16E21rocsparse_complex_numIdEEEv20rocsparse_direction_iiPKiS5_PT2_S5_PiS5_S8_21rocsparse_index_base_: ; @_ZN9rocsparseL18bsric0_9_16_kernelILi64ELi64ELi16E21rocsparse_complex_numIdEEEv20rocsparse_direction_iiPKiS5_PT2_S5_PiS5_S8_21rocsparse_index_base_
; %bb.0:
	s_load_dwordx8 s[8:15], s[0:1], 0x28
	s_mov_b32 s3, 0
	s_lshl_b64 s[2:3], s[2:3], 2
	v_and_b32_e32 v13, 0x3ff, v0
	v_bfe_u32 v12, v0, 10, 10
	s_waitcnt lgkmcnt(0)
	s_add_u32 s2, s12, s2
	s_addc_u32 s3, s13, s3
	s_load_dword s20, s[2:3], 0x0
	s_waitcnt lgkmcnt(0)
	s_ashr_i32 s21, s20, 31
	s_lshl_b64 s[12:13], s[20:21], 2
	s_add_u32 s2, s8, s12
	s_addc_u32 s3, s9, s13
	s_load_dword s33, s[2:3], 0x0
	s_load_dword s21, s[0:1], 0x48
	s_waitcnt lgkmcnt(0)
	s_cmp_lg_u32 s33, -1
	s_cbranch_scc0 .LBB71_134
; %bb.1:
	s_load_dwordx4 s[16:19], s[0:1], 0x10
	s_load_dwordx2 s[22:23], s[0:1], 0x20
	v_lshlrev_b32_e32 v0, 2, v12
	v_lshlrev_b32_e32 v25, 4, v12
	s_waitcnt lgkmcnt(0)
	s_add_u32 s2, s16, s12
	s_addc_u32 s3, s17, s13
	s_load_dword s2, s[2:3], 0x0
	s_waitcnt lgkmcnt(0)
	s_sub_i32 s46, s2, s21
	v_add3_u32 v0, v0, v13, s46
	v_cmp_ge_i32_e32 vcc, s33, v0
	s_and_saveexec_b64 s[2:3], vcc
	s_cbranch_execz .LBB71_4
; %bb.2:
	v_lshlrev_b32_e32 v1, 2, v13
	s_movk_i32 s4, 0x4600
	v_add3_u32 v2, v25, v1, s4
	s_mov_b64 s[4:5], 0
.LBB71_3:                               ; =>This Inner Loop Header: Depth=1
	v_ashrrev_i32_e32 v1, 31, v0
	v_lshl_add_u64 v[4:5], v[0:1], 2, s[18:19]
	global_load_dword v1, v[4:5], off
	v_add_u32_e32 v0, 64, v0
	v_cmp_lt_i32_e32 vcc, s33, v0
	s_or_b64 s[4:5], vcc, s[4:5]
	s_waitcnt vmcnt(0)
	v_subrev_u32_e32 v1, s21, v1
	ds_write_b32 v2, v1
	v_add_u32_e32 v2, 0x100, v2
	s_andn2_b64 exec, exec, s[4:5]
	s_cbranch_execnz .LBB71_3
.LBB71_4:
	s_or_b64 exec, exec, s[2:3]
	v_cmp_gt_u32_e32 vcc, 16, v13
	v_lshlrev_b32_e32 v24, 4, v13
	s_and_saveexec_b64 s[2:3], vcc
	s_cbranch_execz .LBB71_7
; %bb.5:
	v_mul_u32_u24_e32 v1, 0x110, v12
	s_movk_i32 s4, 0x3300
	v_mov_b32_e32 v2, 0
	v_add_u32_e32 v0, -4, v13
	v_add3_u32 v1, v1, v24, s4
	s_mov_b64 s[4:5], 0
	v_mov_b32_e32 v3, v2
	v_mov_b32_e32 v4, v2
	;; [unrolled: 1-line block ×3, first 2 shown]
.LBB71_6:                               ; =>This Inner Loop Header: Depth=1
	v_add_u32_e32 v0, 4, v0
	v_cmp_lt_u32_e32 vcc, 11, v0
	ds_write_b128 v1, v[2:5]
	s_or_b64 s[4:5], vcc, s[4:5]
	v_add_u32_e32 v1, 64, v1
	s_andn2_b64 exec, exec, s[4:5]
	s_cbranch_execnz .LBB71_6
.LBB71_7:
	s_or_b64 exec, exec, s[2:3]
	s_load_dword s44, s[0:1], 0x8
	s_load_dword s45, s[0:1], 0x0
	s_cmp_ge_i32 s46, s33
	s_waitcnt lgkmcnt(0)
	v_cmp_gt_i32_e64 s[0:1], s44, v13
	s_cbranch_scc1 .LBB71_89
; %bb.8:
	s_movk_i32 s6, 0x110
	v_mov_b32_e32 v1, 0x1100
	s_cmp_lg_u32 s45, 0
	v_mov_b32_e32 v0, 0x2200
	v_mad_u32_u24 v27, v12, s6, v1
	v_or_b32_e32 v1, v13, v12
	s_mul_i32 s7, s44, s46
	s_cselect_b64 s[24:25], -1, 0
	v_mad_u32_u24 v26, v12, s6, v0
	s_cmp_gt_i32 s44, 0
	v_cmp_ne_u32_e64 s[4:5], 0, v1
	v_mad_u32_u24 v29, v12, s6, v24
	v_add_u32_e32 v1, s7, v12
	v_mad_u32_u24 v34, v13, s6, v0
	v_mov_b32_e32 v0, 0
	v_cmp_gt_i32_e64 s[2:3], s44, v12
	s_mul_i32 s47, s44, s44
	v_mul_lo_u32 v28, s44, v12
	s_cselect_b64 s[26:27], -1, 0
	v_add_u32_e32 v30, 0x1100, v29
	v_mul_lo_u32 v32, s44, v1
	v_mul_lo_u32 v31, v13, s44
	s_lshl_b32 s48, s44, 2
	v_add_u32_e32 v33, 0x3300, v29
	v_add_u32_e32 v35, 0x2200, v29
	v_mov_b32_e32 v1, v0
	v_mov_b32_e32 v2, v0
	;; [unrolled: 1-line block ×4, first 2 shown]
	s_mov_b32 s28, s46
	s_branch .LBB71_10
.LBB71_9:                               ;   in Loop: Header=BB71_10 Depth=1
	s_or_b64 exec, exec, s[6:7]
	s_add_i32 s28, s28, 1
	s_cmp_ge_i32 s28, s33
	buffer_wbl2 sc1
	s_waitcnt vmcnt(0)
	buffer_inv sc1
	v_add_u32_e32 v32, s47, v32
	s_cselect_b64 s[6:7], -1, 0
	s_and_b64 vcc, exec, s[6:7]
	s_cbranch_vccnz .LBB71_89
.LBB71_10:                              ; =>This Loop Header: Depth=1
                                        ;     Child Loop BB71_14 Depth 2
                                        ;     Child Loop BB71_26 Depth 2
	;; [unrolled: 1-line block ×5, first 2 shown]
                                        ;       Child Loop BB71_56 Depth 3
                                        ;     Child Loop BB71_70 Depth 2
                                        ;       Child Loop BB71_75 Depth 3
                                        ;       Child Loop BB71_78 Depth 3
                                        ;     Child Loop BB71_84 Depth 2
	s_ashr_i32 s29, s28, 31
	s_lshl_b64 s[6:7], s[28:29], 2
	s_add_u32 s6, s18, s6
	s_addc_u32 s7, s19, s7
	s_load_dword s49, s[6:7], 0x0
	s_waitcnt lgkmcnt(0)
	s_sub_i32 s30, s49, s21
	s_ashr_i32 s31, s30, 31
	s_lshl_b64 s[6:7], s[30:31], 2
	s_add_u32 s34, s8, s6
	s_addc_u32 s35, s9, s7
	s_load_dword s31, s[34:35], 0x0
	s_waitcnt lgkmcnt(0)
	s_cmp_eq_u32 s31, -1
	s_cbranch_scc1 .LBB71_88
; %bb.11:                               ;   in Loop: Header=BB71_10 Depth=1
	s_add_u32 s34, s16, s6
	s_addc_u32 s35, s17, s7
	s_load_dword s50, s[34:35], 0x0
	s_mul_i32 s29, s28, s44
	s_and_saveexec_b64 s[34:35], s[0:1]
	s_cbranch_execz .LBB71_24
; %bb.12:                               ;   in Loop: Header=BB71_10 Depth=1
	s_mov_b64 s[36:37], 0
	v_mov_b32_e32 v6, v30
	v_mov_b32_e32 v7, v13
	s_branch .LBB71_14
.LBB71_13:                              ;   in Loop: Header=BB71_14 Depth=2
	s_or_b64 exec, exec, s[40:41]
	v_add_u32_e32 v7, 4, v7
	v_cmp_le_i32_e32 vcc, s44, v7
	s_waitcnt vmcnt(0)
	ds_write_b128 v6, v[8:11] offset:4352
	ds_write_b128 v6, v[0:3]
	s_or_b64 s[36:37], vcc, s[36:37]
	v_add_u32_e32 v6, 64, v6
	s_andn2_b64 exec, exec, s[36:37]
	s_cbranch_execz .LBB71_24
.LBB71_14:                              ;   Parent Loop BB71_10 Depth=1
                                        ; =>  This Inner Loop Header: Depth=2
	s_and_b64 vcc, exec, s[24:25]
	s_cbranch_vccz .LBB71_21
; %bb.15:                               ;   in Loop: Header=BB71_14 Depth=2
	s_mov_b64 s[40:41], 0
	s_mov_b64 s[38:39], 0
                                        ; implicit-def: $vgpr4
	s_and_saveexec_b64 s[42:43], s[2:3]
	s_xor_b64 s[42:43], exec, s[42:43]
; %bb.16:                               ;   in Loop: Header=BB71_14 Depth=2
	v_add_u32_e32 v4, s29, v7
	s_mov_b64 s[38:39], exec
	v_mad_u64_u32 v[4:5], s[52:53], v4, s44, v[12:13]
; %bb.17:                               ;   in Loop: Header=BB71_14 Depth=2
	s_or_b64 exec, exec, s[42:43]
	s_and_b64 vcc, exec, s[40:41]
	s_cbranch_vccz .LBB71_22
.LBB71_18:                              ;   in Loop: Header=BB71_14 Depth=2
                                        ; implicit-def: $vgpr4
	s_and_saveexec_b64 s[40:41], s[2:3]
; %bb.19:                               ;   in Loop: Header=BB71_14 Depth=2
	v_add_u32_e32 v4, v32, v7
	s_or_b64 s[38:39], s[38:39], exec
; %bb.20:                               ;   in Loop: Header=BB71_14 Depth=2
	s_or_b64 exec, exec, s[40:41]
	v_mov_b64_e32 v[8:9], 0
	v_mov_b64_e32 v[10:11], 0
	s_and_saveexec_b64 s[40:41], s[38:39]
	s_cbranch_execz .LBB71_13
	s_branch .LBB71_23
.LBB71_21:                              ;   in Loop: Header=BB71_14 Depth=2
	s_mov_b64 s[38:39], 0
                                        ; implicit-def: $vgpr4
	s_cbranch_execnz .LBB71_18
.LBB71_22:                              ;   in Loop: Header=BB71_14 Depth=2
	v_mov_b64_e32 v[8:9], 0
	v_mov_b64_e32 v[10:11], 0
	s_and_saveexec_b64 s[40:41], s[38:39]
	s_cbranch_execz .LBB71_13
.LBB71_23:                              ;   in Loop: Header=BB71_14 Depth=2
	v_ashrrev_i32_e32 v5, 31, v4
	v_lshl_add_u64 v[4:5], v[4:5], 4, s[22:23]
	global_load_dwordx4 v[8:11], v[4:5], off
	s_branch .LBB71_13
.LBB71_24:                              ;   in Loop: Header=BB71_10 Depth=1
	s_or_b64 exec, exec, s[34:35]
	ds_read_b32 v4, v0 offset:17920
	s_waitcnt lgkmcnt(0)
	s_sub_i32 s34, s50, s21
	s_cmp_le_i32 s34, s31
	s_cselect_b64 s[36:37], -1, 0
	s_mov_b32 s40, 0
	v_cmp_ge_i32_e32 vcc, s30, v4
	s_and_b64 s[36:37], s[36:37], vcc
	s_andn2_b64 vcc, exec, s[36:37]
	s_cbranch_vccnz .LBB71_36
; %bb.25:                               ;   in Loop: Header=BB71_10 Depth=1
	s_mov_b32 s38, 0
	s_mov_b32 s39, 0
.LBB71_26:                              ;   Parent Loop BB71_10 Depth=1
                                        ; =>  This Inner Loop Header: Depth=2
	s_ashr_i32 s35, s34, 31
	s_lshl_b64 s[36:37], s[34:35], 2
	s_add_u32 s36, s18, s36
	s_addc_u32 s37, s19, s37
	s_load_dword s35, s[36:37], 0x0
	s_lshl_b32 s36, s39, 2
	v_mov_b32_e32 v4, s36
	ds_read_b32 v4, v4 offset:17920
	s_mov_b64 s[36:37], -1
	s_waitcnt lgkmcnt(0)
	s_sub_i32 s43, s35, s21
                                        ; implicit-def: $sgpr40
                                        ; implicit-def: $sgpr42
                                        ; implicit-def: $sgpr41
	v_cmp_ge_i32_e32 vcc, s43, v4
	v_readfirstlane_b32 s35, v4
	s_cbranch_vccz .LBB71_32
; %bb.27:                               ;   in Loop: Header=BB71_26 Depth=2
	s_cmp_le_i32 s43, s35
                                        ; implicit-def: $sgpr40
                                        ; implicit-def: $sgpr42
                                        ; implicit-def: $sgpr41
	s_cbranch_scc0 .LBB71_29
; %bb.28:                               ;   in Loop: Header=BB71_26 Depth=2
	s_add_i32 s36, s39, s46
	s_mul_i32 s36, s36, s47
	s_lshl_b32 s37, s38, 2
	v_mov_b32_e32 v5, s36
	s_mul_i32 s36, s34, s47
	v_mov_b32_e32 v4, s37
	v_mov_b32_e32 v6, s36
	ds_write2st64_b32 v4, v6, v5 offset0:68 offset1:69
	s_add_i32 s41, s39, 1
	s_add_i32 s42, s34, 1
	;; [unrolled: 1-line block ×3, first 2 shown]
	s_mov_b64 s[36:37], 0
.LBB71_29:                              ;   in Loop: Header=BB71_26 Depth=2
	s_andn2_b64 vcc, exec, s[36:37]
	s_cbranch_vccnz .LBB71_31
; %bb.30:                               ;   in Loop: Header=BB71_26 Depth=2
	s_add_i32 s41, s39, 1
	s_mov_b32 s40, s38
	s_mov_b32 s42, s34
.LBB71_31:                              ;   in Loop: Header=BB71_26 Depth=2
	s_mov_b64 s[36:37], 0
.LBB71_32:                              ;   in Loop: Header=BB71_26 Depth=2
	s_andn2_b64 vcc, exec, s[36:37]
	s_cbranch_vccnz .LBB71_34
; %bb.33:                               ;   in Loop: Header=BB71_26 Depth=2
	s_add_i32 s42, s34, 1
	s_mov_b32 s41, s39
	s_mov_b32 s40, s38
.LBB71_34:                              ;   in Loop: Header=BB71_26 Depth=2
	s_cmp_le_i32 s42, s31
	s_cselect_b64 s[36:37], -1, 0
	s_cmp_le_i32 s35, s30
	s_cselect_b64 s[34:35], -1, 0
	s_and_b64 s[34:35], s[36:37], s[34:35]
	s_and_b64 vcc, exec, s[34:35]
	s_cbranch_vccz .LBB71_36
; %bb.35:                               ;   in Loop: Header=BB71_26 Depth=2
	s_mov_b32 s38, s40
	s_mov_b32 s34, s42
	;; [unrolled: 1-line block ×3, first 2 shown]
	s_branch .LBB71_26
.LBB71_36:                              ;   in Loop: Header=BB71_10 Depth=1
	s_add_u32 s6, s10, s6
	s_addc_u32 s7, s11, s7
	s_waitcnt lgkmcnt(0)
.LBB71_37:                              ;   Parent Loop BB71_10 Depth=1
                                        ; =>  This Inner Loop Header: Depth=2
	global_load_dword v4, v0, s[6:7] sc1
	s_waitcnt vmcnt(0)
	v_cmp_eq_u32_e32 vcc, 0, v4
	s_cbranch_vccnz .LBB71_37
; %bb.38:                               ;   in Loop: Header=BB71_10 Depth=1
	buffer_inv sc1
	s_and_saveexec_b64 s[6:7], s[0:1]
	s_cbranch_execz .LBB71_51
; %bb.39:                               ;   in Loop: Header=BB71_10 Depth=1
	s_mul_i32 s41, s31, s44
	v_add_u32_e32 v4, s41, v12
	v_mul_lo_u32 v6, v4, s44
	s_mov_b64 s[30:31], 0
	v_mov_b32_e32 v7, v29
	v_mov_b32_e32 v8, v13
	s_branch .LBB71_41
.LBB71_40:                              ;   in Loop: Header=BB71_41 Depth=2
	s_or_b64 exec, exec, s[36:37]
	v_add_u32_e32 v8, 4, v8
	v_cmp_le_i32_e32 vcc, s44, v8
	s_waitcnt vmcnt(0)
	ds_write_b128 v7, v[14:17]
	s_or_b64 s[30:31], vcc, s[30:31]
	v_add_u32_e32 v7, 64, v7
	s_andn2_b64 exec, exec, s[30:31]
	s_cbranch_execz .LBB71_51
.LBB71_41:                              ;   Parent Loop BB71_10 Depth=1
                                        ; =>  This Inner Loop Header: Depth=2
	s_and_b64 vcc, exec, s[24:25]
	s_cbranch_vccz .LBB71_48
; %bb.42:                               ;   in Loop: Header=BB71_41 Depth=2
	s_mov_b64 s[36:37], 0
	s_mov_b64 s[34:35], 0
                                        ; implicit-def: $vgpr4
	s_and_saveexec_b64 s[38:39], s[2:3]
	s_xor_b64 s[38:39], exec, s[38:39]
; %bb.43:                               ;   in Loop: Header=BB71_41 Depth=2
	v_add_u32_e32 v4, s41, v8
	s_mov_b64 s[34:35], exec
	v_mad_u64_u32 v[4:5], s[42:43], v4, s44, v[12:13]
; %bb.44:                               ;   in Loop: Header=BB71_41 Depth=2
	s_or_b64 exec, exec, s[38:39]
	s_and_b64 vcc, exec, s[36:37]
	s_cbranch_vccz .LBB71_49
.LBB71_45:                              ;   in Loop: Header=BB71_41 Depth=2
                                        ; implicit-def: $vgpr4
	s_and_saveexec_b64 s[36:37], s[2:3]
; %bb.46:                               ;   in Loop: Header=BB71_41 Depth=2
	v_add_u32_e32 v4, v6, v8
	s_or_b64 s[34:35], s[34:35], exec
; %bb.47:                               ;   in Loop: Header=BB71_41 Depth=2
	s_or_b64 exec, exec, s[36:37]
	v_mov_b64_e32 v[14:15], 0
	v_mov_b64_e32 v[16:17], 0
	s_and_saveexec_b64 s[36:37], s[34:35]
	s_cbranch_execz .LBB71_40
	s_branch .LBB71_50
.LBB71_48:                              ;   in Loop: Header=BB71_41 Depth=2
	s_mov_b64 s[34:35], 0
                                        ; implicit-def: $vgpr4
	s_cbranch_execnz .LBB71_45
.LBB71_49:                              ;   in Loop: Header=BB71_41 Depth=2
	v_mov_b64_e32 v[14:15], 0
	v_mov_b64_e32 v[16:17], 0
	s_and_saveexec_b64 s[36:37], s[34:35]
	s_cbranch_execz .LBB71_40
.LBB71_50:                              ;   in Loop: Header=BB71_41 Depth=2
	v_ashrrev_i32_e32 v5, 31, v4
	v_lshl_add_u64 v[4:5], v[4:5], 4, s[22:23]
	global_load_dwordx4 v[14:17], v[4:5], off
	s_branch .LBB71_40
.LBB71_51:                              ;   in Loop: Header=BB71_10 Depth=1
	s_or_b64 exec, exec, s[6:7]
	s_cmp_lt_i32 s40, 2
	s_cbranch_scc1 .LBB71_67
; %bb.52:                               ;   in Loop: Header=BB71_10 Depth=1
	s_add_i32 s36, s40, -2
	s_mov_b32 s37, 0
	s_branch .LBB71_54
.LBB71_53:                              ;   in Loop: Header=BB71_54 Depth=2
	s_or_b64 exec, exec, s[6:7]
	s_add_i32 s6, s37, 1
	s_cmp_eq_u32 s37, s36
	s_mov_b32 s37, s6
	s_cbranch_scc1 .LBB71_67
.LBB71_54:                              ;   Parent Loop BB71_10 Depth=1
                                        ; =>  This Loop Header: Depth=2
                                        ;       Child Loop BB71_56 Depth 3
	s_and_saveexec_b64 s[6:7], s[0:1]
	s_cbranch_execz .LBB71_53
; %bb.55:                               ;   in Loop: Header=BB71_54 Depth=2
	s_lshl_b32 s30, s37, 2
	v_mov_b32_e32 v4, s30
	ds_read2st64_b32 v[4:5], v4 offset0:68 offset1:69
	s_mov_b64 s[30:31], 0
	v_mov_b32_e32 v41, v13
	s_waitcnt lgkmcnt(0)
	v_add_u32_e32 v37, v5, v28
	v_add_u32_e32 v38, v12, v5
	;; [unrolled: 1-line block ×4, first 2 shown]
.LBB71_56:                              ;   Parent Loop BB71_10 Depth=1
                                        ;     Parent Loop BB71_54 Depth=2
                                        ; =>    This Inner Loop Header: Depth=3
	v_mov_b64_e32 v[18:19], 0
	s_mov_b32 s38, 0
	v_mov_b32_e32 v14, v39
	v_mov_b32_e32 v16, v38
	v_mov_b64_e32 v[20:21], 0
	s_and_b64 vcc, exec, s[24:25]
	s_cbranch_vccnz .LBB71_59
	s_branch .LBB71_58
.LBB71_57:                              ;   in Loop: Header=BB71_56 Depth=3
	v_mov_b64_e32 v[18:19], v[4:5]
	v_mov_b64_e32 v[20:21], v[22:23]
	s_and_b64 vcc, exec, s[24:25]
	s_cbranch_vccnz .LBB71_59
.LBB71_58:                              ;   in Loop: Header=BB71_56 Depth=3
                                        ; implicit-def: $vgpr4_vgpr5
                                        ; implicit-def: $vgpr22_vgpr23
	s_cbranch_execz .LBB71_65
	s_branch .LBB71_62
.LBB71_59:                              ;   in Loop: Header=BB71_56 Depth=3
	v_ashrrev_i32_e32 v15, 31, v14
	v_lshl_add_u64 v[4:5], v[14:15], 4, s[22:23]
	global_load_dwordx4 v[4:7], v[4:5], off
	v_mov_b64_e32 v[8:9], 0
	v_mov_b64_e32 v[10:11], 0
	s_and_saveexec_b64 s[34:35], s[2:3]
	s_cbranch_execz .LBB71_61
; %bb.60:                               ;   in Loop: Header=BB71_56 Depth=3
	v_ashrrev_i32_e32 v17, 31, v16
	v_lshl_add_u64 v[8:9], v[16:17], 4, s[22:23]
	global_load_dwordx4 v[8:11], v[8:9], off
.LBB71_61:                              ;   in Loop: Header=BB71_56 Depth=3
	s_or_b64 exec, exec, s[34:35]
	s_waitcnt vmcnt(0)
	v_fma_f64 v[22:23], v[4:5], v[8:9], v[20:21]
	v_fmac_f64_e32 v[22:23], v[6:7], v[10:11]
	v_fma_f64 v[6:7], v[6:7], v[8:9], v[18:19]
	v_fma_f64 v[4:5], v[4:5], -v[10:11], v[6:7]
	s_branch .LBB71_65
.LBB71_62:                              ;   in Loop: Header=BB71_56 Depth=3
	v_add_u32_e32 v4, s38, v40
	v_ashrrev_i32_e32 v5, 31, v4
	v_lshl_add_u64 v[4:5], v[4:5], 4, s[22:23]
	global_load_dwordx4 v[4:7], v[4:5], off
	v_mov_b64_e32 v[8:9], 0
	v_mov_b64_e32 v[10:11], 0
	s_and_saveexec_b64 s[34:35], s[2:3]
	s_cbranch_execz .LBB71_64
; %bb.63:                               ;   in Loop: Header=BB71_56 Depth=3
	v_add_u32_e32 v8, s38, v37
	v_ashrrev_i32_e32 v9, 31, v8
	v_lshl_add_u64 v[8:9], v[8:9], 4, s[22:23]
	global_load_dwordx4 v[8:11], v[8:9], off
.LBB71_64:                              ;   in Loop: Header=BB71_56 Depth=3
	s_or_b64 exec, exec, s[34:35]
	s_waitcnt vmcnt(0)
	v_fmac_f64_e32 v[20:21], v[4:5], v[8:9]
	v_fmac_f64_e32 v[20:21], v[6:7], v[10:11]
	;; [unrolled: 1-line block ×3, first 2 shown]
	v_fma_f64 v[4:5], v[4:5], -v[10:11], v[18:19]
	v_mov_b64_e32 v[22:23], v[20:21]
.LBB71_65:                              ;   in Loop: Header=BB71_56 Depth=3
	s_add_i32 s38, s38, 1
	v_add_u32_e32 v16, s44, v16
	s_cmp_eq_u32 s44, s38
	v_add_u32_e32 v14, s44, v14
	s_cbranch_scc0 .LBB71_57
; %bb.66:                               ;   in Loop: Header=BB71_56 Depth=3
	v_lshl_add_u32 v10, v41, 4, v27
	ds_read_b128 v[6:9], v10
	v_add_u32_e32 v41, 4, v41
	v_cmp_le_i32_e32 vcc, s44, v41
	v_add_u32_e32 v39, 4, v39
	s_or_b64 s[30:31], vcc, s[30:31]
	s_waitcnt lgkmcnt(0)
	v_add_f64 v[6:7], v[22:23], v[6:7]
	v_add_f64 v[8:9], v[4:5], v[8:9]
	v_add_u32_e32 v40, s48, v40
	ds_write_b128 v10, v[6:9]
	s_andn2_b64 exec, exec, s[30:31]
	s_cbranch_execnz .LBB71_56
	s_branch .LBB71_53
.LBB71_67:                              ;   in Loop: Header=BB71_10 Depth=1
	s_andn2_b64 vcc, exec, s[26:27]
	s_waitcnt lgkmcnt(0)
	s_cbranch_vccnz .LBB71_79
; %bb.68:                               ;   in Loop: Header=BB71_10 Depth=1
	s_mov_b32 s34, 0
	v_mov_b32_e32 v21, s49
	v_mov_b32_e32 v18, v34
	s_mov_b32 s35, 0
	s_branch .LBB71_70
.LBB71_69:                              ;   in Loop: Header=BB71_70 Depth=2
	s_or_b64 exec, exec, s[6:7]
	s_add_i32 s35, s35, 1
	s_addk_i32 s34, 0x110
	s_cmp_eq_u32 s35, s44
	v_add_u32_e32 v18, 16, v18
	s_waitcnt lgkmcnt(0)
	s_cbranch_scc1 .LBB71_79
.LBB71_70:                              ;   Parent Loop BB71_10 Depth=1
                                        ; =>  This Loop Header: Depth=2
                                        ;       Child Loop BB71_75 Depth 3
                                        ;       Child Loop BB71_78 Depth 3
	s_lshl_b32 s6, s35, 4
	s_mul_i32 s7, s35, 0x110
	s_add_i32 s7, s7, s6
	v_mov_b32_e32 v4, s7
	ds_read_b128 v[8:11], v4
	v_add_u32_e32 v19, s6, v26
	ds_read_b128 v[4:7], v19
	s_waitcnt lgkmcnt(1)
	v_cmp_neq_f64_e32 vcc, 0, v[8:9]
	v_cmp_neq_f64_e64 s[6:7], 0, v[10:11]
	s_or_b64 vcc, vcc, s[6:7]
	v_cndmask_b32_e32 v15, v36, v9, vcc
	s_nor_b64 s[30:31], vcc, s[4:5]
	v_cndmask_b32_e32 v14, 0, v8, vcc
	v_cndmask_b32_e32 v17, 0, v11, vcc
	;; [unrolled: 1-line block ×3, first 2 shown]
	s_and_saveexec_b64 s[6:7], s[30:31]
	s_cbranch_execz .LBB71_74
; %bb.71:                               ;   in Loop: Header=BB71_70 Depth=2
	v_mbcnt_lo_u32_b32 v8, exec_lo, 0
	v_mbcnt_hi_u32_b32 v8, exec_hi, v8
	v_cmp_eq_u32_e32 vcc, 0, v8
	s_and_saveexec_b64 s[30:31], vcc
	s_cbranch_execz .LBB71_73
; %bb.72:                               ;   in Loop: Header=BB71_70 Depth=2
	global_atomic_smin v0, v21, s[14:15]
.LBB71_73:                              ;   in Loop: Header=BB71_70 Depth=2
	s_or_b64 exec, exec, s[30:31]
	v_mov_b64_e32 v[16:17], 0
	v_mov_b64_e32 v[14:15], 1.0
.LBB71_74:                              ;   in Loop: Header=BB71_70 Depth=2
	s_or_b64 exec, exec, s[6:7]
	v_lshl_add_u32 v8, s35, 4, v27
	ds_read_b128 v[8:11], v8
	s_cmp_eq_u32 s35, 0
	v_mov_b32_e32 v20, v26
	s_mov_b32 s6, s34
	s_mov_b32 s7, s35
	s_cbranch_scc1 .LBB71_76
.LBB71_75:                              ;   Parent Loop BB71_10 Depth=1
                                        ;     Parent Loop BB71_70 Depth=2
                                        ; =>    This Inner Loop Header: Depth=3
	v_mov_b32_e32 v22, s6
	ds_read_b128 v[38:41], v20
	ds_read_b128 v[42:45], v22
	s_add_i32 s7, s7, -1
	s_add_i32 s6, s6, 16
	v_add_u32_e32 v20, 16, v20
	s_cmp_eq_u32 s7, 0
	s_waitcnt lgkmcnt(0)
	v_fmac_f64_e32 v[8:9], v[42:43], v[38:39]
	v_fmac_f64_e32 v[10:11], v[44:45], v[38:39]
	;; [unrolled: 1-line block ×3, first 2 shown]
	v_fma_f64 v[10:11], v[42:43], -v[40:41], v[10:11]
	s_cbranch_scc0 .LBB71_75
.LBB71_76:                              ;   in Loop: Header=BB71_70 Depth=2
	v_mul_f64 v[22:23], v[16:17], v[16:17]
	v_fmac_f64_e32 v[22:23], v[14:15], v[14:15]
	v_div_scale_f64 v[38:39], s[6:7], v[22:23], v[22:23], 1.0
	v_rcp_f64_e32 v[40:41], v[38:39]
	s_waitcnt lgkmcnt(0)
	v_add_f64 v[8:9], v[4:5], -v[8:9]
	v_add_f64 v[6:7], v[6:7], -v[10:11]
	v_fma_f64 v[4:5], -v[38:39], v[40:41], 1.0
	v_fmac_f64_e32 v[40:41], v[40:41], v[4:5]
	v_fma_f64 v[4:5], -v[38:39], v[40:41], 1.0
	v_fmac_f64_e32 v[40:41], v[40:41], v[4:5]
	v_div_scale_f64 v[4:5], vcc, 1.0, v[22:23], 1.0
	v_mul_f64 v[10:11], v[4:5], v[40:41]
	v_fma_f64 v[4:5], -v[38:39], v[10:11], v[4:5]
	s_nop 1
	v_div_fmas_f64 v[4:5], v[4:5], v[40:41], v[10:11]
	v_div_fixup_f64 v[10:11], v[4:5], v[22:23], 1.0
	v_mul_f64 v[4:5], v[16:17], v[6:7]
	v_fmac_f64_e32 v[4:5], v[8:9], v[14:15]
	v_mul_f64 v[8:9], v[16:17], -v[8:9]
	v_fmac_f64_e32 v[8:9], v[6:7], v[14:15]
	v_mul_f64 v[4:5], v[10:11], v[4:5]
	v_mul_f64 v[6:7], v[10:11], v[8:9]
	ds_write_b128 v19, v[4:7]
	s_waitcnt lgkmcnt(0)
	s_and_saveexec_b64 s[6:7], s[0:1]
	s_cbranch_execz .LBB71_69
; %bb.77:                               ;   in Loop: Header=BB71_70 Depth=2
	s_mov_b64 s[30:31], 0
	v_mov_b32_e32 v8, v18
	v_mov_b32_e32 v9, v33
	;; [unrolled: 1-line block ×3, first 2 shown]
.LBB71_78:                              ;   Parent Loop BB71_10 Depth=1
                                        ;     Parent Loop BB71_70 Depth=2
                                        ; =>    This Inner Loop Header: Depth=3
	ds_read_b128 v[14:17], v8
	ds_read_b128 v[38:41], v9
	v_add_u32_e32 v10, 4, v10
	v_cmp_le_i32_e32 vcc, s44, v10
	s_or_b64 s[30:31], vcc, s[30:31]
	v_add_u32_e32 v8, 0x440, v8
	s_waitcnt lgkmcnt(0)
	v_fmac_f64_e32 v[38:39], v[4:5], v[14:15]
	v_fmac_f64_e32 v[40:41], v[6:7], v[14:15]
	;; [unrolled: 1-line block ×3, first 2 shown]
	v_fma_f64 v[40:41], v[4:5], -v[16:17], v[40:41]
	ds_write_b128 v9, v[38:41]
	v_add_u32_e32 v9, 64, v9
	s_andn2_b64 exec, exec, s[30:31]
	s_cbranch_execnz .LBB71_78
	s_branch .LBB71_69
.LBB71_79:                              ;   in Loop: Header=BB71_10 Depth=1
	s_and_saveexec_b64 s[6:7], s[0:1]
	s_cbranch_execz .LBB71_9
; %bb.80:                               ;   in Loop: Header=BB71_10 Depth=1
	s_mov_b64 s[30:31], 0
	v_mov_b32_e32 v6, v35
	v_mov_b32_e32 v7, v13
	s_branch .LBB71_84
.LBB71_81:                              ;   in Loop: Header=BB71_84 Depth=2
	v_add_u32_e32 v4, v32, v7
.LBB71_82:                              ;   in Loop: Header=BB71_84 Depth=2
	ds_read2_b64 v[8:11], v6 offset1:1
	v_ashrrev_i32_e32 v5, 31, v4
	v_lshl_add_u64 v[4:5], v[4:5], 4, s[22:23]
	s_waitcnt lgkmcnt(0)
	global_store_dwordx4 v[4:5], v[8:11], off
.LBB71_83:                              ;   in Loop: Header=BB71_84 Depth=2
	s_or_b64 exec, exec, s[34:35]
	v_add_u32_e32 v7, 4, v7
	v_cmp_le_i32_e32 vcc, s44, v7
	s_or_b64 s[30:31], vcc, s[30:31]
	v_add_u32_e32 v6, 64, v6
	s_andn2_b64 exec, exec, s[30:31]
	s_cbranch_execz .LBB71_9
.LBB71_84:                              ;   Parent Loop BB71_10 Depth=1
                                        ; =>  This Inner Loop Header: Depth=2
	s_and_saveexec_b64 s[34:35], s[2:3]
	s_cbranch_execz .LBB71_83
; %bb.85:                               ;   in Loop: Header=BB71_84 Depth=2
	s_and_b64 vcc, exec, s[24:25]
	s_cbranch_vccz .LBB71_87
; %bb.86:                               ;   in Loop: Header=BB71_84 Depth=2
	v_add_u32_e32 v4, s29, v7
	v_mad_u64_u32 v[4:5], s[36:37], v4, s44, v[12:13]
	s_cbranch_execnz .LBB71_82
	s_branch .LBB71_81
.LBB71_87:                              ;   in Loop: Header=BB71_84 Depth=2
                                        ; implicit-def: $vgpr4
	s_branch .LBB71_81
.LBB71_88:                              ;   in Loop: Header=BB71_10 Depth=1
                                        ; implicit-def: $sgpr28
                                        ; implicit-def: $vgpr32
	s_cbranch_execz .LBB71_10
.LBB71_89:
	v_cmp_gt_i32_e64 s[0:1], s44, v13
	s_and_saveexec_b64 s[4:5], s[0:1]
	s_cbranch_execz .LBB71_102
; %bb.90:
	s_mul_i32 s26, s33, s44
	v_add_u32_e32 v0, s26, v12
	s_cmp_lg_u32 s45, 0
	v_mul_lo_u32 v2, v0, s44
	v_mul_u32_u24_e32 v0, 0x110, v12
	s_movk_i32 s8, 0x2200
	s_cselect_b64 s[6:7], -1, 0
	v_cmp_gt_i32_e64 s[2:3], s44, v12
	v_add3_u32 v3, v0, v24, s8
	s_mov_b64 s[8:9], 0
	v_mov_b32_e32 v4, v13
	s_branch .LBB71_92
.LBB71_91:                              ;   in Loop: Header=BB71_92 Depth=1
	s_or_b64 exec, exec, s[18:19]
	v_add_u32_e32 v4, 4, v4
	v_cmp_le_i32_e32 vcc, s44, v4
	s_waitcnt vmcnt(0)
	ds_write_b128 v3, v[6:9]
	s_or_b64 s[8:9], vcc, s[8:9]
	v_add_u32_e32 v3, 64, v3
	s_andn2_b64 exec, exec, s[8:9]
	s_cbranch_execz .LBB71_102
.LBB71_92:                              ; =>This Inner Loop Header: Depth=1
	s_and_b64 vcc, exec, s[6:7]
	s_cbranch_vccz .LBB71_99
; %bb.93:                               ;   in Loop: Header=BB71_92 Depth=1
	s_mov_b64 s[18:19], 0
	s_mov_b64 s[16:17], 0
                                        ; implicit-def: $vgpr0
	s_and_saveexec_b64 s[24:25], s[2:3]
	s_xor_b64 s[24:25], exec, s[24:25]
; %bb.94:                               ;   in Loop: Header=BB71_92 Depth=1
	v_add_u32_e32 v0, s26, v4
	s_mov_b64 s[16:17], exec
	v_mad_u64_u32 v[0:1], s[28:29], v0, s44, v[12:13]
; %bb.95:                               ;   in Loop: Header=BB71_92 Depth=1
	s_or_b64 exec, exec, s[24:25]
	s_and_b64 vcc, exec, s[18:19]
	s_cbranch_vccz .LBB71_100
.LBB71_96:                              ;   in Loop: Header=BB71_92 Depth=1
                                        ; implicit-def: $vgpr0
	s_and_saveexec_b64 s[18:19], s[2:3]
; %bb.97:                               ;   in Loop: Header=BB71_92 Depth=1
	v_add_u32_e32 v0, v2, v4
	s_or_b64 s[16:17], s[16:17], exec
; %bb.98:                               ;   in Loop: Header=BB71_92 Depth=1
	s_or_b64 exec, exec, s[18:19]
	v_mov_b64_e32 v[6:7], 0
	v_mov_b64_e32 v[8:9], 0
	s_and_saveexec_b64 s[18:19], s[16:17]
	s_cbranch_execz .LBB71_91
	s_branch .LBB71_101
.LBB71_99:                              ;   in Loop: Header=BB71_92 Depth=1
	s_mov_b64 s[16:17], 0
                                        ; implicit-def: $vgpr0
	s_cbranch_execnz .LBB71_96
.LBB71_100:                             ;   in Loop: Header=BB71_92 Depth=1
	v_mov_b64_e32 v[6:7], 0
	v_mov_b64_e32 v[8:9], 0
	s_and_saveexec_b64 s[18:19], s[16:17]
	s_cbranch_execz .LBB71_91
.LBB71_101:                             ;   in Loop: Header=BB71_92 Depth=1
	v_ashrrev_i32_e32 v1, 31, v0
	v_lshl_add_u64 v[0:1], v[0:1], 4, s[22:23]
	global_load_dwordx4 v[6:9], v[0:1], off
	s_branch .LBB71_91
.LBB71_102:
	s_or_b64 exec, exec, s[4:5]
	s_cmp_lt_i32 s44, 1
	s_waitcnt lgkmcnt(0)
	s_cbranch_scc1 .LBB71_121
; %bb.103:
	v_or_b32_e32 v2, v13, v12
	s_movk_i32 s4, 0x110
	v_mov_b32_e32 v0, 0x2200
	v_mul_u32_u24_e32 v1, 0x110, v12
	v_cmp_ne_u32_e64 s[2:3], 0, v2
	s_movk_i32 s6, 0x3300
	v_mov_b32_e32 v2, 0x3300
	v_mad_u32_u24 v10, v12, s4, v0
	s_add_i32 s5, s20, s21
	v_mad_u32_u24 v11, v12, s4, v2
	v_add3_u32 v16, v1, v24, s6
	s_mov_b32 s6, 0
	s_mov_b32 s18, 0
	v_add_u32_e32 v14, v10, v25
	v_add_u32_e32 v15, v11, v25
	v_mad_u32_u24 v17, v13, s4, v0
	s_brev_b32 s7, 8
	v_mov_b32_e32 v18, 0x260
	v_mov_b32_e32 v2, 0
	;; [unrolled: 1-line block ×6, first 2 shown]
	s_branch .LBB71_105
.LBB71_104:                             ;   in Loop: Header=BB71_105 Depth=1
	s_or_b64 exec, exec, s[4:5]
	s_add_i32 s18, s18, 1
	s_cmp_eq_u32 s18, s44
	v_add_u32_e32 v17, 16, v17
	s_waitcnt lgkmcnt(0)
	s_cbranch_scc1 .LBB71_121
.LBB71_105:                             ; =>This Loop Header: Depth=1
                                        ;     Child Loop BB71_120 Depth 2
	v_cmp_eq_u32_e32 vcc, s18, v12
	s_and_saveexec_b64 s[4:5], vcc
	s_cbranch_execz .LBB71_113
; %bb.106:                              ;   in Loop: Header=BB71_105 Depth=1
	ds_read_b128 v[4:7], v15
	ds_read_b128 v[26:29], v14
	s_waitcnt lgkmcnt(0)
	v_add_f64 v[0:1], v[26:27], -v[4:5]
	v_add_f64 v[8:9], v[28:29], -v[6:7]
	v_xor_b32_e32 v3, 0x80000000, v1
	v_cmp_gt_f64_e32 vcc, 0, v[0:1]
	v_xor_b32_e32 v4, 0x80000000, v9
                                        ; implicit-def: $vgpr6_vgpr7
	s_nop 0
	v_cndmask_b32_e32 v1, v1, v3, vcc
	v_cmp_gt_f64_e32 vcc, 0, v[8:9]
	s_nop 1
	v_cndmask_b32_e32 v5, v9, v4, vcc
	v_mov_b32_e32 v4, v8
	v_cmp_ngt_f64_e32 vcc, v[0:1], v[4:5]
	s_and_saveexec_b64 s[8:9], vcc
	s_xor_b64 s[8:9], exec, s[8:9]
	s_cbranch_execz .LBB71_110
; %bb.107:                              ;   in Loop: Header=BB71_105 Depth=1
	v_mov_b64_e32 v[6:7], 0
	v_cmp_neq_f64_e32 vcc, 0, v[8:9]
	s_and_saveexec_b64 s[16:17], vcc
	s_cbranch_execz .LBB71_109
; %bb.108:                              ;   in Loop: Header=BB71_105 Depth=1
	v_div_scale_f64 v[6:7], s[24:25], v[4:5], v[4:5], v[0:1]
	v_rcp_f64_e32 v[8:9], v[6:7]
	v_div_scale_f64 v[26:27], vcc, v[0:1], v[4:5], v[0:1]
	v_fma_f64 v[28:29], -v[6:7], v[8:9], 1.0
	v_fmac_f64_e32 v[8:9], v[8:9], v[28:29]
	v_fma_f64 v[28:29], -v[6:7], v[8:9], 1.0
	v_fmac_f64_e32 v[8:9], v[8:9], v[28:29]
	v_mul_f64 v[28:29], v[26:27], v[8:9]
	v_fma_f64 v[6:7], -v[6:7], v[28:29], v[26:27]
	v_div_fmas_f64 v[6:7], v[6:7], v[8:9], v[28:29]
	v_div_fixup_f64 v[0:1], v[6:7], v[4:5], v[0:1]
	v_fma_f64 v[0:1], v[0:1], v[0:1], 1.0
	v_cmp_gt_f64_e32 vcc, s[6:7], v[0:1]
	s_nop 1
	v_cndmask_b32_e32 v3, 0, v20, vcc
	v_ldexp_f64 v[0:1], v[0:1], v3
	v_rsq_f64_e32 v[6:7], v[0:1]
	v_cndmask_b32_e32 v3, 0, v21, vcc
	v_cmp_class_f64_e32 vcc, v[0:1], v18
	v_mul_f64 v[8:9], v[0:1], v[6:7]
	v_mul_f64 v[6:7], v[6:7], 0.5
	v_fma_f64 v[26:27], -v[6:7], v[8:9], 0.5
	v_fmac_f64_e32 v[8:9], v[8:9], v[26:27]
	v_fma_f64 v[28:29], -v[8:9], v[8:9], v[0:1]
	v_fmac_f64_e32 v[6:7], v[6:7], v[26:27]
	v_fmac_f64_e32 v[8:9], v[28:29], v[6:7]
	v_fma_f64 v[26:27], -v[8:9], v[8:9], v[0:1]
	v_fmac_f64_e32 v[8:9], v[26:27], v[6:7]
	v_ldexp_f64 v[6:7], v[8:9], v3
	v_cndmask_b32_e32 v1, v7, v1, vcc
	v_cndmask_b32_e32 v0, v6, v0, vcc
	v_mul_f64 v[6:7], v[4:5], v[0:1]
.LBB71_109:                             ;   in Loop: Header=BB71_105 Depth=1
	s_or_b64 exec, exec, s[16:17]
                                        ; implicit-def: $vgpr0_vgpr1
                                        ; implicit-def: $vgpr4_vgpr5
.LBB71_110:                             ;   in Loop: Header=BB71_105 Depth=1
	s_andn2_saveexec_b64 s[8:9], s[8:9]
	s_cbranch_execz .LBB71_112
; %bb.111:                              ;   in Loop: Header=BB71_105 Depth=1
	v_div_scale_f64 v[6:7], s[16:17], v[0:1], v[0:1], v[4:5]
	v_rcp_f64_e32 v[8:9], v[6:7]
	v_div_scale_f64 v[26:27], vcc, v[4:5], v[0:1], v[4:5]
	v_fma_f64 v[28:29], -v[6:7], v[8:9], 1.0
	v_fmac_f64_e32 v[8:9], v[8:9], v[28:29]
	v_fma_f64 v[28:29], -v[6:7], v[8:9], 1.0
	v_fmac_f64_e32 v[8:9], v[8:9], v[28:29]
	v_mul_f64 v[28:29], v[26:27], v[8:9]
	v_fma_f64 v[6:7], -v[6:7], v[28:29], v[26:27]
	v_div_fmas_f64 v[6:7], v[6:7], v[8:9], v[28:29]
	v_div_fixup_f64 v[4:5], v[6:7], v[0:1], v[4:5]
	v_fma_f64 v[4:5], v[4:5], v[4:5], 1.0
	v_cmp_gt_f64_e32 vcc, s[6:7], v[4:5]
	s_nop 1
	v_cndmask_b32_e32 v3, 0, v20, vcc
	v_ldexp_f64 v[4:5], v[4:5], v3
	v_rsq_f64_e32 v[6:7], v[4:5]
	v_cndmask_b32_e32 v3, 0, v21, vcc
	v_cmp_class_f64_e32 vcc, v[4:5], v18
	v_mul_f64 v[8:9], v[4:5], v[6:7]
	v_mul_f64 v[6:7], v[6:7], 0.5
	v_fma_f64 v[26:27], -v[6:7], v[8:9], 0.5
	v_fmac_f64_e32 v[8:9], v[8:9], v[26:27]
	v_fma_f64 v[28:29], -v[8:9], v[8:9], v[4:5]
	v_fmac_f64_e32 v[6:7], v[6:7], v[26:27]
	v_fmac_f64_e32 v[8:9], v[28:29], v[6:7]
	v_fma_f64 v[26:27], -v[8:9], v[8:9], v[4:5]
	v_fmac_f64_e32 v[8:9], v[26:27], v[6:7]
	v_ldexp_f64 v[6:7], v[8:9], v3
	v_cndmask_b32_e32 v5, v7, v5, vcc
	v_cndmask_b32_e32 v4, v6, v4, vcc
	v_mul_f64 v[6:7], v[0:1], v[4:5]
.LBB71_112:                             ;   in Loop: Header=BB71_105 Depth=1
	s_or_b64 exec, exec, s[8:9]
	v_cmp_gt_f64_e32 vcc, s[6:7], v[6:7]
	s_nop 1
	v_cndmask_b32_e32 v0, 0, v20, vcc
	v_ldexp_f64 v[0:1], v[6:7], v0
	v_rsq_f64_e32 v[4:5], v[0:1]
	v_cndmask_b32_e32 v3, 0, v21, vcc
	v_cmp_class_f64_e32 vcc, v[0:1], v18
	v_mul_f64 v[6:7], v[0:1], v[4:5]
	v_mul_f64 v[4:5], v[4:5], 0.5
	v_fma_f64 v[8:9], -v[4:5], v[6:7], 0.5
	v_fmac_f64_e32 v[6:7], v[6:7], v[8:9]
	v_fmac_f64_e32 v[4:5], v[4:5], v[8:9]
	v_fma_f64 v[8:9], -v[6:7], v[6:7], v[0:1]
	v_fmac_f64_e32 v[6:7], v[8:9], v[4:5]
	v_fma_f64 v[8:9], -v[6:7], v[6:7], v[0:1]
	v_fmac_f64_e32 v[6:7], v[8:9], v[4:5]
	v_ldexp_f64 v[4:5], v[6:7], v3
	v_cndmask_b32_e32 v1, v5, v1, vcc
	v_cndmask_b32_e32 v0, v4, v0, vcc
	v_mov_b32_e32 v3, v2
	ds_write_b128 v14, v[0:3]
.LBB71_113:                             ;   in Loop: Header=BB71_105 Depth=1
	s_or_b64 exec, exec, s[4:5]
	s_lshl_b32 s4, s18, 4
	s_mul_i32 s5, s18, 0x110
	s_add_i32 s5, s5, s4
	v_mov_b32_e32 v0, s5
	s_waitcnt lgkmcnt(0)
	ds_read_b128 v[26:29], v0 offset:8704
	v_add_u32_e32 v3, s4, v10
	ds_read_b128 v[4:7], v3
	s_waitcnt lgkmcnt(1)
	v_cmp_neq_f64_e32 vcc, 0, v[26:27]
	v_cmp_neq_f64_e64 s[4:5], 0, v[28:29]
	s_or_b64 vcc, vcc, s[4:5]
	v_cndmask_b32_e32 v1, 0, v29, vcc
	s_nor_b64 s[8:9], vcc, s[2:3]
	v_cndmask_b32_e32 v0, 0, v28, vcc
	v_cndmask_b32_e32 v9, v19, v27, vcc
	;; [unrolled: 1-line block ×3, first 2 shown]
	s_and_saveexec_b64 s[4:5], s[8:9]
	s_cbranch_execz .LBB71_117
; %bb.114:                              ;   in Loop: Header=BB71_105 Depth=1
	v_mbcnt_lo_u32_b32 v0, exec_lo, 0
	v_mbcnt_hi_u32_b32 v0, exec_hi, v0
	v_cmp_eq_u32_e32 vcc, 0, v0
	s_and_saveexec_b64 s[8:9], vcc
	s_cbranch_execz .LBB71_116
; %bb.115:                              ;   in Loop: Header=BB71_105 Depth=1
	global_atomic_smin v2, v22, s[14:15]
.LBB71_116:                             ;   in Loop: Header=BB71_105 Depth=1
	s_or_b64 exec, exec, s[8:9]
	v_mov_b64_e32 v[8:9], 1.0
	v_mov_b64_e32 v[0:1], 0
.LBB71_117:                             ;   in Loop: Header=BB71_105 Depth=1
	s_or_b64 exec, exec, s[4:5]
	v_cmp_lt_u32_e32 vcc, s18, v12
	s_and_saveexec_b64 s[4:5], vcc
	s_cbranch_execz .LBB71_104
; %bb.118:                              ;   in Loop: Header=BB71_105 Depth=1
	v_mul_f64 v[30:31], v[0:1], v[0:1]
	v_lshl_add_u32 v23, s18, 4, v11
	v_fmac_f64_e32 v[30:31], v[8:9], v[8:9]
	ds_read_b128 v[26:29], v23
	v_div_scale_f64 v[32:33], s[8:9], v[30:31], v[30:31], 1.0
	v_rcp_f64_e32 v[34:35], v[32:33]
	s_waitcnt lgkmcnt(0)
	v_add_f64 v[26:27], v[4:5], -v[26:27]
	v_add_f64 v[6:7], v[6:7], -v[28:29]
	v_fma_f64 v[4:5], -v[32:33], v[34:35], 1.0
	v_fmac_f64_e32 v[34:35], v[34:35], v[4:5]
	v_fma_f64 v[4:5], -v[32:33], v[34:35], 1.0
	v_fmac_f64_e32 v[34:35], v[34:35], v[4:5]
	v_div_scale_f64 v[4:5], vcc, 1.0, v[30:31], 1.0
	v_mul_f64 v[28:29], v[4:5], v[34:35]
	v_fma_f64 v[4:5], -v[32:33], v[28:29], v[4:5]
	s_nop 1
	v_div_fmas_f64 v[4:5], v[4:5], v[34:35], v[28:29]
	v_div_fixup_f64 v[28:29], v[4:5], v[30:31], 1.0
	v_mul_f64 v[4:5], v[0:1], v[6:7]
	v_mul_f64 v[0:1], v[0:1], -v[26:27]
	v_fmac_f64_e32 v[4:5], v[26:27], v[8:9]
	v_fmac_f64_e32 v[0:1], v[6:7], v[8:9]
	v_mul_f64 v[4:5], v[28:29], v[4:5]
	v_mul_f64 v[6:7], v[28:29], v[0:1]
	ds_write_b128 v3, v[4:7]
	s_waitcnt lgkmcnt(0)
	s_and_b64 exec, exec, s[0:1]
	s_cbranch_execz .LBB71_104
; %bb.119:                              ;   in Loop: Header=BB71_105 Depth=1
	s_mov_b64 s[8:9], 0
	v_mov_b32_e32 v0, v17
	v_mov_b32_e32 v1, v16
	;; [unrolled: 1-line block ×3, first 2 shown]
.LBB71_120:                             ;   Parent Loop BB71_105 Depth=1
                                        ; =>  This Inner Loop Header: Depth=2
	ds_read_b128 v[26:29], v0
	ds_read_b128 v[30:33], v1
	v_add_u32_e32 v3, 4, v3
	v_cmp_le_i32_e32 vcc, s44, v3
	s_or_b64 s[8:9], vcc, s[8:9]
	v_add_u32_e32 v0, 0x440, v0
	s_waitcnt lgkmcnt(0)
	v_fmac_f64_e32 v[30:31], v[4:5], v[26:27]
	v_fmac_f64_e32 v[32:33], v[6:7], v[26:27]
	;; [unrolled: 1-line block ×3, first 2 shown]
	v_fma_f64 v[32:33], v[4:5], -v[28:29], v[32:33]
	ds_write_b128 v1, v[30:33]
	v_add_u32_e32 v1, 64, v1
	s_andn2_b64 exec, exec, s[8:9]
	s_cbranch_execnz .LBB71_120
	s_branch .LBB71_104
.LBB71_121:
	s_and_saveexec_b64 s[2:3], s[0:1]
	s_cbranch_execz .LBB71_130
; %bb.122:
	s_mul_i32 s33, s33, s44
	v_add_u32_e32 v0, s33, v12
	s_cmp_lg_u32 s45, 0
	v_mul_lo_u32 v2, v0, s44
	v_mul_u32_u24_e32 v0, 0x110, v12
	s_movk_i32 s6, 0x2200
	v_cmp_gt_i32_e64 s[0:1], s44, v12
	s_cselect_b64 s[4:5], -1, 0
	v_add3_u32 v3, v0, v24, s6
	s_mov_b64 s[6:7], 0
	v_mov_b32_e32 v4, v13
	s_branch .LBB71_126
.LBB71_123:                             ;   in Loop: Header=BB71_126 Depth=1
	v_add_u32_e32 v0, v2, v4
.LBB71_124:                             ;   in Loop: Header=BB71_126 Depth=1
	ds_read2_b64 v[6:9], v3 offset1:1
	v_ashrrev_i32_e32 v1, 31, v0
	v_lshl_add_u64 v[0:1], v[0:1], 4, s[22:23]
	s_waitcnt lgkmcnt(0)
	global_store_dwordx4 v[0:1], v[6:9], off
.LBB71_125:                             ;   in Loop: Header=BB71_126 Depth=1
	s_or_b64 exec, exec, s[8:9]
	v_add_u32_e32 v4, 4, v4
	v_cmp_le_i32_e32 vcc, s44, v4
	s_or_b64 s[6:7], vcc, s[6:7]
	v_add_u32_e32 v3, 64, v3
	s_andn2_b64 exec, exec, s[6:7]
	s_cbranch_execz .LBB71_130
.LBB71_126:                             ; =>This Inner Loop Header: Depth=1
	s_and_saveexec_b64 s[8:9], s[0:1]
	s_cbranch_execz .LBB71_125
; %bb.127:                              ;   in Loop: Header=BB71_126 Depth=1
	s_and_b64 vcc, exec, s[4:5]
	s_cbranch_vccz .LBB71_129
; %bb.128:                              ;   in Loop: Header=BB71_126 Depth=1
	v_add_u32_e32 v0, s33, v4
	v_mad_u64_u32 v[0:1], s[16:17], v0, s44, v[12:13]
	s_cbranch_execnz .LBB71_124
	s_branch .LBB71_123
.LBB71_129:                             ;   in Loop: Header=BB71_126 Depth=1
                                        ; implicit-def: $vgpr0
	s_branch .LBB71_123
.LBB71_130:
	s_or_b64 exec, exec, s[2:3]
	v_or_b32_e32 v0, v13, v12
	v_cmp_eq_u32_e32 vcc, 0, v0
	s_and_saveexec_b64 s[0:1], vcc
	s_cbranch_execz .LBB71_132
; %bb.131:
	s_add_u32 s2, s10, s12
	s_addc_u32 s3, s11, s13
	v_mov_b32_e32 v0, 0
	v_mov_b32_e32 v1, 1
	buffer_wbl2 sc1
	s_waitcnt vmcnt(0)
	global_store_dword v0, v1, s[2:3] sc1
.LBB71_132:
	s_or_b64 exec, exec, s[0:1]
.LBB71_133:
	s_endpgm
.LBB71_134:
	s_cbranch_execz .LBB71_133
; %bb.135:
	v_or_b32_e32 v0, v13, v12
	v_cmp_eq_u32_e32 vcc, 0, v0
	s_and_saveexec_b64 s[0:1], vcc
	s_cbranch_execz .LBB71_133
; %bb.136:
	v_mbcnt_lo_u32_b32 v0, exec_lo, 0
	v_mbcnt_hi_u32_b32 v0, exec_hi, v0
	v_cmp_eq_u32_e32 vcc, 0, v0
	s_and_saveexec_b64 s[0:1], vcc
	s_cbranch_execz .LBB71_138
; %bb.137:
	s_add_i32 s2, s20, s21
	v_mov_b32_e32 v0, 0
	v_mov_b32_e32 v1, s2
	global_atomic_smin v0, v1, s[14:15]
.LBB71_138:
	s_or_b64 exec, exec, s[0:1]
	s_add_u32 s0, s10, s12
	s_addc_u32 s1, s11, s13
	v_mov_b32_e32 v0, 0
	v_mov_b32_e32 v1, 1
	buffer_wbl2 sc1
	s_waitcnt vmcnt(0)
	global_store_dword v0, v1, s[0:1] sc1
	s_endpgm
	.section	.rodata,"a",@progbits
	.p2align	6, 0x0
	.amdhsa_kernel _ZN9rocsparseL18bsric0_9_16_kernelILi64ELi64ELi16E21rocsparse_complex_numIdEEEv20rocsparse_direction_iiPKiS5_PT2_S5_PiS5_S8_21rocsparse_index_base_
		.amdhsa_group_segment_fixed_size 18176
		.amdhsa_private_segment_fixed_size 0
		.amdhsa_kernarg_size 76
		.amdhsa_user_sgpr_count 2
		.amdhsa_user_sgpr_dispatch_ptr 0
		.amdhsa_user_sgpr_queue_ptr 0
		.amdhsa_user_sgpr_kernarg_segment_ptr 1
		.amdhsa_user_sgpr_dispatch_id 0
		.amdhsa_user_sgpr_kernarg_preload_length 0
		.amdhsa_user_sgpr_kernarg_preload_offset 0
		.amdhsa_user_sgpr_private_segment_size 0
		.amdhsa_uses_dynamic_stack 0
		.amdhsa_enable_private_segment 0
		.amdhsa_system_sgpr_workgroup_id_x 1
		.amdhsa_system_sgpr_workgroup_id_y 0
		.amdhsa_system_sgpr_workgroup_id_z 0
		.amdhsa_system_sgpr_workgroup_info 0
		.amdhsa_system_vgpr_workitem_id 1
		.amdhsa_next_free_vgpr 129
		.amdhsa_next_free_sgpr 96
		.amdhsa_accum_offset 48
		.amdhsa_reserve_vcc 1
		.amdhsa_float_round_mode_32 0
		.amdhsa_float_round_mode_16_64 0
		.amdhsa_float_denorm_mode_32 3
		.amdhsa_float_denorm_mode_16_64 3
		.amdhsa_dx10_clamp 1
		.amdhsa_ieee_mode 1
		.amdhsa_fp16_overflow 0
		.amdhsa_tg_split 0
		.amdhsa_exception_fp_ieee_invalid_op 0
		.amdhsa_exception_fp_denorm_src 0
		.amdhsa_exception_fp_ieee_div_zero 0
		.amdhsa_exception_fp_ieee_overflow 0
		.amdhsa_exception_fp_ieee_underflow 0
		.amdhsa_exception_fp_ieee_inexact 0
		.amdhsa_exception_int_div_zero 0
	.end_amdhsa_kernel
	.section	.text._ZN9rocsparseL18bsric0_9_16_kernelILi64ELi64ELi16E21rocsparse_complex_numIdEEEv20rocsparse_direction_iiPKiS5_PT2_S5_PiS5_S8_21rocsparse_index_base_,"axG",@progbits,_ZN9rocsparseL18bsric0_9_16_kernelILi64ELi64ELi16E21rocsparse_complex_numIdEEEv20rocsparse_direction_iiPKiS5_PT2_S5_PiS5_S8_21rocsparse_index_base_,comdat
.Lfunc_end71:
	.size	_ZN9rocsparseL18bsric0_9_16_kernelILi64ELi64ELi16E21rocsparse_complex_numIdEEEv20rocsparse_direction_iiPKiS5_PT2_S5_PiS5_S8_21rocsparse_index_base_, .Lfunc_end71-_ZN9rocsparseL18bsric0_9_16_kernelILi64ELi64ELi16E21rocsparse_complex_numIdEEEv20rocsparse_direction_iiPKiS5_PT2_S5_PiS5_S8_21rocsparse_index_base_
                                        ; -- End function
	.set _ZN9rocsparseL18bsric0_9_16_kernelILi64ELi64ELi16E21rocsparse_complex_numIdEEEv20rocsparse_direction_iiPKiS5_PT2_S5_PiS5_S8_21rocsparse_index_base_.num_vgpr, 46
	.set _ZN9rocsparseL18bsric0_9_16_kernelILi64ELi64ELi16E21rocsparse_complex_numIdEEEv20rocsparse_direction_iiPKiS5_PT2_S5_PiS5_S8_21rocsparse_index_base_.num_agpr, 0
	.set _ZN9rocsparseL18bsric0_9_16_kernelILi64ELi64ELi16E21rocsparse_complex_numIdEEEv20rocsparse_direction_iiPKiS5_PT2_S5_PiS5_S8_21rocsparse_index_base_.numbered_sgpr, 54
	.set _ZN9rocsparseL18bsric0_9_16_kernelILi64ELi64ELi16E21rocsparse_complex_numIdEEEv20rocsparse_direction_iiPKiS5_PT2_S5_PiS5_S8_21rocsparse_index_base_.num_named_barrier, 0
	.set _ZN9rocsparseL18bsric0_9_16_kernelILi64ELi64ELi16E21rocsparse_complex_numIdEEEv20rocsparse_direction_iiPKiS5_PT2_S5_PiS5_S8_21rocsparse_index_base_.private_seg_size, 0
	.set _ZN9rocsparseL18bsric0_9_16_kernelILi64ELi64ELi16E21rocsparse_complex_numIdEEEv20rocsparse_direction_iiPKiS5_PT2_S5_PiS5_S8_21rocsparse_index_base_.uses_vcc, 1
	.set _ZN9rocsparseL18bsric0_9_16_kernelILi64ELi64ELi16E21rocsparse_complex_numIdEEEv20rocsparse_direction_iiPKiS5_PT2_S5_PiS5_S8_21rocsparse_index_base_.uses_flat_scratch, 0
	.set _ZN9rocsparseL18bsric0_9_16_kernelILi64ELi64ELi16E21rocsparse_complex_numIdEEEv20rocsparse_direction_iiPKiS5_PT2_S5_PiS5_S8_21rocsparse_index_base_.has_dyn_sized_stack, 0
	.set _ZN9rocsparseL18bsric0_9_16_kernelILi64ELi64ELi16E21rocsparse_complex_numIdEEEv20rocsparse_direction_iiPKiS5_PT2_S5_PiS5_S8_21rocsparse_index_base_.has_recursion, 0
	.set _ZN9rocsparseL18bsric0_9_16_kernelILi64ELi64ELi16E21rocsparse_complex_numIdEEEv20rocsparse_direction_iiPKiS5_PT2_S5_PiS5_S8_21rocsparse_index_base_.has_indirect_call, 0
	.section	.AMDGPU.csdata,"",@progbits
; Kernel info:
; codeLenInByte = 4476
; TotalNumSgprs: 60
; NumVgprs: 46
; NumAgprs: 0
; TotalNumVgprs: 46
; ScratchSize: 0
; MemoryBound: 1
; FloatMode: 240
; IeeeMode: 1
; LDSByteSize: 18176 bytes/workgroup (compile time only)
; SGPRBlocks: 12
; VGPRBlocks: 16
; NumSGPRsForWavesPerEU: 102
; NumVGPRsForWavesPerEU: 129
; AccumOffset: 48
; Occupancy: 3
; WaveLimiterHint : 1
; COMPUTE_PGM_RSRC2:SCRATCH_EN: 0
; COMPUTE_PGM_RSRC2:USER_SGPR: 2
; COMPUTE_PGM_RSRC2:TRAP_HANDLER: 0
; COMPUTE_PGM_RSRC2:TGID_X_EN: 1
; COMPUTE_PGM_RSRC2:TGID_Y_EN: 0
; COMPUTE_PGM_RSRC2:TGID_Z_EN: 0
; COMPUTE_PGM_RSRC2:TIDIG_COMP_CNT: 1
; COMPUTE_PGM_RSRC3_GFX90A:ACCUM_OFFSET: 11
; COMPUTE_PGM_RSRC3_GFX90A:TG_SPLIT: 0
	.section	.text._ZN9rocsparseL19bsric0_17_32_kernelILi64ELi64ELi32E21rocsparse_complex_numIdEEEv20rocsparse_direction_iiPKiS5_PT2_S5_PiS5_S8_21rocsparse_index_base_,"axG",@progbits,_ZN9rocsparseL19bsric0_17_32_kernelILi64ELi64ELi32E21rocsparse_complex_numIdEEEv20rocsparse_direction_iiPKiS5_PT2_S5_PiS5_S8_21rocsparse_index_base_,comdat
	.globl	_ZN9rocsparseL19bsric0_17_32_kernelILi64ELi64ELi32E21rocsparse_complex_numIdEEEv20rocsparse_direction_iiPKiS5_PT2_S5_PiS5_S8_21rocsparse_index_base_ ; -- Begin function _ZN9rocsparseL19bsric0_17_32_kernelILi64ELi64ELi32E21rocsparse_complex_numIdEEEv20rocsparse_direction_iiPKiS5_PT2_S5_PiS5_S8_21rocsparse_index_base_
	.p2align	8
	.type	_ZN9rocsparseL19bsric0_17_32_kernelILi64ELi64ELi32E21rocsparse_complex_numIdEEEv20rocsparse_direction_iiPKiS5_PT2_S5_PiS5_S8_21rocsparse_index_base_,@function
_ZN9rocsparseL19bsric0_17_32_kernelILi64ELi64ELi32E21rocsparse_complex_numIdEEEv20rocsparse_direction_iiPKiS5_PT2_S5_PiS5_S8_21rocsparse_index_base_: ; @_ZN9rocsparseL19bsric0_17_32_kernelILi64ELi64ELi32E21rocsparse_complex_numIdEEEv20rocsparse_direction_iiPKiS5_PT2_S5_PiS5_S8_21rocsparse_index_base_
; %bb.0:
	s_load_dwordx8 s[8:15], s[0:1], 0x28
	s_mov_b32 s3, 0
	s_lshl_b64 s[2:3], s[2:3], 2
	v_and_b32_e32 v13, 0x3ff, v0
	v_bfe_u32 v12, v0, 10, 10
	s_waitcnt lgkmcnt(0)
	s_add_u32 s2, s12, s2
	s_addc_u32 s3, s13, s3
	s_load_dword s20, s[2:3], 0x0
	s_waitcnt lgkmcnt(0)
	s_ashr_i32 s21, s20, 31
	s_lshl_b64 s[12:13], s[20:21], 2
	s_add_u32 s2, s8, s12
	s_addc_u32 s3, s9, s13
	s_load_dword s33, s[2:3], 0x0
	s_load_dword s21, s[0:1], 0x48
	s_waitcnt lgkmcnt(0)
	s_cmp_lg_u32 s33, -1
	s_cbranch_scc0 .LBB72_124
; %bb.1:
	s_load_dwordx4 s[16:19], s[0:1], 0x10
	s_load_dwordx2 s[22:23], s[0:1], 0x20
	v_lshlrev_b32_e32 v0, 1, v12
	s_waitcnt lgkmcnt(0)
	s_add_u32 s2, s16, s12
	s_addc_u32 s3, s17, s13
	s_load_dword s2, s[2:3], 0x0
	s_waitcnt lgkmcnt(0)
	s_sub_i32 s48, s2, s21
	v_add3_u32 v0, v0, v13, s48
	v_cmp_ge_i32_e32 vcc, s33, v0
	s_and_saveexec_b64 s[2:3], vcc
	s_cbranch_execz .LBB72_4
; %bb.2:
	v_lshlrev_b32_e32 v1, 3, v12
	v_lshlrev_b32_e32 v2, 2, v13
	s_mov_b32 s4, 0xc800
	v_add3_u32 v2, v1, v2, s4
	s_mov_b64 s[4:5], 0
.LBB72_3:                               ; =>This Inner Loop Header: Depth=1
	v_ashrrev_i32_e32 v1, 31, v0
	v_lshl_add_u64 v[4:5], v[0:1], 2, s[18:19]
	global_load_dword v1, v[4:5], off
	v_add_u32_e32 v0, 64, v0
	v_cmp_lt_i32_e32 vcc, s33, v0
	s_or_b64 s[4:5], vcc, s[4:5]
	s_waitcnt vmcnt(0)
	v_subrev_u32_e32 v1, s21, v1
	ds_write_b32 v2, v1
	v_add_u32_e32 v2, 0x100, v2
	s_andn2_b64 exec, exec, s[4:5]
	s_cbranch_execnz .LBB72_3
.LBB72_4:
	s_or_b64 exec, exec, s[2:3]
	v_cmp_gt_u32_e32 vcc, 32, v13
	v_lshlrev_b32_e32 v24, 4, v13
	s_and_saveexec_b64 s[2:3], vcc
	s_cbranch_execz .LBB72_7
; %bb.5:
	v_mul_u32_u24_e32 v1, 0x210, v12
	s_mov_b32 s4, 0x8400
	v_mov_b32_e32 v2, 0
	v_add_u32_e32 v0, -2, v13
	v_add3_u32 v1, v1, v24, s4
	s_mov_b64 s[4:5], 0
	v_mov_b32_e32 v3, v2
	v_mov_b32_e32 v4, v2
	v_mov_b32_e32 v5, v2
.LBB72_6:                               ; =>This Inner Loop Header: Depth=1
	v_add_u32_e32 v0, 2, v0
	v_cmp_lt_u32_e32 vcc, 29, v0
	ds_write_b128 v1, v[2:5]
	s_or_b64 s[4:5], vcc, s[4:5]
	v_add_u32_e32 v1, 32, v1
	s_andn2_b64 exec, exec, s[4:5]
	s_cbranch_execnz .LBB72_6
.LBB72_7:
	s_or_b64 exec, exec, s[2:3]
	s_load_dword s46, s[0:1], 0x8
	s_load_dword s47, s[0:1], 0x0
	s_cmp_ge_i32 s48, s33
	s_waitcnt lgkmcnt(0)
	v_cmp_gt_i32_e64 s[0:1], s46, v13
	s_cbranch_scc1 .LBB72_79
; %bb.8:
	s_cmp_eq_u32 s47, 0
	s_cselect_b64 s[24:25], -1, 0
	s_cmp_lg_u32 s47, 0
	s_movk_i32 s6, 0x210
	v_mov_b32_e32 v0, 0x4200
	v_or_b32_e32 v1, v13, v12
	s_mul_i32 s7, s46, s48
	s_cselect_b64 s[26:27], -1, 0
	v_mad_u32_u24 v26, v12, s6, v0
	s_cmp_gt_i32 s46, 0
	v_cmp_ne_u32_e64 s[4:5], 0, v1
	v_mad_u32_u24 v28, v12, s6, v24
	v_add_u32_e32 v1, s7, v12
	v_mad_u32_u24 v32, v13, s6, v0
	v_mov_b32_e32 v0, 0
	s_mul_i32 s49, s46, s46
	v_cmp_gt_i32_e64 s[2:3], s46, v12
	v_mul_u32_u24_e32 v25, 0x210, v12
	v_mul_lo_u32 v27, s46, v12
	s_cselect_b64 s[28:29], -1, 0
	v_mul_lo_u32 v30, s46, v1
	v_mul_lo_u32 v29, v13, s46
	s_lshl_b32 s50, s46, 1
	v_add_u32_e32 v31, 0x8400, v28
	v_add_u32_e32 v33, 0x4200, v28
	v_mov_b32_e32 v1, v0
	v_mov_b32_e32 v2, v0
	;; [unrolled: 1-line block ×4, first 2 shown]
	s_mov_b32 s30, s48
	s_branch .LBB72_10
.LBB72_9:                               ;   in Loop: Header=BB72_10 Depth=1
	s_or_b64 exec, exec, s[6:7]
	s_add_i32 s30, s30, 1
	s_cmp_ge_i32 s30, s33
	buffer_wbl2 sc1
	s_waitcnt vmcnt(0)
	buffer_inv sc1
	v_add_u32_e32 v30, s49, v30
	s_cselect_b64 s[6:7], -1, 0
	s_and_b64 vcc, exec, s[6:7]
	s_cbranch_vccnz .LBB72_79
.LBB72_10:                              ; =>This Loop Header: Depth=1
                                        ;     Child Loop BB72_14 Depth 2
                                        ;     Child Loop BB72_26 Depth 2
	;; [unrolled: 1-line block ×4, first 2 shown]
                                        ;       Child Loop BB72_43 Depth 3
                                        ;         Child Loop BB72_48 Depth 4
                                        ;     Child Loop BB72_57 Depth 2
                                        ;       Child Loop BB72_64 Depth 3
                                        ;       Child Loop BB72_68 Depth 3
                                        ;     Child Loop BB72_73 Depth 2
	s_ashr_i32 s31, s30, 31
	s_lshl_b64 s[6:7], s[30:31], 2
	s_add_u32 s6, s18, s6
	s_addc_u32 s7, s19, s7
	s_load_dword s51, s[6:7], 0x0
	s_waitcnt lgkmcnt(0)
	s_sub_i32 s34, s51, s21
	s_ashr_i32 s35, s34, 31
	s_lshl_b64 s[6:7], s[34:35], 2
	s_add_u32 s36, s8, s6
	s_addc_u32 s37, s9, s7
	s_load_dword s52, s[36:37], 0x0
	s_waitcnt lgkmcnt(0)
	s_cmp_eq_u32 s52, -1
	s_cbranch_scc1 .LBB72_78
; %bb.11:                               ;   in Loop: Header=BB72_10 Depth=1
	s_add_u32 s36, s16, s6
	s_addc_u32 s37, s17, s7
	s_load_dword s35, s[36:37], 0x0
	s_mul_i32 s31, s30, s46
	s_and_saveexec_b64 s[36:37], s[0:1]
	s_cbranch_execz .LBB72_24
; %bb.12:                               ;   in Loop: Header=BB72_10 Depth=1
	s_mov_b64 s[38:39], 0
	v_mov_b32_e32 v6, v28
	v_mov_b32_e32 v7, v13
	s_branch .LBB72_14
.LBB72_13:                              ;   in Loop: Header=BB72_14 Depth=2
	s_or_b64 exec, exec, s[42:43]
	v_add_u32_e32 v7, 2, v7
	v_cmp_le_i32_e32 vcc, s46, v7
	s_waitcnt vmcnt(0)
	ds_write_b128 v6, v[8:11] offset:16896
	ds_write_b128 v6, v[0:3]
	s_or_b64 s[38:39], vcc, s[38:39]
	v_add_u32_e32 v6, 32, v6
	s_andn2_b64 exec, exec, s[38:39]
	s_cbranch_execz .LBB72_24
.LBB72_14:                              ;   Parent Loop BB72_10 Depth=1
                                        ; =>  This Inner Loop Header: Depth=2
	s_mov_b64 s[42:43], -1
	s_and_b64 vcc, exec, s[26:27]
	s_mov_b64 s[40:41], 0
                                        ; implicit-def: $vgpr4
	s_cbranch_vccz .LBB72_19
; %bb.15:                               ;   in Loop: Header=BB72_14 Depth=2
	s_mov_b64 s[42:43], 0
                                        ; implicit-def: $vgpr4
	s_and_saveexec_b64 s[44:45], s[2:3]
	s_xor_b64 s[44:45], exec, s[44:45]
; %bb.16:                               ;   in Loop: Header=BB72_14 Depth=2
	v_add_u32_e32 v4, s31, v7
	s_mov_b64 s[40:41], exec
	v_mad_u64_u32 v[4:5], s[54:55], v4, s46, v[12:13]
; %bb.17:                               ;   in Loop: Header=BB72_14 Depth=2
	s_or_b64 exec, exec, s[44:45]
	s_and_b64 vcc, exec, s[42:43]
	s_cbranch_vccnz .LBB72_20
.LBB72_18:                              ;   in Loop: Header=BB72_14 Depth=2
	v_mov_b64_e32 v[8:9], 0
	v_mov_b64_e32 v[10:11], 0
	s_and_saveexec_b64 s[42:43], s[40:41]
	s_cbranch_execz .LBB72_13
	s_branch .LBB72_23
.LBB72_19:                              ;   in Loop: Header=BB72_14 Depth=2
	s_and_b64 vcc, exec, s[42:43]
	s_cbranch_vccz .LBB72_18
.LBB72_20:                              ;   in Loop: Header=BB72_14 Depth=2
                                        ; implicit-def: $vgpr4
	s_and_saveexec_b64 s[42:43], s[2:3]
; %bb.21:                               ;   in Loop: Header=BB72_14 Depth=2
	v_add_u32_e32 v4, v30, v7
	s_or_b64 s[40:41], s[40:41], exec
; %bb.22:                               ;   in Loop: Header=BB72_14 Depth=2
	s_or_b64 exec, exec, s[42:43]
	v_mov_b64_e32 v[8:9], 0
	v_mov_b64_e32 v[10:11], 0
	s_and_saveexec_b64 s[42:43], s[40:41]
	s_cbranch_execz .LBB72_13
.LBB72_23:                              ;   in Loop: Header=BB72_14 Depth=2
	v_ashrrev_i32_e32 v5, 31, v4
	v_lshl_add_u64 v[4:5], v[4:5], 4, s[22:23]
	global_load_dwordx4 v[8:11], v[4:5], off
	s_branch .LBB72_13
.LBB72_24:                              ;   in Loop: Header=BB72_10 Depth=1
	s_or_b64 exec, exec, s[36:37]
	ds_read_b32 v4, v0 offset:51200
	s_waitcnt lgkmcnt(0)
	s_sub_i32 s36, s35, s21
	s_cmp_le_i32 s36, s52
	s_cselect_b64 s[38:39], -1, 0
	s_mov_b32 s37, 0
	v_cmp_ge_i32_e32 vcc, s34, v4
	s_and_b64 s[38:39], s[38:39], vcc
	s_andn2_b64 vcc, exec, s[38:39]
	s_cbranch_vccnz .LBB72_36
; %bb.25:                               ;   in Loop: Header=BB72_10 Depth=1
	s_mov_b32 s35, 0
	s_mov_b32 s40, 0
.LBB72_26:                              ;   Parent Loop BB72_10 Depth=1
                                        ; =>  This Inner Loop Header: Depth=2
	s_ashr_i32 s37, s36, 31
	s_lshl_b64 s[38:39], s[36:37], 2
	s_add_u32 s38, s18, s38
	s_addc_u32 s39, s19, s39
	s_load_dword s37, s[38:39], 0x0
	s_lshl_b32 s38, s40, 2
	v_mov_b32_e32 v4, s38
	ds_read_b32 v4, v4 offset:51200
	s_mov_b64 s[38:39], -1
	s_waitcnt lgkmcnt(0)
	s_sub_i32 s44, s37, s21
                                        ; implicit-def: $sgpr37
                                        ; implicit-def: $sgpr43
                                        ; implicit-def: $sgpr42
	v_cmp_ge_i32_e32 vcc, s44, v4
	v_readfirstlane_b32 s41, v4
	s_cbranch_vccz .LBB72_32
; %bb.27:                               ;   in Loop: Header=BB72_26 Depth=2
	s_cmp_le_i32 s44, s41
                                        ; implicit-def: $sgpr37
                                        ; implicit-def: $sgpr43
                                        ; implicit-def: $sgpr42
	s_cbranch_scc0 .LBB72_29
; %bb.28:                               ;   in Loop: Header=BB72_26 Depth=2
	s_add_i32 s37, s40, s48
	s_mul_i32 s37, s37, s49
	s_lshl_b32 s38, s35, 2
	v_mov_b32_e32 v5, s37
	s_mul_i32 s37, s36, s49
	v_mov_b32_e32 v4, s38
	v_mov_b32_e32 v6, s37
	ds_write2st64_b32 v4, v6, v5 offset0:198 offset1:199
	s_add_i32 s42, s40, 1
	s_add_i32 s43, s36, 1
	;; [unrolled: 1-line block ×3, first 2 shown]
	s_mov_b64 s[38:39], 0
.LBB72_29:                              ;   in Loop: Header=BB72_26 Depth=2
	s_andn2_b64 vcc, exec, s[38:39]
	s_cbranch_vccnz .LBB72_31
; %bb.30:                               ;   in Loop: Header=BB72_26 Depth=2
	s_add_i32 s42, s40, 1
	s_mov_b32 s37, s35
	s_mov_b32 s43, s36
.LBB72_31:                              ;   in Loop: Header=BB72_26 Depth=2
	s_mov_b64 s[38:39], 0
.LBB72_32:                              ;   in Loop: Header=BB72_26 Depth=2
	s_andn2_b64 vcc, exec, s[38:39]
	s_cbranch_vccnz .LBB72_34
; %bb.33:                               ;   in Loop: Header=BB72_26 Depth=2
	s_add_i32 s43, s36, 1
	s_mov_b32 s42, s40
	s_mov_b32 s37, s35
.LBB72_34:                              ;   in Loop: Header=BB72_26 Depth=2
	s_cmp_le_i32 s43, s52
	s_cselect_b64 s[38:39], -1, 0
	s_cmp_le_i32 s41, s34
	s_cselect_b64 s[40:41], -1, 0
	s_and_b64 s[38:39], s[38:39], s[40:41]
	s_and_b64 vcc, exec, s[38:39]
	s_cbranch_vccz .LBB72_36
; %bb.35:                               ;   in Loop: Header=BB72_26 Depth=2
	s_mov_b32 s35, s37
	s_mov_b32 s36, s43
	;; [unrolled: 1-line block ×3, first 2 shown]
	s_branch .LBB72_26
.LBB72_36:                              ;   in Loop: Header=BB72_10 Depth=1
	s_add_u32 s6, s10, s6
	s_addc_u32 s7, s11, s7
	s_waitcnt lgkmcnt(0)
.LBB72_37:                              ;   Parent Loop BB72_10 Depth=1
                                        ; =>  This Inner Loop Header: Depth=2
	global_load_dword v4, v0, s[6:7] sc1
	s_waitcnt vmcnt(0)
	v_cmp_eq_u32_e32 vcc, 0, v4
	s_cbranch_vccnz .LBB72_37
; %bb.38:                               ;   in Loop: Header=BB72_10 Depth=1
	s_cmp_lt_i32 s37, 2
	buffer_inv sc1
	s_cbranch_scc1 .LBB72_54
; %bb.39:                               ;   in Loop: Header=BB72_10 Depth=1
	s_add_i32 s38, s37, -2
	s_mov_b32 s39, 0
	s_branch .LBB72_41
.LBB72_40:                              ;   in Loop: Header=BB72_41 Depth=2
	s_or_b64 exec, exec, s[6:7]
	s_add_i32 s6, s39, 1
	s_cmp_eq_u32 s39, s38
	s_mov_b32 s39, s6
	s_cbranch_scc1 .LBB72_54
.LBB72_41:                              ;   Parent Loop BB72_10 Depth=1
                                        ; =>  This Loop Header: Depth=2
                                        ;       Child Loop BB72_43 Depth 3
                                        ;         Child Loop BB72_48 Depth 4
	s_and_saveexec_b64 s[6:7], s[0:1]
	s_cbranch_execz .LBB72_40
; %bb.42:                               ;   in Loop: Header=BB72_41 Depth=2
	s_lshl_b32 s34, s39, 2
	v_mov_b32_e32 v4, s34
	ds_read2st64_b32 v[4:5], v4 offset0:198 offset1:199
	s_mov_b64 s[34:35], 0
	v_mov_b32_e32 v39, v13
	s_waitcnt lgkmcnt(0)
	v_add_u32_e32 v35, v5, v27
	v_add_u32_e32 v36, v12, v5
	;; [unrolled: 1-line block ×4, first 2 shown]
.LBB72_43:                              ;   Parent Loop BB72_10 Depth=1
                                        ;     Parent Loop BB72_41 Depth=2
                                        ; =>    This Loop Header: Depth=3
                                        ;         Child Loop BB72_48 Depth 4
	v_mov_b64_e32 v[18:19], 0
	s_mov_b32 s40, 0
	v_mov_b32_e32 v14, v37
	v_mov_b32_e32 v16, v36
	v_mov_b64_e32 v[20:21], 0
	s_mov_b64 s[36:37], -1
	s_and_b64 vcc, exec, s[26:27]
                                        ; implicit-def: $vgpr4_vgpr5
                                        ; implicit-def: $vgpr22_vgpr23
	s_cbranch_vccz .LBB72_48
	s_branch .LBB72_45
.LBB72_44:                              ;   in Loop: Header=BB72_48 Depth=4
	v_mov_b64_e32 v[18:19], v[4:5]
	v_mov_b64_e32 v[20:21], v[22:23]
	s_mov_b64 s[36:37], -1
	s_and_b64 vcc, exec, s[26:27]
                                        ; implicit-def: $vgpr4_vgpr5
                                        ; implicit-def: $vgpr22_vgpr23
	s_cbranch_vccz .LBB72_48
.LBB72_45:                              ;   in Loop: Header=BB72_43 Depth=3
	v_ashrrev_i32_e32 v15, 31, v14
	v_lshl_add_u64 v[4:5], v[14:15], 4, s[22:23]
	global_load_dwordx4 v[4:7], v[4:5], off
	v_mov_b64_e32 v[8:9], 0
	v_mov_b64_e32 v[10:11], 0
	s_and_saveexec_b64 s[36:37], s[2:3]
	s_cbranch_execz .LBB72_47
; %bb.46:                               ;   in Loop: Header=BB72_43 Depth=3
	v_ashrrev_i32_e32 v17, 31, v16
	v_lshl_add_u64 v[8:9], v[16:17], 4, s[22:23]
	global_load_dwordx4 v[8:11], v[8:9], off
.LBB72_47:                              ;   in Loop: Header=BB72_43 Depth=3
	s_or_b64 exec, exec, s[36:37]
	s_waitcnt vmcnt(0)
	v_fma_f64 v[22:23], v[4:5], v[8:9], v[20:21]
	v_fmac_f64_e32 v[22:23], v[6:7], v[10:11]
	v_fma_f64 v[6:7], v[6:7], v[8:9], v[18:19]
	v_fma_f64 v[4:5], v[4:5], -v[10:11], v[6:7]
	s_mov_b64 s[36:37], 0
.LBB72_48:                              ;   Parent Loop BB72_10 Depth=1
                                        ;     Parent Loop BB72_41 Depth=2
                                        ;       Parent Loop BB72_43 Depth=3
                                        ; =>      This Inner Loop Header: Depth=4
	s_and_b64 vcc, exec, s[36:37]
	s_cbranch_vccz .LBB72_52
; %bb.49:                               ;   in Loop: Header=BB72_48 Depth=4
	v_add_u32_e32 v4, s40, v38
	v_ashrrev_i32_e32 v5, 31, v4
	v_lshl_add_u64 v[4:5], v[4:5], 4, s[22:23]
	global_load_dwordx4 v[4:7], v[4:5], off
	v_mov_b64_e32 v[8:9], 0
	v_mov_b64_e32 v[10:11], 0
	s_and_saveexec_b64 s[36:37], s[2:3]
	s_cbranch_execz .LBB72_51
; %bb.50:                               ;   in Loop: Header=BB72_48 Depth=4
	v_add_u32_e32 v8, s40, v35
	v_ashrrev_i32_e32 v9, 31, v8
	v_lshl_add_u64 v[8:9], v[8:9], 4, s[22:23]
	global_load_dwordx4 v[8:11], v[8:9], off
.LBB72_51:                              ;   in Loop: Header=BB72_48 Depth=4
	s_or_b64 exec, exec, s[36:37]
	s_waitcnt vmcnt(0)
	v_fmac_f64_e32 v[20:21], v[4:5], v[8:9]
	v_fmac_f64_e32 v[20:21], v[6:7], v[10:11]
	v_fmac_f64_e32 v[18:19], v[6:7], v[8:9]
	v_fma_f64 v[4:5], v[4:5], -v[10:11], v[18:19]
	v_mov_b64_e32 v[22:23], v[20:21]
.LBB72_52:                              ;   in Loop: Header=BB72_48 Depth=4
	s_add_i32 s40, s40, 1
	v_add_u32_e32 v16, s46, v16
	s_cmp_eq_u32 s46, s40
	v_add_u32_e32 v14, s46, v14
	s_cbranch_scc0 .LBB72_44
; %bb.53:                               ;   in Loop: Header=BB72_43 Depth=3
	v_lshl_add_u32 v10, v39, 4, v25
	ds_read_b128 v[6:9], v10
	v_add_u32_e32 v39, 2, v39
	v_cmp_le_i32_e32 vcc, s46, v39
	v_add_u32_e32 v37, 2, v37
	s_or_b64 s[34:35], vcc, s[34:35]
	s_waitcnt lgkmcnt(0)
	v_add_f64 v[6:7], v[22:23], v[6:7]
	v_add_f64 v[8:9], v[4:5], v[8:9]
	v_add_u32_e32 v38, s50, v38
	ds_write_b128 v10, v[6:9]
	s_andn2_b64 exec, exec, s[34:35]
	s_cbranch_execnz .LBB72_43
	s_branch .LBB72_40
.LBB72_54:                              ;   in Loop: Header=BB72_10 Depth=1
	s_andn2_b64 vcc, exec, s[28:29]
	s_waitcnt lgkmcnt(0)
	s_cbranch_vccnz .LBB72_69
; %bb.55:                               ;   in Loop: Header=BB72_10 Depth=1
	s_mul_i32 s36, s49, s52
	s_mov_b32 s37, 0
	v_mov_b32_e32 v21, s51
	v_mov_b32_e32 v18, v32
	s_mov_b32 s38, s36
	s_branch .LBB72_57
.LBB72_56:                              ;   in Loop: Header=BB72_57 Depth=2
	s_or_b64 exec, exec, s[6:7]
	s_add_i32 s37, s37, 1
	s_add_i32 s38, s38, 1
	s_cmp_eq_u32 s37, s46
	v_add_u32_e32 v18, 16, v18
	s_waitcnt lgkmcnt(0)
	s_cbranch_scc1 .LBB72_69
.LBB72_57:                              ;   Parent Loop BB72_10 Depth=1
                                        ; =>  This Loop Header: Depth=2
                                        ;       Child Loop BB72_64 Depth 3
                                        ;       Child Loop BB72_68 Depth 3
	s_mul_i32 s39, s37, s46
	s_add_i32 s39, s39, s36
	s_add_i32 s6, s39, s37
	s_ashr_i32 s7, s6, 31
	s_lshl_b64 s[6:7], s[6:7], 4
	s_add_u32 s6, s22, s6
	s_addc_u32 s7, s23, s7
	global_load_dwordx4 v[8:11], v0, s[6:7]
	v_lshl_add_u32 v19, s37, 4, v26
	ds_read_b128 v[4:7], v19
	s_waitcnt vmcnt(0)
	v_cmp_neq_f64_e32 vcc, 0, v[8:9]
	v_cmp_neq_f64_e64 s[6:7], 0, v[10:11]
	s_or_b64 vcc, vcc, s[6:7]
	v_cndmask_b32_e32 v15, v34, v9, vcc
	s_nor_b64 s[34:35], vcc, s[4:5]
	v_cndmask_b32_e32 v14, 0, v8, vcc
	v_cndmask_b32_e32 v17, 0, v11, vcc
	;; [unrolled: 1-line block ×3, first 2 shown]
	s_and_saveexec_b64 s[6:7], s[34:35]
	s_cbranch_execz .LBB72_61
; %bb.58:                               ;   in Loop: Header=BB72_57 Depth=2
	v_mbcnt_lo_u32_b32 v8, exec_lo, 0
	v_mbcnt_hi_u32_b32 v8, exec_hi, v8
	v_cmp_eq_u32_e32 vcc, 0, v8
	s_and_saveexec_b64 s[34:35], vcc
	s_cbranch_execz .LBB72_60
; %bb.59:                               ;   in Loop: Header=BB72_57 Depth=2
	global_atomic_smin v0, v21, s[14:15]
.LBB72_60:                              ;   in Loop: Header=BB72_57 Depth=2
	s_or_b64 exec, exec, s[34:35]
	v_mov_b64_e32 v[16:17], 0
	v_mov_b64_e32 v[14:15], 1.0
.LBB72_61:                              ;   in Loop: Header=BB72_57 Depth=2
	s_or_b64 exec, exec, s[6:7]
	v_lshl_add_u32 v8, s37, 4, v25
	ds_read_b128 v[8:11], v8
	s_cmp_eq_u32 s37, 0
	s_cbranch_scc1 .LBB72_66
; %bb.62:                               ;   in Loop: Header=BB72_57 Depth=2
	s_mov_b32 s34, 0
	s_mov_b32 s35, s37
	;; [unrolled: 1-line block ×3, first 2 shown]
	v_mov_b32_e32 v20, v26
	s_branch .LBB72_64
.LBB72_63:                              ;   in Loop: Header=BB72_64 Depth=3
	s_ashr_i32 s7, s6, 31
	s_lshl_b64 s[6:7], s[6:7], 4
	s_add_u32 s6, s22, s6
	s_addc_u32 s7, s23, s7
	global_load_dwordx4 v[36:39], v0, s[6:7]
	ds_read_b128 v[40:43], v20
	s_add_i32 s34, s34, 1
	s_add_i32 s40, s40, s46
	s_add_i32 s35, s35, -1
	s_cmp_eq_u32 s35, 0
	v_add_u32_e32 v20, 16, v20
	s_waitcnt vmcnt(0) lgkmcnt(0)
	v_fmac_f64_e32 v[8:9], v[36:37], v[40:41]
	v_fmac_f64_e32 v[10:11], v[38:39], v[40:41]
	;; [unrolled: 1-line block ×3, first 2 shown]
	v_fma_f64 v[10:11], v[36:37], -v[42:43], v[10:11]
	s_cbranch_scc1 .LBB72_66
.LBB72_64:                              ;   Parent Loop BB72_10 Depth=1
                                        ;     Parent Loop BB72_57 Depth=2
                                        ; =>    This Inner Loop Header: Depth=3
	s_andn2_b64 vcc, exec, s[24:25]
	s_mov_b32 s6, s40
	s_cbranch_vccnz .LBB72_63
; %bb.65:                               ;   in Loop: Header=BB72_64 Depth=3
	s_add_i32 s6, s34, s39
	s_branch .LBB72_63
.LBB72_66:                              ;   in Loop: Header=BB72_57 Depth=2
	v_mul_f64 v[22:23], v[16:17], v[16:17]
	v_fmac_f64_e32 v[22:23], v[14:15], v[14:15]
	v_div_scale_f64 v[36:37], s[6:7], v[22:23], v[22:23], 1.0
	v_rcp_f64_e32 v[38:39], v[36:37]
	s_waitcnt lgkmcnt(0)
	v_add_f64 v[8:9], v[4:5], -v[8:9]
	v_add_f64 v[6:7], v[6:7], -v[10:11]
	v_fma_f64 v[4:5], -v[36:37], v[38:39], 1.0
	v_fmac_f64_e32 v[38:39], v[38:39], v[4:5]
	v_fma_f64 v[4:5], -v[36:37], v[38:39], 1.0
	v_fmac_f64_e32 v[38:39], v[38:39], v[4:5]
	v_div_scale_f64 v[4:5], vcc, 1.0, v[22:23], 1.0
	v_mul_f64 v[10:11], v[4:5], v[38:39]
	v_fma_f64 v[4:5], -v[36:37], v[10:11], v[4:5]
	s_nop 1
	v_div_fmas_f64 v[4:5], v[4:5], v[38:39], v[10:11]
	v_div_fixup_f64 v[10:11], v[4:5], v[22:23], 1.0
	v_mul_f64 v[4:5], v[16:17], v[6:7]
	v_fmac_f64_e32 v[4:5], v[8:9], v[14:15]
	v_mul_f64 v[8:9], v[16:17], -v[8:9]
	v_fmac_f64_e32 v[8:9], v[6:7], v[14:15]
	v_mul_f64 v[4:5], v[10:11], v[4:5]
	v_mul_f64 v[6:7], v[10:11], v[8:9]
	ds_write_b128 v19, v[4:7]
	s_waitcnt lgkmcnt(0)
	s_and_saveexec_b64 s[6:7], s[0:1]
	s_cbranch_execz .LBB72_56
; %bb.67:                               ;   in Loop: Header=BB72_57 Depth=2
	s_mov_b64 s[34:35], 0
	v_mov_b32_e32 v8, v18
	v_mov_b32_e32 v9, v31
	;; [unrolled: 1-line block ×3, first 2 shown]
.LBB72_68:                              ;   Parent Loop BB72_10 Depth=1
                                        ;     Parent Loop BB72_57 Depth=2
                                        ; =>    This Inner Loop Header: Depth=3
	ds_read_b128 v[14:17], v8
	ds_read_b128 v[36:39], v9
	v_add_u32_e32 v10, 2, v10
	v_cmp_le_i32_e32 vcc, s46, v10
	s_or_b64 s[34:35], vcc, s[34:35]
	v_add_u32_e32 v8, 0x420, v8
	s_waitcnt lgkmcnt(0)
	v_fmac_f64_e32 v[36:37], v[4:5], v[14:15]
	v_fmac_f64_e32 v[38:39], v[6:7], v[14:15]
	;; [unrolled: 1-line block ×3, first 2 shown]
	v_fma_f64 v[38:39], v[4:5], -v[16:17], v[38:39]
	ds_write_b128 v9, v[36:39]
	v_add_u32_e32 v9, 32, v9
	s_andn2_b64 exec, exec, s[34:35]
	s_cbranch_execnz .LBB72_68
	s_branch .LBB72_56
.LBB72_69:                              ;   in Loop: Header=BB72_10 Depth=1
	s_and_saveexec_b64 s[6:7], s[0:1]
	s_cbranch_execz .LBB72_9
; %bb.70:                               ;   in Loop: Header=BB72_10 Depth=1
	s_mov_b64 s[34:35], 0
	v_mov_b32_e32 v6, v33
	v_mov_b32_e32 v7, v13
	s_branch .LBB72_73
.LBB72_71:                              ;   in Loop: Header=BB72_73 Depth=2
	ds_read2_b64 v[8:11], v6 offset1:1
	v_ashrrev_i32_e32 v5, 31, v4
	v_lshl_add_u64 v[4:5], v[4:5], 4, s[22:23]
	s_waitcnt lgkmcnt(0)
	global_store_dwordx4 v[4:5], v[8:11], off
.LBB72_72:                              ;   in Loop: Header=BB72_73 Depth=2
	s_or_b64 exec, exec, s[36:37]
	v_add_u32_e32 v7, 2, v7
	v_cmp_le_i32_e32 vcc, s46, v7
	s_or_b64 s[34:35], vcc, s[34:35]
	v_add_u32_e32 v6, 32, v6
	s_andn2_b64 exec, exec, s[34:35]
	s_cbranch_execz .LBB72_9
.LBB72_73:                              ;   Parent Loop BB72_10 Depth=1
                                        ; =>  This Inner Loop Header: Depth=2
	s_and_saveexec_b64 s[36:37], s[2:3]
	s_cbranch_execz .LBB72_72
; %bb.74:                               ;   in Loop: Header=BB72_73 Depth=2
	s_mov_b64 s[38:39], -1
	s_and_b64 vcc, exec, s[26:27]
                                        ; implicit-def: $vgpr4
	s_cbranch_vccz .LBB72_76
; %bb.75:                               ;   in Loop: Header=BB72_73 Depth=2
	v_add_u32_e32 v4, s31, v7
	v_mad_u64_u32 v[4:5], s[38:39], v4, s46, v[12:13]
	s_mov_b64 s[38:39], 0
.LBB72_76:                              ;   in Loop: Header=BB72_73 Depth=2
	s_andn2_b64 vcc, exec, s[38:39]
	s_cbranch_vccnz .LBB72_71
; %bb.77:                               ;   in Loop: Header=BB72_73 Depth=2
	v_add_u32_e32 v4, v30, v7
	s_branch .LBB72_71
.LBB72_78:                              ;   in Loop: Header=BB72_10 Depth=1
                                        ; implicit-def: $sgpr30
                                        ; implicit-def: $vgpr30
	s_cbranch_execz .LBB72_10
.LBB72_79:
	v_cmp_gt_i32_e64 s[0:1], s46, v13
	s_and_saveexec_b64 s[4:5], s[0:1]
	s_cbranch_execz .LBB72_92
; %bb.80:
	s_mul_i32 s26, s33, s46
	v_add_u32_e32 v0, s26, v12
	s_cmp_lg_u32 s47, 0
	v_mul_lo_u32 v2, v0, s46
	v_mul_u32_u24_e32 v0, 0x210, v12
	s_movk_i32 s8, 0x4200
	s_cselect_b64 s[6:7], -1, 0
	v_cmp_gt_i32_e64 s[2:3], s46, v12
	v_add3_u32 v3, v0, v24, s8
	s_mov_b64 s[8:9], 0
	v_mov_b32_e32 v4, v13
	s_branch .LBB72_82
.LBB72_81:                              ;   in Loop: Header=BB72_82 Depth=1
	s_or_b64 exec, exec, s[18:19]
	v_add_u32_e32 v4, 2, v4
	v_cmp_le_i32_e32 vcc, s46, v4
	s_waitcnt vmcnt(0)
	ds_write_b128 v3, v[6:9]
	s_or_b64 s[8:9], vcc, s[8:9]
	v_add_u32_e32 v3, 32, v3
	s_andn2_b64 exec, exec, s[8:9]
	s_cbranch_execz .LBB72_92
.LBB72_82:                              ; =>This Inner Loop Header: Depth=1
	s_and_b64 vcc, exec, s[6:7]
	s_cbranch_vccz .LBB72_89
; %bb.83:                               ;   in Loop: Header=BB72_82 Depth=1
	s_mov_b64 s[18:19], 0
	s_mov_b64 s[16:17], 0
                                        ; implicit-def: $vgpr0
	s_and_saveexec_b64 s[24:25], s[2:3]
	s_xor_b64 s[24:25], exec, s[24:25]
; %bb.84:                               ;   in Loop: Header=BB72_82 Depth=1
	v_add_u32_e32 v0, s26, v4
	s_mov_b64 s[16:17], exec
	v_mad_u64_u32 v[0:1], s[28:29], v0, s46, v[12:13]
; %bb.85:                               ;   in Loop: Header=BB72_82 Depth=1
	s_or_b64 exec, exec, s[24:25]
	s_and_b64 vcc, exec, s[18:19]
	s_cbranch_vccz .LBB72_90
.LBB72_86:                              ;   in Loop: Header=BB72_82 Depth=1
                                        ; implicit-def: $vgpr0
	s_and_saveexec_b64 s[18:19], s[2:3]
; %bb.87:                               ;   in Loop: Header=BB72_82 Depth=1
	v_add_u32_e32 v0, v2, v4
	s_or_b64 s[16:17], s[16:17], exec
; %bb.88:                               ;   in Loop: Header=BB72_82 Depth=1
	s_or_b64 exec, exec, s[18:19]
	v_mov_b64_e32 v[6:7], 0
	v_mov_b64_e32 v[8:9], 0
	s_and_saveexec_b64 s[18:19], s[16:17]
	s_cbranch_execz .LBB72_81
	s_branch .LBB72_91
.LBB72_89:                              ;   in Loop: Header=BB72_82 Depth=1
	s_mov_b64 s[16:17], 0
                                        ; implicit-def: $vgpr0
	s_cbranch_execnz .LBB72_86
.LBB72_90:                              ;   in Loop: Header=BB72_82 Depth=1
	v_mov_b64_e32 v[6:7], 0
	v_mov_b64_e32 v[8:9], 0
	s_and_saveexec_b64 s[18:19], s[16:17]
	s_cbranch_execz .LBB72_81
.LBB72_91:                              ;   in Loop: Header=BB72_82 Depth=1
	v_ashrrev_i32_e32 v1, 31, v0
	v_lshl_add_u64 v[0:1], v[0:1], 4, s[22:23]
	global_load_dwordx4 v[6:9], v[0:1], off
	s_branch .LBB72_81
.LBB72_92:
	s_or_b64 exec, exec, s[4:5]
	s_cmp_lt_i32 s46, 1
	s_waitcnt lgkmcnt(0)
	s_cbranch_scc1 .LBB72_111
; %bb.93:
	v_or_b32_e32 v2, v13, v12
	s_movk_i32 s4, 0x210
	v_mov_b32_e32 v0, 0x4200
	v_mul_u32_u24_e32 v1, 0x210, v12
	v_cmp_ne_u32_e64 s[2:3], 0, v2
	s_mov_b32 s6, 0x8400
	v_mov_b32_e32 v2, 0x8400
	v_mad_u32_u24 v10, v12, s4, v0
	s_add_i32 s5, s20, s21
	v_mad_u32_u24 v11, v12, s4, v2
	v_lshlrev_b32_e32 v2, 4, v12
	v_add3_u32 v16, v1, v24, s6
	s_mov_b32 s6, 0
	s_mov_b32 s18, 0
	v_add_u32_e32 v14, v10, v2
	v_add_u32_e32 v15, v11, v2
	v_mad_u32_u24 v17, v13, s4, v0
	s_brev_b32 s7, 8
	v_mov_b32_e32 v18, 0x260
	v_mov_b32_e32 v2, 0
	;; [unrolled: 1-line block ×6, first 2 shown]
	s_branch .LBB72_95
.LBB72_94:                              ;   in Loop: Header=BB72_95 Depth=1
	s_or_b64 exec, exec, s[4:5]
	s_add_i32 s18, s18, 1
	s_cmp_eq_u32 s18, s46
	v_add_u32_e32 v17, 16, v17
	s_waitcnt lgkmcnt(0)
	s_cbranch_scc1 .LBB72_111
.LBB72_95:                              ; =>This Loop Header: Depth=1
                                        ;     Child Loop BB72_110 Depth 2
	v_cmp_eq_u32_e32 vcc, s18, v12
	s_and_saveexec_b64 s[4:5], vcc
	s_cbranch_execz .LBB72_103
; %bb.96:                               ;   in Loop: Header=BB72_95 Depth=1
	ds_read_b128 v[4:7], v15
	ds_read_b128 v[26:29], v14
	s_waitcnt lgkmcnt(0)
	v_add_f64 v[0:1], v[26:27], -v[4:5]
	v_add_f64 v[8:9], v[28:29], -v[6:7]
	v_xor_b32_e32 v3, 0x80000000, v1
	v_cmp_gt_f64_e32 vcc, 0, v[0:1]
	v_xor_b32_e32 v4, 0x80000000, v9
                                        ; implicit-def: $vgpr6_vgpr7
	s_nop 0
	v_cndmask_b32_e32 v1, v1, v3, vcc
	v_cmp_gt_f64_e32 vcc, 0, v[8:9]
	s_nop 1
	v_cndmask_b32_e32 v5, v9, v4, vcc
	v_mov_b32_e32 v4, v8
	v_cmp_ngt_f64_e32 vcc, v[0:1], v[4:5]
	s_and_saveexec_b64 s[8:9], vcc
	s_xor_b64 s[8:9], exec, s[8:9]
	s_cbranch_execz .LBB72_100
; %bb.97:                               ;   in Loop: Header=BB72_95 Depth=1
	v_mov_b64_e32 v[6:7], 0
	v_cmp_neq_f64_e32 vcc, 0, v[8:9]
	s_and_saveexec_b64 s[16:17], vcc
	s_cbranch_execz .LBB72_99
; %bb.98:                               ;   in Loop: Header=BB72_95 Depth=1
	v_div_scale_f64 v[6:7], s[24:25], v[4:5], v[4:5], v[0:1]
	v_rcp_f64_e32 v[8:9], v[6:7]
	v_div_scale_f64 v[26:27], vcc, v[0:1], v[4:5], v[0:1]
	v_fma_f64 v[28:29], -v[6:7], v[8:9], 1.0
	v_fmac_f64_e32 v[8:9], v[8:9], v[28:29]
	v_fma_f64 v[28:29], -v[6:7], v[8:9], 1.0
	v_fmac_f64_e32 v[8:9], v[8:9], v[28:29]
	v_mul_f64 v[28:29], v[26:27], v[8:9]
	v_fma_f64 v[6:7], -v[6:7], v[28:29], v[26:27]
	v_div_fmas_f64 v[6:7], v[6:7], v[8:9], v[28:29]
	v_div_fixup_f64 v[0:1], v[6:7], v[4:5], v[0:1]
	v_fma_f64 v[0:1], v[0:1], v[0:1], 1.0
	v_cmp_gt_f64_e32 vcc, s[6:7], v[0:1]
	s_nop 1
	v_cndmask_b32_e32 v3, 0, v20, vcc
	v_ldexp_f64 v[0:1], v[0:1], v3
	v_rsq_f64_e32 v[6:7], v[0:1]
	v_cndmask_b32_e32 v3, 0, v21, vcc
	v_cmp_class_f64_e32 vcc, v[0:1], v18
	v_mul_f64 v[8:9], v[0:1], v[6:7]
	v_mul_f64 v[6:7], v[6:7], 0.5
	v_fma_f64 v[26:27], -v[6:7], v[8:9], 0.5
	v_fmac_f64_e32 v[8:9], v[8:9], v[26:27]
	v_fma_f64 v[28:29], -v[8:9], v[8:9], v[0:1]
	v_fmac_f64_e32 v[6:7], v[6:7], v[26:27]
	v_fmac_f64_e32 v[8:9], v[28:29], v[6:7]
	v_fma_f64 v[26:27], -v[8:9], v[8:9], v[0:1]
	v_fmac_f64_e32 v[8:9], v[26:27], v[6:7]
	v_ldexp_f64 v[6:7], v[8:9], v3
	v_cndmask_b32_e32 v1, v7, v1, vcc
	v_cndmask_b32_e32 v0, v6, v0, vcc
	v_mul_f64 v[6:7], v[4:5], v[0:1]
.LBB72_99:                              ;   in Loop: Header=BB72_95 Depth=1
	s_or_b64 exec, exec, s[16:17]
                                        ; implicit-def: $vgpr0_vgpr1
                                        ; implicit-def: $vgpr4_vgpr5
.LBB72_100:                             ;   in Loop: Header=BB72_95 Depth=1
	s_andn2_saveexec_b64 s[8:9], s[8:9]
	s_cbranch_execz .LBB72_102
; %bb.101:                              ;   in Loop: Header=BB72_95 Depth=1
	v_div_scale_f64 v[6:7], s[16:17], v[0:1], v[0:1], v[4:5]
	v_rcp_f64_e32 v[8:9], v[6:7]
	v_div_scale_f64 v[26:27], vcc, v[4:5], v[0:1], v[4:5]
	v_fma_f64 v[28:29], -v[6:7], v[8:9], 1.0
	v_fmac_f64_e32 v[8:9], v[8:9], v[28:29]
	v_fma_f64 v[28:29], -v[6:7], v[8:9], 1.0
	v_fmac_f64_e32 v[8:9], v[8:9], v[28:29]
	v_mul_f64 v[28:29], v[26:27], v[8:9]
	v_fma_f64 v[6:7], -v[6:7], v[28:29], v[26:27]
	v_div_fmas_f64 v[6:7], v[6:7], v[8:9], v[28:29]
	v_div_fixup_f64 v[4:5], v[6:7], v[0:1], v[4:5]
	v_fma_f64 v[4:5], v[4:5], v[4:5], 1.0
	v_cmp_gt_f64_e32 vcc, s[6:7], v[4:5]
	s_nop 1
	v_cndmask_b32_e32 v3, 0, v20, vcc
	v_ldexp_f64 v[4:5], v[4:5], v3
	v_rsq_f64_e32 v[6:7], v[4:5]
	v_cndmask_b32_e32 v3, 0, v21, vcc
	v_cmp_class_f64_e32 vcc, v[4:5], v18
	v_mul_f64 v[8:9], v[4:5], v[6:7]
	v_mul_f64 v[6:7], v[6:7], 0.5
	v_fma_f64 v[26:27], -v[6:7], v[8:9], 0.5
	v_fmac_f64_e32 v[8:9], v[8:9], v[26:27]
	v_fma_f64 v[28:29], -v[8:9], v[8:9], v[4:5]
	v_fmac_f64_e32 v[6:7], v[6:7], v[26:27]
	v_fmac_f64_e32 v[8:9], v[28:29], v[6:7]
	v_fma_f64 v[26:27], -v[8:9], v[8:9], v[4:5]
	v_fmac_f64_e32 v[8:9], v[26:27], v[6:7]
	v_ldexp_f64 v[6:7], v[8:9], v3
	v_cndmask_b32_e32 v5, v7, v5, vcc
	v_cndmask_b32_e32 v4, v6, v4, vcc
	v_mul_f64 v[6:7], v[0:1], v[4:5]
.LBB72_102:                             ;   in Loop: Header=BB72_95 Depth=1
	s_or_b64 exec, exec, s[8:9]
	v_cmp_gt_f64_e32 vcc, s[6:7], v[6:7]
	s_nop 1
	v_cndmask_b32_e32 v0, 0, v20, vcc
	v_ldexp_f64 v[0:1], v[6:7], v0
	v_rsq_f64_e32 v[4:5], v[0:1]
	v_cndmask_b32_e32 v3, 0, v21, vcc
	v_cmp_class_f64_e32 vcc, v[0:1], v18
	v_mul_f64 v[6:7], v[0:1], v[4:5]
	v_mul_f64 v[4:5], v[4:5], 0.5
	v_fma_f64 v[8:9], -v[4:5], v[6:7], 0.5
	v_fmac_f64_e32 v[6:7], v[6:7], v[8:9]
	v_fmac_f64_e32 v[4:5], v[4:5], v[8:9]
	v_fma_f64 v[8:9], -v[6:7], v[6:7], v[0:1]
	v_fmac_f64_e32 v[6:7], v[8:9], v[4:5]
	v_fma_f64 v[8:9], -v[6:7], v[6:7], v[0:1]
	v_fmac_f64_e32 v[6:7], v[8:9], v[4:5]
	v_ldexp_f64 v[4:5], v[6:7], v3
	v_cndmask_b32_e32 v1, v5, v1, vcc
	v_cndmask_b32_e32 v0, v4, v0, vcc
	v_mov_b32_e32 v3, v2
	ds_write_b128 v14, v[0:3]
.LBB72_103:                             ;   in Loop: Header=BB72_95 Depth=1
	s_or_b64 exec, exec, s[4:5]
	s_lshl_b32 s4, s18, 4
	s_mul_i32 s5, s18, 0x210
	s_add_i32 s5, s5, s4
	v_mov_b32_e32 v0, s5
	s_waitcnt lgkmcnt(0)
	ds_read_b128 v[26:29], v0 offset:16896
	v_add_u32_e32 v3, s4, v10
	ds_read_b128 v[4:7], v3
	s_waitcnt lgkmcnt(1)
	v_cmp_neq_f64_e32 vcc, 0, v[26:27]
	v_cmp_neq_f64_e64 s[4:5], 0, v[28:29]
	s_or_b64 vcc, vcc, s[4:5]
	v_cndmask_b32_e32 v1, 0, v29, vcc
	s_nor_b64 s[8:9], vcc, s[2:3]
	v_cndmask_b32_e32 v0, 0, v28, vcc
	v_cndmask_b32_e32 v9, v19, v27, vcc
	;; [unrolled: 1-line block ×3, first 2 shown]
	s_and_saveexec_b64 s[4:5], s[8:9]
	s_cbranch_execz .LBB72_107
; %bb.104:                              ;   in Loop: Header=BB72_95 Depth=1
	v_mbcnt_lo_u32_b32 v0, exec_lo, 0
	v_mbcnt_hi_u32_b32 v0, exec_hi, v0
	v_cmp_eq_u32_e32 vcc, 0, v0
	s_and_saveexec_b64 s[8:9], vcc
	s_cbranch_execz .LBB72_106
; %bb.105:                              ;   in Loop: Header=BB72_95 Depth=1
	global_atomic_smin v2, v22, s[14:15]
.LBB72_106:                             ;   in Loop: Header=BB72_95 Depth=1
	s_or_b64 exec, exec, s[8:9]
	v_mov_b64_e32 v[8:9], 1.0
	v_mov_b64_e32 v[0:1], 0
.LBB72_107:                             ;   in Loop: Header=BB72_95 Depth=1
	s_or_b64 exec, exec, s[4:5]
	v_cmp_lt_u32_e32 vcc, s18, v12
	s_and_saveexec_b64 s[4:5], vcc
	s_cbranch_execz .LBB72_94
; %bb.108:                              ;   in Loop: Header=BB72_95 Depth=1
	v_mul_f64 v[30:31], v[0:1], v[0:1]
	v_lshl_add_u32 v23, s18, 4, v11
	v_fmac_f64_e32 v[30:31], v[8:9], v[8:9]
	ds_read_b128 v[26:29], v23
	v_div_scale_f64 v[32:33], s[8:9], v[30:31], v[30:31], 1.0
	v_rcp_f64_e32 v[34:35], v[32:33]
	s_waitcnt lgkmcnt(0)
	v_add_f64 v[26:27], v[4:5], -v[26:27]
	v_add_f64 v[6:7], v[6:7], -v[28:29]
	v_fma_f64 v[4:5], -v[32:33], v[34:35], 1.0
	v_fmac_f64_e32 v[34:35], v[34:35], v[4:5]
	v_fma_f64 v[4:5], -v[32:33], v[34:35], 1.0
	v_fmac_f64_e32 v[34:35], v[34:35], v[4:5]
	v_div_scale_f64 v[4:5], vcc, 1.0, v[30:31], 1.0
	v_mul_f64 v[28:29], v[4:5], v[34:35]
	v_fma_f64 v[4:5], -v[32:33], v[28:29], v[4:5]
	s_nop 1
	v_div_fmas_f64 v[4:5], v[4:5], v[34:35], v[28:29]
	v_div_fixup_f64 v[28:29], v[4:5], v[30:31], 1.0
	v_mul_f64 v[4:5], v[0:1], v[6:7]
	v_mul_f64 v[0:1], v[0:1], -v[26:27]
	v_fmac_f64_e32 v[4:5], v[26:27], v[8:9]
	v_fmac_f64_e32 v[0:1], v[6:7], v[8:9]
	v_mul_f64 v[4:5], v[28:29], v[4:5]
	v_mul_f64 v[6:7], v[28:29], v[0:1]
	ds_write_b128 v3, v[4:7]
	s_waitcnt lgkmcnt(0)
	s_and_b64 exec, exec, s[0:1]
	s_cbranch_execz .LBB72_94
; %bb.109:                              ;   in Loop: Header=BB72_95 Depth=1
	s_mov_b64 s[8:9], 0
	v_mov_b32_e32 v0, v17
	v_mov_b32_e32 v1, v16
	;; [unrolled: 1-line block ×3, first 2 shown]
.LBB72_110:                             ;   Parent Loop BB72_95 Depth=1
                                        ; =>  This Inner Loop Header: Depth=2
	ds_read_b128 v[26:29], v0
	ds_read_b128 v[30:33], v1
	v_add_u32_e32 v3, 2, v3
	v_cmp_le_i32_e32 vcc, s46, v3
	s_or_b64 s[8:9], vcc, s[8:9]
	v_add_u32_e32 v0, 0x420, v0
	s_waitcnt lgkmcnt(0)
	v_fmac_f64_e32 v[30:31], v[4:5], v[26:27]
	v_fmac_f64_e32 v[32:33], v[6:7], v[26:27]
	v_fmac_f64_e32 v[30:31], v[6:7], v[28:29]
	v_fma_f64 v[32:33], v[4:5], -v[28:29], v[32:33]
	ds_write_b128 v1, v[30:33]
	v_add_u32_e32 v1, 32, v1
	s_andn2_b64 exec, exec, s[8:9]
	s_cbranch_execnz .LBB72_110
	s_branch .LBB72_94
.LBB72_111:
	s_and_saveexec_b64 s[2:3], s[0:1]
	s_cbranch_execz .LBB72_120
; %bb.112:
	s_mul_i32 s33, s33, s46
	v_add_u32_e32 v0, s33, v12
	s_cmp_lg_u32 s47, 0
	v_mul_lo_u32 v2, v0, s46
	v_mul_u32_u24_e32 v0, 0x210, v12
	s_movk_i32 s6, 0x4200
	v_cmp_gt_i32_e64 s[0:1], s46, v12
	s_cselect_b64 s[4:5], -1, 0
	v_add3_u32 v3, v0, v24, s6
	s_mov_b64 s[6:7], 0
	v_mov_b32_e32 v4, v13
	s_branch .LBB72_116
.LBB72_113:                             ;   in Loop: Header=BB72_116 Depth=1
	v_add_u32_e32 v0, v2, v4
.LBB72_114:                             ;   in Loop: Header=BB72_116 Depth=1
	ds_read2_b64 v[6:9], v3 offset1:1
	v_ashrrev_i32_e32 v1, 31, v0
	v_lshl_add_u64 v[0:1], v[0:1], 4, s[22:23]
	s_waitcnt lgkmcnt(0)
	global_store_dwordx4 v[0:1], v[6:9], off
.LBB72_115:                             ;   in Loop: Header=BB72_116 Depth=1
	s_or_b64 exec, exec, s[8:9]
	v_add_u32_e32 v4, 2, v4
	v_cmp_le_i32_e32 vcc, s46, v4
	s_or_b64 s[6:7], vcc, s[6:7]
	v_add_u32_e32 v3, 32, v3
	s_andn2_b64 exec, exec, s[6:7]
	s_cbranch_execz .LBB72_120
.LBB72_116:                             ; =>This Inner Loop Header: Depth=1
	s_and_saveexec_b64 s[8:9], s[0:1]
	s_cbranch_execz .LBB72_115
; %bb.117:                              ;   in Loop: Header=BB72_116 Depth=1
	s_and_b64 vcc, exec, s[4:5]
	s_cbranch_vccz .LBB72_119
; %bb.118:                              ;   in Loop: Header=BB72_116 Depth=1
	v_add_u32_e32 v0, s33, v4
	v_mad_u64_u32 v[0:1], s[16:17], v0, s46, v[12:13]
	s_cbranch_execnz .LBB72_114
	s_branch .LBB72_113
.LBB72_119:                             ;   in Loop: Header=BB72_116 Depth=1
                                        ; implicit-def: $vgpr0
	s_branch .LBB72_113
.LBB72_120:
	s_or_b64 exec, exec, s[2:3]
	v_or_b32_e32 v0, v13, v12
	v_cmp_eq_u32_e32 vcc, 0, v0
	s_and_saveexec_b64 s[0:1], vcc
	s_cbranch_execz .LBB72_122
; %bb.121:
	s_add_u32 s2, s10, s12
	s_addc_u32 s3, s11, s13
	v_mov_b32_e32 v0, 0
	v_mov_b32_e32 v1, 1
	buffer_wbl2 sc1
	s_waitcnt vmcnt(0)
	global_store_dword v0, v1, s[2:3] sc1
.LBB72_122:
	s_or_b64 exec, exec, s[0:1]
.LBB72_123:
	s_endpgm
.LBB72_124:
	s_cbranch_execz .LBB72_123
; %bb.125:
	v_or_b32_e32 v0, v13, v12
	v_cmp_eq_u32_e32 vcc, 0, v0
	s_and_saveexec_b64 s[0:1], vcc
	s_cbranch_execz .LBB72_123
; %bb.126:
	v_mbcnt_lo_u32_b32 v0, exec_lo, 0
	v_mbcnt_hi_u32_b32 v0, exec_hi, v0
	v_cmp_eq_u32_e32 vcc, 0, v0
	s_and_saveexec_b64 s[0:1], vcc
	s_cbranch_execz .LBB72_128
; %bb.127:
	s_add_i32 s2, s20, s21
	v_mov_b32_e32 v0, 0
	v_mov_b32_e32 v1, s2
	global_atomic_smin v0, v1, s[14:15]
.LBB72_128:
	s_or_b64 exec, exec, s[0:1]
	s_add_u32 s0, s10, s12
	s_addc_u32 s1, s11, s13
	v_mov_b32_e32 v0, 0
	v_mov_b32_e32 v1, 1
	buffer_wbl2 sc1
	s_waitcnt vmcnt(0)
	global_store_dword v0, v1, s[0:1] sc1
	s_endpgm
	.section	.rodata,"a",@progbits
	.p2align	6, 0x0
	.amdhsa_kernel _ZN9rocsparseL19bsric0_17_32_kernelILi64ELi64ELi32E21rocsparse_complex_numIdEEEv20rocsparse_direction_iiPKiS5_PT2_S5_PiS5_S8_21rocsparse_index_base_
		.amdhsa_group_segment_fixed_size 51456
		.amdhsa_private_segment_fixed_size 0
		.amdhsa_kernarg_size 76
		.amdhsa_user_sgpr_count 2
		.amdhsa_user_sgpr_dispatch_ptr 0
		.amdhsa_user_sgpr_queue_ptr 0
		.amdhsa_user_sgpr_kernarg_segment_ptr 1
		.amdhsa_user_sgpr_dispatch_id 0
		.amdhsa_user_sgpr_kernarg_preload_length 0
		.amdhsa_user_sgpr_kernarg_preload_offset 0
		.amdhsa_user_sgpr_private_segment_size 0
		.amdhsa_uses_dynamic_stack 0
		.amdhsa_enable_private_segment 0
		.amdhsa_system_sgpr_workgroup_id_x 1
		.amdhsa_system_sgpr_workgroup_id_y 0
		.amdhsa_system_sgpr_workgroup_id_z 0
		.amdhsa_system_sgpr_workgroup_info 0
		.amdhsa_system_vgpr_workitem_id 1
		.amdhsa_next_free_vgpr 257
		.amdhsa_next_free_sgpr 96
		.amdhsa_accum_offset 44
		.amdhsa_reserve_vcc 1
		.amdhsa_float_round_mode_32 0
		.amdhsa_float_round_mode_16_64 0
		.amdhsa_float_denorm_mode_32 3
		.amdhsa_float_denorm_mode_16_64 3
		.amdhsa_dx10_clamp 1
		.amdhsa_ieee_mode 1
		.amdhsa_fp16_overflow 0
		.amdhsa_tg_split 0
		.amdhsa_exception_fp_ieee_invalid_op 0
		.amdhsa_exception_fp_denorm_src 0
		.amdhsa_exception_fp_ieee_div_zero 0
		.amdhsa_exception_fp_ieee_overflow 0
		.amdhsa_exception_fp_ieee_underflow 0
		.amdhsa_exception_fp_ieee_inexact 0
		.amdhsa_exception_int_div_zero 0
	.end_amdhsa_kernel
	.section	.text._ZN9rocsparseL19bsric0_17_32_kernelILi64ELi64ELi32E21rocsparse_complex_numIdEEEv20rocsparse_direction_iiPKiS5_PT2_S5_PiS5_S8_21rocsparse_index_base_,"axG",@progbits,_ZN9rocsparseL19bsric0_17_32_kernelILi64ELi64ELi32E21rocsparse_complex_numIdEEEv20rocsparse_direction_iiPKiS5_PT2_S5_PiS5_S8_21rocsparse_index_base_,comdat
.Lfunc_end72:
	.size	_ZN9rocsparseL19bsric0_17_32_kernelILi64ELi64ELi32E21rocsparse_complex_numIdEEEv20rocsparse_direction_iiPKiS5_PT2_S5_PiS5_S8_21rocsparse_index_base_, .Lfunc_end72-_ZN9rocsparseL19bsric0_17_32_kernelILi64ELi64ELi32E21rocsparse_complex_numIdEEEv20rocsparse_direction_iiPKiS5_PT2_S5_PiS5_S8_21rocsparse_index_base_
                                        ; -- End function
	.set _ZN9rocsparseL19bsric0_17_32_kernelILi64ELi64ELi32E21rocsparse_complex_numIdEEEv20rocsparse_direction_iiPKiS5_PT2_S5_PiS5_S8_21rocsparse_index_base_.num_vgpr, 44
	.set _ZN9rocsparseL19bsric0_17_32_kernelILi64ELi64ELi32E21rocsparse_complex_numIdEEEv20rocsparse_direction_iiPKiS5_PT2_S5_PiS5_S8_21rocsparse_index_base_.num_agpr, 0
	.set _ZN9rocsparseL19bsric0_17_32_kernelILi64ELi64ELi32E21rocsparse_complex_numIdEEEv20rocsparse_direction_iiPKiS5_PT2_S5_PiS5_S8_21rocsparse_index_base_.numbered_sgpr, 56
	.set _ZN9rocsparseL19bsric0_17_32_kernelILi64ELi64ELi32E21rocsparse_complex_numIdEEEv20rocsparse_direction_iiPKiS5_PT2_S5_PiS5_S8_21rocsparse_index_base_.num_named_barrier, 0
	.set _ZN9rocsparseL19bsric0_17_32_kernelILi64ELi64ELi32E21rocsparse_complex_numIdEEEv20rocsparse_direction_iiPKiS5_PT2_S5_PiS5_S8_21rocsparse_index_base_.private_seg_size, 0
	.set _ZN9rocsparseL19bsric0_17_32_kernelILi64ELi64ELi32E21rocsparse_complex_numIdEEEv20rocsparse_direction_iiPKiS5_PT2_S5_PiS5_S8_21rocsparse_index_base_.uses_vcc, 1
	.set _ZN9rocsparseL19bsric0_17_32_kernelILi64ELi64ELi32E21rocsparse_complex_numIdEEEv20rocsparse_direction_iiPKiS5_PT2_S5_PiS5_S8_21rocsparse_index_base_.uses_flat_scratch, 0
	.set _ZN9rocsparseL19bsric0_17_32_kernelILi64ELi64ELi32E21rocsparse_complex_numIdEEEv20rocsparse_direction_iiPKiS5_PT2_S5_PiS5_S8_21rocsparse_index_base_.has_dyn_sized_stack, 0
	.set _ZN9rocsparseL19bsric0_17_32_kernelILi64ELi64ELi32E21rocsparse_complex_numIdEEEv20rocsparse_direction_iiPKiS5_PT2_S5_PiS5_S8_21rocsparse_index_base_.has_recursion, 0
	.set _ZN9rocsparseL19bsric0_17_32_kernelILi64ELi64ELi32E21rocsparse_complex_numIdEEEv20rocsparse_direction_iiPKiS5_PT2_S5_PiS5_S8_21rocsparse_index_base_.has_indirect_call, 0
	.section	.AMDGPU.csdata,"",@progbits
; Kernel info:
; codeLenInByte = 4344
; TotalNumSgprs: 62
; NumVgprs: 44
; NumAgprs: 0
; TotalNumVgprs: 44
; ScratchSize: 0
; MemoryBound: 1
; FloatMode: 240
; IeeeMode: 1
; LDSByteSize: 51456 bytes/workgroup (compile time only)
; SGPRBlocks: 12
; VGPRBlocks: 32
; NumSGPRsForWavesPerEU: 102
; NumVGPRsForWavesPerEU: 257
; AccumOffset: 44
; Occupancy: 1
; WaveLimiterHint : 1
; COMPUTE_PGM_RSRC2:SCRATCH_EN: 0
; COMPUTE_PGM_RSRC2:USER_SGPR: 2
; COMPUTE_PGM_RSRC2:TRAP_HANDLER: 0
; COMPUTE_PGM_RSRC2:TGID_X_EN: 1
; COMPUTE_PGM_RSRC2:TGID_Y_EN: 0
; COMPUTE_PGM_RSRC2:TGID_Z_EN: 0
; COMPUTE_PGM_RSRC2:TIDIG_COMP_CNT: 1
; COMPUTE_PGM_RSRC3_GFX90A:ACCUM_OFFSET: 10
; COMPUTE_PGM_RSRC3_GFX90A:TG_SPLIT: 0
	.section	.text._ZN9rocsparseL17bsric0_2_8_kernelILi64ELi128ELi8E21rocsparse_complex_numIdEEEv20rocsparse_direction_iiPKiS5_PT2_S5_PiS5_S8_21rocsparse_index_base_,"axG",@progbits,_ZN9rocsparseL17bsric0_2_8_kernelILi64ELi128ELi8E21rocsparse_complex_numIdEEEv20rocsparse_direction_iiPKiS5_PT2_S5_PiS5_S8_21rocsparse_index_base_,comdat
	.globl	_ZN9rocsparseL17bsric0_2_8_kernelILi64ELi128ELi8E21rocsparse_complex_numIdEEEv20rocsparse_direction_iiPKiS5_PT2_S5_PiS5_S8_21rocsparse_index_base_ ; -- Begin function _ZN9rocsparseL17bsric0_2_8_kernelILi64ELi128ELi8E21rocsparse_complex_numIdEEEv20rocsparse_direction_iiPKiS5_PT2_S5_PiS5_S8_21rocsparse_index_base_
	.p2align	8
	.type	_ZN9rocsparseL17bsric0_2_8_kernelILi64ELi128ELi8E21rocsparse_complex_numIdEEEv20rocsparse_direction_iiPKiS5_PT2_S5_PiS5_S8_21rocsparse_index_base_,@function
_ZN9rocsparseL17bsric0_2_8_kernelILi64ELi128ELi8E21rocsparse_complex_numIdEEEv20rocsparse_direction_iiPKiS5_PT2_S5_PiS5_S8_21rocsparse_index_base_: ; @_ZN9rocsparseL17bsric0_2_8_kernelILi64ELi128ELi8E21rocsparse_complex_numIdEEEv20rocsparse_direction_iiPKiS5_PT2_S5_PiS5_S8_21rocsparse_index_base_
; %bb.0:
	s_load_dwordx8 s[12:19], s[0:1], 0x28
	s_mov_b32 s3, 0
	s_lshl_b64 s[2:3], s[2:3], 2
	v_and_b32_e32 v13, 0x3ff, v0
	v_bfe_u32 v22, v0, 10, 10
	s_waitcnt lgkmcnt(0)
	s_add_u32 s2, s16, s2
	s_addc_u32 s3, s17, s3
	s_load_dword s16, s[2:3], 0x0
	s_waitcnt lgkmcnt(0)
	s_ashr_i32 s17, s16, 31
	s_lshl_b64 s[10:11], s[16:17], 2
	s_add_u32 s2, s12, s10
	s_addc_u32 s3, s13, s11
	s_load_dword s33, s[2:3], 0x0
	s_load_dword s17, s[0:1], 0x48
	s_waitcnt lgkmcnt(0)
	s_cmp_lg_u32 s33, -1
	s_cbranch_scc0 .LBB73_92
; %bb.1:
	s_load_dwordx4 s[20:23], s[0:1], 0x10
	s_load_dwordx2 s[24:25], s[0:1], 0x20
	v_lshlrev_b32_e32 v1, 3, v22
	v_add_u32_e32 v2, v1, v13
	s_waitcnt lgkmcnt(0)
	s_add_u32 s2, s20, s10
	s_addc_u32 s3, s21, s11
	s_load_dword s26, s[2:3], 0x0
	s_waitcnt lgkmcnt(0)
	s_sub_i32 s40, s26, s17
	v_add_u32_e32 v0, s40, v2
	v_cmp_ge_i32_e32 vcc, s33, v0
	s_and_saveexec_b64 s[2:3], vcc
	s_cbranch_execz .LBB73_14
; %bb.2:
	v_add_u32_e32 v2, s26, v2
	v_subrev_u32_e32 v2, s17, v2
	v_add_u32_e32 v2, 64, v2
	s_add_i32 s4, s33, 1
	v_max_i32_e32 v2, s4, v2
	v_not_b32_e32 v3, v13
	v_add3_u32 v2, s17, v2, v3
	v_add_u32_e32 v1, s26, v1
	v_sub_u32_e32 v1, v2, v1
	v_cmp_lt_u32_e32 vcc, 63, v1
	s_mov_b64 s[6:7], -1
	s_and_saveexec_b64 s[4:5], vcc
	s_cbranch_execz .LBB73_11
; %bb.3:
	v_lshrrev_b32_e32 v4, 6, v1
	v_add_u32_e32 v2, -1, v4
	v_add_u32_e32 v1, 64, v0
	v_lshrrev_b32_e32 v3, 1, v2
	v_add_u32_e32 v5, 1, v3
	v_cmp_lt_u32_e32 vcc, 13, v2
	v_mov_b64_e32 v[2:3], v[0:1]
	s_and_saveexec_b64 s[6:7], vcc
	s_cbranch_execz .LBB73_7
; %bb.4:
	v_and_b32_e32 v6, -8, v5
	s_mov_b64 s[8:9], 0
	v_mov_b64_e32 v[2:3], v[0:1]
.LBB73_5:                               ; =>This Inner Loop Header: Depth=1
	v_ashrrev_i32_e32 v11, 31, v2
	v_mov_b32_e32 v10, v2
	v_ashrrev_i32_e32 v9, 31, v3
	v_mov_b32_e32 v8, v3
	v_add_u32_e32 v16, 0x80, v3
	v_lshl_add_u64 v[10:11], v[10:11], 2, s[22:23]
	v_add_u32_e32 v14, 0x80, v2
	v_add_u32_e32 v18, 0x100, v2
	;; [unrolled: 1-line block ×13, first 2 shown]
	v_lshl_add_u64 v[8:9], v[8:9], 2, s[22:23]
	v_ashrrev_i32_e32 v17, 31, v16
	global_load_dword v1, v[10:11], off
	global_load_dword v7, v[8:9], off
	v_ashrrev_i32_e32 v15, 31, v14
	v_ashrrev_i32_e32 v21, 31, v20
	;; [unrolled: 1-line block ×13, first 2 shown]
	v_lshl_add_u64 v[10:11], v[16:17], 2, s[22:23]
	v_lshl_add_u64 v[8:9], v[14:15], 2, s[22:23]
	;; [unrolled: 1-line block ×14, first 2 shown]
	global_load_dword v12, v[10:11], off
	global_load_dword v15, v[8:9], off
	;; [unrolled: 1-line block ×14, first 2 shown]
	v_subrev_u32_e32 v9, s40, v2
	v_add_u32_e32 v6, -8, v6
	v_subrev_u32_e32 v8, s40, v3
	v_lshlrev_b32_e32 v9, 2, v9
	v_subrev_u32_e32 v11, s40, v14
	v_cmp_eq_u32_e32 vcc, 0, v6
	v_add_u32_e32 v3, 0x400, v3
	v_add_u32_e32 v2, 0x400, v2
	v_lshlrev_b32_e32 v8, 2, v8
	v_subrev_u32_e32 v10, s40, v16
	v_subrev_u32_e32 v14, s40, v20
	;; [unrolled: 1-line block ×13, first 2 shown]
	v_lshlrev_b32_e32 v11, 2, v11
	s_or_b64 s[8:9], vcc, s[8:9]
	v_lshlrev_b32_e32 v10, 2, v10
	v_lshlrev_b32_e32 v16, 2, v16
	;; [unrolled: 1-line block ×13, first 2 shown]
	s_waitcnt vmcnt(15)
	v_subrev_u32_e32 v1, s17, v1
	s_waitcnt vmcnt(14)
	v_subrev_u32_e32 v7, s17, v7
	ds_write_b32 v9, v1 offset:5632
	ds_write_b32 v8, v7 offset:5632
	s_waitcnt vmcnt(13)
	v_subrev_u32_e32 v1, s17, v12
	s_waitcnt vmcnt(12)
	v_subrev_u32_e32 v7, s17, v15
	;; [unrolled: 2-line block ×14, first 2 shown]
	ds_write_b32 v11, v7 offset:5632
	ds_write_b32 v10, v1 offset:5632
	;; [unrolled: 1-line block ×14, first 2 shown]
	s_andn2_b64 exec, exec, s[8:9]
	s_cbranch_execnz .LBB73_5
; %bb.6:
	s_or_b64 exec, exec, s[8:9]
.LBB73_7:
	s_or_b64 exec, exec, s[6:7]
	v_and_b32_e32 v1, 7, v5
	v_cmp_ne_u32_e32 vcc, 0, v1
	s_and_saveexec_b64 s[6:7], vcc
	s_cbranch_execz .LBB73_10
; %bb.8:
	s_mov_b64 s[8:9], 0
.LBB73_9:                               ; =>This Inner Loop Header: Depth=1
	v_ashrrev_i32_e32 v7, 31, v3
	v_mov_b32_e32 v6, v3
	v_ashrrev_i32_e32 v9, 31, v2
	v_mov_b32_e32 v8, v2
	v_lshl_add_u64 v[6:7], v[6:7], 2, s[22:23]
	v_lshl_add_u64 v[8:9], v[8:9], 2, s[22:23]
	global_load_dword v5, v[6:7], off
	global_load_dword v10, v[8:9], off
	v_add_u32_e32 v1, -1, v1
	v_subrev_u32_e32 v7, s40, v2
	v_cmp_eq_u32_e32 vcc, 0, v1
	v_subrev_u32_e32 v6, s40, v3
	v_add_u32_e32 v3, 0x80, v3
	v_add_u32_e32 v2, 0x80, v2
	v_lshlrev_b32_e32 v7, 2, v7
	s_or_b64 s[8:9], vcc, s[8:9]
	v_lshlrev_b32_e32 v6, 2, v6
	s_waitcnt vmcnt(1)
	v_subrev_u32_e32 v5, s17, v5
	s_waitcnt vmcnt(0)
	v_subrev_u32_e32 v8, s17, v10
	ds_write_b32 v7, v8 offset:5632
	ds_write_b32 v6, v5 offset:5632
	s_andn2_b64 exec, exec, s[8:9]
	s_cbranch_execnz .LBB73_9
.LBB73_10:
	s_or_b64 exec, exec, s[6:7]
	v_add_u32_e32 v1, 1, v4
	v_and_b32_e32 v2, 0x7fffffe, v1
	v_cmp_ne_u32_e32 vcc, v1, v2
	v_lshl_add_u32 v0, v2, 6, v0
	s_orn2_b64 s[6:7], vcc, exec
.LBB73_11:
	s_or_b64 exec, exec, s[4:5]
	s_and_b64 exec, exec, s[6:7]
	s_cbranch_execz .LBB73_14
; %bb.12:
	v_add_u32_e32 v1, s17, v0
	v_subrev_u32_e32 v1, s26, v1
	v_mov_b32_e32 v2, 0x1600
	v_lshl_add_u32 v4, v1, 2, v2
	v_ashrrev_i32_e32 v1, 31, v0
	v_lshl_add_u64 v[2:3], v[0:1], 2, s[22:23]
	s_mov_b64 s[4:5], 0
	s_mov_b64 s[6:7], 0x100
.LBB73_13:                              ; =>This Inner Loop Header: Depth=1
	global_load_dword v1, v[2:3], off
	v_add_u32_e32 v0, 64, v0
	v_cmp_lt_i32_e32 vcc, s33, v0
	v_lshl_add_u64 v[2:3], v[2:3], 0, s[6:7]
	s_or_b64 s[4:5], vcc, s[4:5]
	s_waitcnt vmcnt(0)
	v_subrev_u32_e32 v1, s17, v1
	ds_write_b32 v4, v1
	v_add_u32_e32 v4, 0x100, v4
	s_andn2_b64 exec, exec, s[4:5]
	s_cbranch_execnz .LBB73_13
.LBB73_14:
	s_or_b64 exec, exec, s[2:3]
	s_load_dword s42, s[0:1], 0x0
	s_load_dword s41, s[0:1], 0x8
	s_movk_i32 s6, 0x90
	v_mov_b32_e32 v0, 0xd80
	v_mad_u32_u24 v24, v22, s6, v0
	v_mov_b32_e32 v0, 0
	v_lshl_add_u32 v23, v13, 4, v24
	v_mov_b32_e32 v1, v0
	v_mov_b32_e32 v2, v0
	;; [unrolled: 1-line block ×3, first 2 shown]
	s_cmp_ge_i32 s40, s33
	ds_write_b128 v23, v[0:3]
	s_waitcnt lgkmcnt(0)
	s_cbranch_scc1 .LBB73_67
; %bb.15:
	s_cmp_lg_u32 s42, 0
	s_cselect_b64 s[26:27], -1, 0
	s_cmp_eq_u32 s42, 0
	v_cmp_gt_i32_e64 s[0:1], s41, v13
	v_cmp_gt_i32_e64 s[2:3], s41, v22
	s_cselect_b64 vcc, -1, 0
	s_and_b64 s[28:29], s[0:1], s[2:3]
	v_mov_b32_e32 v2, 0x900
	v_lshlrev_b32_e32 v3, 4, v13
	s_cmp_gt_i32 s41, 0
	v_mov_b32_e32 v4, 0x480
	v_mad_u32_u24 v1, v22, s6, v2
	v_mad_u32_u24 v26, v22, s6, v3
	;; [unrolled: 1-line block ×4, first 2 shown]
	s_cselect_b64 s[6:7], -1, 0
	v_add_u32_e32 v25, v1, v3
	v_add_u32_e32 v30, v29, v3
	v_or_b32_e32 v3, v13, v22
	v_cndmask_b32_e64 v2, 0, 1, s[6:7]
	s_mul_i32 s43, s41, s41
	v_mul_lo_u32 v27, s41, v13
	v_mul_lo_u32 v28, s41, v22
	v_cmp_ne_u32_e64 s[4:5], 0, v3
	v_cndmask_b32_e32 v12, v22, v13, vcc
	v_cndmask_b32_e32 v32, v13, v22, vcc
	v_cmp_ne_u32_e64 s[6:7], 1, v2
	v_mov_b32_e32 v33, 0x3ff00000
	s_mov_b32 s30, s40
	s_branch .LBB73_17
.LBB73_16:                              ;   in Loop: Header=BB73_17 Depth=1
	s_or_b64 exec, exec, s[8:9]
	s_add_i32 s30, s30, 1
	s_cmp_ge_i32 s30, s33
	s_cselect_b64 s[8:9], -1, 0
	buffer_wbl2 sc1
	s_waitcnt vmcnt(0)
	buffer_inv sc1
	s_and_b64 vcc, exec, s[8:9]
	s_cbranch_vccnz .LBB73_67
.LBB73_17:                              ; =>This Loop Header: Depth=1
                                        ;     Child Loop BB73_22 Depth 2
                                        ;     Child Loop BB73_33 Depth 2
	;; [unrolled: 1-line block ×4, first 2 shown]
                                        ;       Child Loop BB73_63 Depth 3
	s_ashr_i32 s31, s30, 31
	s_lshl_b64 s[8:9], s[30:31], 2
	s_add_u32 s8, s22, s8
	s_addc_u32 s9, s23, s9
	s_load_dword s31, s[8:9], 0x0
	s_waitcnt lgkmcnt(0)
	s_sub_i32 s34, s31, s17
	s_ashr_i32 s35, s34, 31
	s_lshl_b64 s[8:9], s[34:35], 2
	s_add_u32 s36, s12, s8
	s_addc_u32 s37, s13, s9
	s_load_dword s35, s[36:37], 0x0
	s_waitcnt lgkmcnt(0)
	s_cmp_eq_u32 s35, -1
	s_cbranch_scc1 .LBB73_66
; %bb.18:                               ;   in Loop: Header=BB73_17 Depth=1
	s_add_u32 s36, s20, s8
	v_mov_b64_e32 v[2:3], 0
	s_mul_i32 s38, s30, s41
	s_addc_u32 s37, s21, s9
	v_add_u32_e32 v34, s38, v32
	v_mov_b64_e32 v[4:5], v[2:3]
	s_and_saveexec_b64 s[38:39], s[28:29]
	s_cbranch_execz .LBB73_20
; %bb.19:                               ;   in Loop: Header=BB73_17 Depth=1
	v_mad_u64_u32 v[2:3], s[44:45], v34, s41, v[12:13]
	v_ashrrev_i32_e32 v3, 31, v2
	v_lshl_add_u64 v[2:3], v[2:3], 4, s[24:25]
	global_load_dwordx4 v[2:5], v[2:3], off
.LBB73_20:                              ;   in Loop: Header=BB73_17 Depth=1
	s_or_b64 exec, exec, s[38:39]
	s_load_dword s36, s[36:37], 0x0
	ds_read_b32 v6, v0 offset:5632
	s_mov_b32 s37, 0
	s_waitcnt vmcnt(0)
	ds_write_b128 v25, v[2:5]
	s_waitcnt lgkmcnt(0)
	s_sub_i32 s36, s36, s17
	s_cmp_le_i32 s36, s35
	v_cmp_ge_i32_e32 vcc, s34, v6
	s_cselect_b64 s[38:39], -1, 0
	s_and_b64 s[38:39], s[38:39], vcc
	s_andn2_b64 vcc, exec, s[38:39]
	s_cbranch_vccnz .LBB73_32
; %bb.21:                               ;   in Loop: Header=BB73_17 Depth=1
	s_mov_b32 s44, 0
	s_mov_b32 s45, 0
.LBB73_22:                              ;   Parent Loop BB73_17 Depth=1
                                        ; =>  This Inner Loop Header: Depth=2
	s_ashr_i32 s37, s36, 31
	s_lshl_b64 s[38:39], s[36:37], 2
	s_add_u32 s38, s22, s38
	s_addc_u32 s39, s23, s39
	s_load_dword s37, s[38:39], 0x0
	s_lshl_b32 s38, s45, 2
	v_mov_b32_e32 v2, s38
	ds_read_b32 v2, v2 offset:5632
	s_mov_b64 s[38:39], -1
	s_waitcnt lgkmcnt(0)
	s_sub_i32 s49, s37, s17
                                        ; implicit-def: $sgpr37
                                        ; implicit-def: $sgpr48
                                        ; implicit-def: $sgpr47
	v_cmp_ge_i32_e32 vcc, s49, v2
	v_readfirstlane_b32 s46, v2
	s_cbranch_vccz .LBB73_28
; %bb.23:                               ;   in Loop: Header=BB73_22 Depth=2
	s_cmp_le_i32 s49, s46
                                        ; implicit-def: $sgpr37
                                        ; implicit-def: $sgpr48
                                        ; implicit-def: $sgpr47
	s_cbranch_scc0 .LBB73_25
; %bb.24:                               ;   in Loop: Header=BB73_22 Depth=2
	s_add_i32 s37, s45, s40
	s_mul_i32 s37, s37, s43
	s_lshl_b32 s38, s44, 2
	v_mov_b32_e32 v3, s37
	s_mul_i32 s37, s36, s43
	v_mov_b32_e32 v2, s38
	v_mov_b32_e32 v4, s37
	ds_write2st64_b32 v2, v4, v3 offset0:18 offset1:20
	s_add_i32 s47, s45, 1
	s_add_i32 s48, s36, 1
	;; [unrolled: 1-line block ×3, first 2 shown]
	s_mov_b64 s[38:39], 0
.LBB73_25:                              ;   in Loop: Header=BB73_22 Depth=2
	s_andn2_b64 vcc, exec, s[38:39]
	s_cbranch_vccnz .LBB73_27
; %bb.26:                               ;   in Loop: Header=BB73_22 Depth=2
	s_add_i32 s47, s45, 1
	s_mov_b32 s37, s44
	s_mov_b32 s48, s36
.LBB73_27:                              ;   in Loop: Header=BB73_22 Depth=2
	s_mov_b64 s[38:39], 0
.LBB73_28:                              ;   in Loop: Header=BB73_22 Depth=2
	s_andn2_b64 vcc, exec, s[38:39]
	s_cbranch_vccnz .LBB73_30
; %bb.29:                               ;   in Loop: Header=BB73_22 Depth=2
	s_add_i32 s48, s36, 1
	s_mov_b32 s47, s45
	s_mov_b32 s37, s44
.LBB73_30:                              ;   in Loop: Header=BB73_22 Depth=2
	s_cmp_le_i32 s48, s35
	s_cselect_b64 s[38:39], -1, 0
	s_cmp_le_i32 s46, s34
	s_cselect_b64 s[44:45], -1, 0
	s_and_b64 s[38:39], s[38:39], s[44:45]
	s_and_b64 vcc, exec, s[38:39]
	s_cbranch_vccz .LBB73_32
; %bb.31:                               ;   in Loop: Header=BB73_22 Depth=2
	s_mov_b32 s44, s37
	s_mov_b32 s36, s48
	;; [unrolled: 1-line block ×3, first 2 shown]
	s_branch .LBB73_22
.LBB73_32:                              ;   in Loop: Header=BB73_17 Depth=1
	s_add_u32 s8, s14, s8
	s_addc_u32 s9, s15, s9
	s_waitcnt lgkmcnt(0)
.LBB73_33:                              ;   Parent Loop BB73_17 Depth=1
                                        ; =>  This Inner Loop Header: Depth=2
	global_load_dword v2, v0, s[8:9] sc1
	s_waitcnt vmcnt(0)
	v_cmp_eq_u32_e32 vcc, 0, v2
	s_cbranch_vccnz .LBB73_33
; %bb.34:                               ;   in Loop: Header=BB73_17 Depth=1
	v_mov_b64_e32 v[4:5], 0
	v_mov_b64_e32 v[6:7], 0
	;; [unrolled: 1-line block ×3, first 2 shown]
	buffer_inv sc1
	s_and_saveexec_b64 s[8:9], s[28:29]
	s_cbranch_execz .LBB73_36
; %bb.35:                               ;   in Loop: Header=BB73_17 Depth=1
	s_mul_i32 s35, s35, s41
	v_add_u32_e32 v2, s35, v32
	v_mad_u64_u32 v[2:3], s[34:35], v2, s41, v[12:13]
	v_ashrrev_i32_e32 v3, 31, v2
	v_lshl_add_u64 v[2:3], v[2:3], 4, s[24:25]
	global_load_dwordx4 v[6:9], v[2:3], off
.LBB73_36:                              ;   in Loop: Header=BB73_17 Depth=1
	s_or_b64 exec, exec, s[8:9]
	s_cmp_lt_i32 s37, 2
	v_mov_b64_e32 v[2:3], 0
	s_waitcnt vmcnt(0)
	ds_write_b128 v26, v[6:9]
	s_waitcnt lgkmcnt(0)
	s_cbranch_scc1 .LBB73_55
; %bb.37:                               ;   in Loop: Header=BB73_17 Depth=1
	s_add_i32 s34, s37, -2
	v_mov_b64_e32 v[14:15], 0
	s_mov_b32 s35, 0
	v_mov_b64_e32 v[16:17], 0
	s_and_b64 vcc, exec, s[6:7]
	s_cbranch_vccz .LBB73_40
	s_branch .LBB73_39
.LBB73_38:                              ;   in Loop: Header=BB73_17 Depth=1
	s_mov_b32 s35, s8
	v_mov_b64_e32 v[14:15], v[4:5]
	v_mov_b64_e32 v[16:17], v[2:3]
	s_and_b64 vcc, exec, s[6:7]
	s_cbranch_vccz .LBB73_40
.LBB73_39:                              ;   in Loop: Header=BB73_17 Depth=1
	v_mov_b64_e32 v[4:5], v[14:15]
	v_mov_b64_e32 v[2:3], v[16:17]
	s_branch .LBB73_54
.LBB73_40:                              ;   in Loop: Header=BB73_17 Depth=1
	s_lshl_b32 s8, s35, 2
	v_mov_b32_e32 v2, s8
	ds_read2st64_b32 v[2:3], v2 offset0:18 offset1:20
	s_mov_b32 s36, 0
	s_waitcnt lgkmcnt(0)
	v_add_u32_e32 v35, v2, v27
	v_add_u32_e32 v36, v3, v28
	;; [unrolled: 1-line block ×4, first 2 shown]
	s_mov_b64 s[8:9], -1
	s_and_b64 vcc, exec, s[26:27]
                                        ; implicit-def: $vgpr4_vgpr5
	s_cbranch_vccz .LBB73_47
	s_branch .LBB73_42
.LBB73_41:                              ;   in Loop: Header=BB73_47 Depth=2
	v_mov_b64_e32 v[14:15], v[4:5]
	v_mov_b64_e32 v[16:17], v[2:3]
	s_mov_b64 s[8:9], -1
	s_and_b64 vcc, exec, s[26:27]
                                        ; implicit-def: $vgpr4_vgpr5
	s_cbranch_vccz .LBB73_47
.LBB73_42:                              ;   in Loop: Header=BB73_17 Depth=1
	v_mov_b64_e32 v[4:5], 0
	v_mov_b64_e32 v[8:9], 0
	;; [unrolled: 1-line block ×3, first 2 shown]
	s_and_saveexec_b64 s[8:9], s[0:1]
	s_cbranch_execz .LBB73_44
; %bb.43:                               ;   in Loop: Header=BB73_17 Depth=1
	v_ashrrev_i32_e32 v21, 31, v20
	v_lshl_add_u64 v[2:3], v[20:21], 4, s[24:25]
	global_load_dwordx4 v[8:11], v[2:3], off
.LBB73_44:                              ;   in Loop: Header=BB73_17 Depth=1
	s_or_b64 exec, exec, s[8:9]
	v_mov_b64_e32 v[6:7], 0
	s_and_saveexec_b64 s[8:9], s[2:3]
	s_cbranch_execz .LBB73_46
; %bb.45:                               ;   in Loop: Header=BB73_17 Depth=1
	v_ashrrev_i32_e32 v19, 31, v18
	v_lshl_add_u64 v[2:3], v[18:19], 4, s[24:25]
	global_load_dwordx4 v[4:7], v[2:3], off
.LBB73_46:                              ;   in Loop: Header=BB73_17 Depth=1
	s_or_b64 exec, exec, s[8:9]
	s_waitcnt vmcnt(0)
	v_fma_f64 v[2:3], v[8:9], v[4:5], v[16:17]
	v_fma_f64 v[4:5], v[10:11], v[4:5], v[14:15]
	v_fmac_f64_e32 v[2:3], v[10:11], v[6:7]
	v_fma_f64 v[4:5], v[8:9], -v[6:7], v[4:5]
	s_mov_b64 s[8:9], 0
.LBB73_47:                              ;   Parent Loop BB73_17 Depth=1
                                        ; =>  This Inner Loop Header: Depth=2
	s_and_b64 vcc, exec, s[8:9]
	s_cbranch_vccz .LBB73_53
; %bb.48:                               ;   in Loop: Header=BB73_47 Depth=2
	v_mov_b64_e32 v[2:3], 0
	v_mov_b64_e32 v[6:7], 0
	;; [unrolled: 1-line block ×3, first 2 shown]
	s_and_saveexec_b64 s[8:9], s[0:1]
	s_cbranch_execz .LBB73_50
; %bb.49:                               ;   in Loop: Header=BB73_47 Depth=2
	v_add_u32_e32 v4, s36, v35
	v_ashrrev_i32_e32 v5, 31, v4
	v_lshl_add_u64 v[4:5], v[4:5], 4, s[24:25]
	global_load_dwordx4 v[6:9], v[4:5], off
.LBB73_50:                              ;   in Loop: Header=BB73_47 Depth=2
	s_or_b64 exec, exec, s[8:9]
	v_mov_b64_e32 v[4:5], 0
	s_and_saveexec_b64 s[8:9], s[2:3]
	s_cbranch_execz .LBB73_52
; %bb.51:                               ;   in Loop: Header=BB73_47 Depth=2
	v_add_u32_e32 v2, s36, v36
	v_ashrrev_i32_e32 v3, 31, v2
	v_lshl_add_u64 v[2:3], v[2:3], 4, s[24:25]
	global_load_dwordx4 v[2:5], v[2:3], off
.LBB73_52:                              ;   in Loop: Header=BB73_47 Depth=2
	s_or_b64 exec, exec, s[8:9]
	s_waitcnt vmcnt(0)
	v_fmac_f64_e32 v[16:17], v[6:7], v[2:3]
	v_fmac_f64_e32 v[16:17], v[8:9], v[4:5]
	;; [unrolled: 1-line block ×3, first 2 shown]
	v_fma_f64 v[4:5], v[6:7], -v[4:5], v[14:15]
	v_mov_b64_e32 v[2:3], v[16:17]
.LBB73_53:                              ;   in Loop: Header=BB73_47 Depth=2
	s_add_i32 s36, s36, 1
	v_add_u32_e32 v18, s41, v18
	s_cmp_eq_u32 s41, s36
	v_add_u32_e32 v20, s41, v20
	s_cbranch_scc0 .LBB73_41
.LBB73_54:                              ;   in Loop: Header=BB73_17 Depth=1
	s_add_i32 s8, s35, 1
	s_cmp_eq_u32 s35, s34
	s_cbranch_scc0 .LBB73_38
.LBB73_55:                              ;   in Loop: Header=BB73_17 Depth=1
	s_and_b64 vcc, exec, s[6:7]
	ds_write_b128 v30, v[2:5]
	s_waitcnt lgkmcnt(0)
	s_cbranch_vccnz .LBB73_64
; %bb.56:                               ;   in Loop: Header=BB73_17 Depth=1
	s_mov_b32 s36, 0
	v_mov_b32_e32 v18, s31
	s_mov_b32 s31, 0
	s_branch .LBB73_58
.LBB73_57:                              ;   in Loop: Header=BB73_58 Depth=2
	v_mul_f64 v[20:21], v[10:11], v[10:11]
	v_fmac_f64_e32 v[20:21], v[14:15], v[14:15]
	v_div_scale_f64 v[36:37], s[8:9], v[20:21], v[20:21], 1.0
	v_rcp_f64_e32 v[38:39], v[36:37]
	s_waitcnt lgkmcnt(0)
	v_add_f64 v[6:7], v[2:3], -v[6:7]
	v_add_f64 v[4:5], v[4:5], -v[8:9]
	s_addk_i32 s36, 0x90
	v_fma_f64 v[2:3], -v[36:37], v[38:39], 1.0
	v_fmac_f64_e32 v[38:39], v[38:39], v[2:3]
	v_fma_f64 v[2:3], -v[36:37], v[38:39], 1.0
	v_fmac_f64_e32 v[38:39], v[38:39], v[2:3]
	v_div_scale_f64 v[2:3], vcc, 1.0, v[20:21], 1.0
	v_mul_f64 v[8:9], v[2:3], v[38:39]
	v_fma_f64 v[2:3], -v[36:37], v[8:9], v[2:3]
	s_nop 1
	v_div_fmas_f64 v[2:3], v[2:3], v[38:39], v[8:9]
	v_div_fixup_f64 v[8:9], v[2:3], v[20:21], 1.0
	v_mul_f64 v[2:3], v[10:11], v[4:5]
	v_fmac_f64_e32 v[2:3], v[6:7], v[14:15]
	v_mul_f64 v[6:7], v[10:11], -v[6:7]
	v_fmac_f64_e32 v[6:7], v[4:5], v[14:15]
	v_mul_f64 v[2:3], v[8:9], v[2:3]
	v_mul_f64 v[4:5], v[8:9], v[6:7]
	v_lshl_add_u32 v6, s31, 4, v31
	ds_write_b128 v16, v[2:5]
	s_waitcnt lgkmcnt(0)
	ds_read_b128 v[6:9], v6
	ds_read_b128 v[14:17], v23
	s_add_i32 s31, s31, 1
	s_cmp_eq_u32 s31, s41
	s_waitcnt lgkmcnt(0)
	v_fmac_f64_e32 v[14:15], v[2:3], v[6:7]
	v_fmac_f64_e32 v[16:17], v[4:5], v[6:7]
	;; [unrolled: 1-line block ×3, first 2 shown]
	v_fma_f64 v[16:17], v[2:3], -v[8:9], v[16:17]
	ds_write_b128 v23, v[14:17]
	s_waitcnt lgkmcnt(0)
	s_cbranch_scc1 .LBB73_64
.LBB73_58:                              ;   Parent Loop BB73_17 Depth=1
                                        ; =>  This Loop Header: Depth=2
                                        ;       Child Loop BB73_63 Depth 3
	s_lshl_b32 s8, s31, 4
	s_mul_i32 s9, s31, 0x90
	s_add_i32 s9, s9, s8
	v_mov_b32_e32 v2, s9
	ds_read_b128 v[6:9], v2
	v_add_u32_e32 v16, s8, v1
	ds_read_b128 v[2:5], v16
	s_waitcnt lgkmcnt(1)
	v_cmp_neq_f64_e32 vcc, 0, v[6:7]
	v_cmp_neq_f64_e64 s[8:9], 0, v[8:9]
	s_or_b64 vcc, vcc, s[8:9]
	v_cndmask_b32_e32 v11, 0, v9, vcc
	s_nor_b64 s[34:35], vcc, s[4:5]
	v_cndmask_b32_e32 v10, 0, v8, vcc
	v_cndmask_b32_e32 v15, v33, v7, vcc
	;; [unrolled: 1-line block ×3, first 2 shown]
	s_and_saveexec_b64 s[8:9], s[34:35]
	s_cbranch_execz .LBB73_62
; %bb.59:                               ;   in Loop: Header=BB73_58 Depth=2
	v_mbcnt_lo_u32_b32 v6, exec_lo, 0
	v_mbcnt_hi_u32_b32 v6, exec_hi, v6
	v_cmp_eq_u32_e32 vcc, 0, v6
	s_and_saveexec_b64 s[34:35], vcc
	s_cbranch_execz .LBB73_61
; %bb.60:                               ;   in Loop: Header=BB73_58 Depth=2
	global_atomic_smin v0, v18, s[18:19]
.LBB73_61:                              ;   in Loop: Header=BB73_58 Depth=2
	s_or_b64 exec, exec, s[34:35]
	v_mov_b64_e32 v[14:15], 1.0
	v_mov_b64_e32 v[10:11], 0
.LBB73_62:                              ;   in Loop: Header=BB73_58 Depth=2
	s_or_b64 exec, exec, s[8:9]
	v_lshl_add_u32 v6, s31, 4, v29
	ds_read_b128 v[6:9], v6
	s_cmp_eq_u32 s31, 0
	v_mov_b32_e32 v17, v1
	s_mov_b32 s8, s36
	s_mov_b32 s9, s31
	s_cbranch_scc1 .LBB73_57
.LBB73_63:                              ;   Parent Loop BB73_17 Depth=1
                                        ;     Parent Loop BB73_58 Depth=2
                                        ; =>    This Inner Loop Header: Depth=3
	v_mov_b32_e32 v19, s8
	ds_read_b128 v[36:39], v17
	ds_read_b128 v[40:43], v19
	s_add_i32 s9, s9, -1
	s_add_i32 s8, s8, 16
	v_add_u32_e32 v17, 16, v17
	s_cmp_eq_u32 s9, 0
	s_waitcnt lgkmcnt(0)
	v_fmac_f64_e32 v[6:7], v[40:41], v[36:37]
	v_fmac_f64_e32 v[8:9], v[42:43], v[36:37]
	;; [unrolled: 1-line block ×3, first 2 shown]
	v_fma_f64 v[8:9], v[40:41], -v[38:39], v[8:9]
	s_cbranch_scc0 .LBB73_63
	s_branch .LBB73_57
.LBB73_64:                              ;   in Loop: Header=BB73_17 Depth=1
	s_and_saveexec_b64 s[8:9], s[28:29]
	s_cbranch_execz .LBB73_16
; %bb.65:                               ;   in Loop: Header=BB73_17 Depth=1
	ds_read2_b64 v[2:5], v25 offset1:1
	v_mad_u64_u32 v[6:7], s[34:35], v34, s41, v[12:13]
	v_ashrrev_i32_e32 v7, 31, v6
	v_lshl_add_u64 v[6:7], v[6:7], 4, s[24:25]
	s_waitcnt lgkmcnt(0)
	global_store_dwordx4 v[6:7], v[2:5], off
	s_branch .LBB73_16
.LBB73_66:                              ;   in Loop: Header=BB73_17 Depth=1
                                        ; implicit-def: $sgpr30
	s_cbranch_execz .LBB73_17
.LBB73_67:
	s_cmp_eq_u32 s42, 0
	v_max_i32_e32 v0, v13, v22
	s_cselect_b64 vcc, -1, 0
	v_cmp_gt_i32_e64 s[0:1], s41, v0
	v_cndmask_b32_e32 v0, v13, v22, vcc
	s_mul_i32 s33, s33, s41
	v_mov_b64_e32 v[6:7], 0
	v_cndmask_b32_e32 v4, v22, v13, vcc
	v_add_u32_e32 v5, s33, v0
	v_mov_b64_e32 v[8:9], 0
	s_and_saveexec_b64 s[2:3], s[0:1]
	s_cbranch_execz .LBB73_69
; %bb.68:
	v_mad_u64_u32 v[0:1], s[4:5], v5, s41, v[4:5]
	v_ashrrev_i32_e32 v1, 31, v0
	v_lshl_add_u64 v[0:1], v[0:1], 4, s[24:25]
	global_load_dwordx4 v[6:9], v[0:1], off
.LBB73_69:
	s_or_b64 exec, exec, s[2:3]
	s_movk_i32 s4, 0x90
	v_mov_b32_e32 v0, 0x900
	v_mad_u32_u24 v14, v22, s4, v0
	s_movk_i32 s20, 0x900
	v_lshl_add_u32 v12, v13, 4, v14
	s_cmp_lt_i32 s41, 1
	s_waitcnt vmcnt(0)
	ds_write_b128 v12, v[6:9]
	s_waitcnt lgkmcnt(0)
	s_cbranch_scc1 .LBB73_86
; %bb.70:
	v_or_b32_e32 v1, v13, v22
	v_cmp_ne_u32_e64 s[2:3], 0, v1
	s_add_i32 s5, s16, s17
	v_lshlrev_b32_e32 v1, 4, v22
	s_mov_b32 s6, 0
	s_mov_b32 s21, 0
	v_add_u32_e32 v15, v14, v1
	v_add_u32_e32 v16, v24, v1
	v_mad_u32_u24 v17, v13, s4, v0
	s_brev_b32 s7, 8
	v_mov_b32_e32 v18, 0x260
	v_mov_b32_e32 v2, 0
	;; [unrolled: 1-line block ×6, first 2 shown]
	s_branch .LBB73_72
.LBB73_71:                              ;   in Loop: Header=BB73_72 Depth=1
	s_or_b64 exec, exec, s[4:5]
	s_add_i32 s21, s21, 1
	s_addk_i32 s20, 0xa0
	v_add_u32_e32 v14, 16, v14
	s_cmp_eq_u32 s41, s21
	v_add_u32_e32 v17, 16, v17
	s_waitcnt lgkmcnt(0)
	s_cbranch_scc1 .LBB73_86
.LBB73_72:                              ; =>This Inner Loop Header: Depth=1
	v_cmp_eq_u32_e32 vcc, s21, v22
	s_and_saveexec_b64 s[4:5], vcc
	s_cbranch_execz .LBB73_80
; %bb.73:                               ;   in Loop: Header=BB73_72 Depth=1
	ds_read_b128 v[6:9], v16
	ds_read_b128 v[26:29], v15
	s_waitcnt lgkmcnt(0)
	v_add_f64 v[0:1], v[26:27], -v[6:7]
	v_add_f64 v[10:11], v[28:29], -v[8:9]
	v_xor_b32_e32 v3, 0x80000000, v1
	v_cmp_gt_f64_e32 vcc, 0, v[0:1]
	v_xor_b32_e32 v6, 0x80000000, v11
                                        ; implicit-def: $vgpr8_vgpr9
	s_nop 0
	v_cndmask_b32_e32 v1, v1, v3, vcc
	v_cmp_gt_f64_e32 vcc, 0, v[10:11]
	s_nop 1
	v_cndmask_b32_e32 v7, v11, v6, vcc
	v_mov_b32_e32 v6, v10
	v_cmp_ngt_f64_e32 vcc, v[0:1], v[6:7]
	s_and_saveexec_b64 s[8:9], vcc
	s_xor_b64 s[8:9], exec, s[8:9]
	s_cbranch_execz .LBB73_77
; %bb.74:                               ;   in Loop: Header=BB73_72 Depth=1
	v_mov_b64_e32 v[8:9], 0
	v_cmp_neq_f64_e32 vcc, 0, v[10:11]
	s_and_saveexec_b64 s[12:13], vcc
	s_cbranch_execz .LBB73_76
; %bb.75:                               ;   in Loop: Header=BB73_72 Depth=1
	v_div_scale_f64 v[8:9], s[22:23], v[6:7], v[6:7], v[0:1]
	v_rcp_f64_e32 v[10:11], v[8:9]
	v_div_scale_f64 v[26:27], vcc, v[0:1], v[6:7], v[0:1]
	v_fma_f64 v[28:29], -v[8:9], v[10:11], 1.0
	v_fmac_f64_e32 v[10:11], v[10:11], v[28:29]
	v_fma_f64 v[28:29], -v[8:9], v[10:11], 1.0
	v_fmac_f64_e32 v[10:11], v[10:11], v[28:29]
	v_mul_f64 v[28:29], v[26:27], v[10:11]
	v_fma_f64 v[8:9], -v[8:9], v[28:29], v[26:27]
	v_div_fmas_f64 v[8:9], v[8:9], v[10:11], v[28:29]
	v_div_fixup_f64 v[0:1], v[8:9], v[6:7], v[0:1]
	v_fma_f64 v[0:1], v[0:1], v[0:1], 1.0
	v_cmp_gt_f64_e32 vcc, s[6:7], v[0:1]
	s_nop 1
	v_cndmask_b32_e32 v3, 0, v19, vcc
	v_ldexp_f64 v[0:1], v[0:1], v3
	v_rsq_f64_e32 v[8:9], v[0:1]
	v_cndmask_b32_e32 v3, 0, v20, vcc
	v_cmp_class_f64_e32 vcc, v[0:1], v18
	v_mul_f64 v[10:11], v[0:1], v[8:9]
	v_mul_f64 v[8:9], v[8:9], 0.5
	v_fma_f64 v[26:27], -v[8:9], v[10:11], 0.5
	v_fmac_f64_e32 v[10:11], v[10:11], v[26:27]
	v_fma_f64 v[28:29], -v[10:11], v[10:11], v[0:1]
	v_fmac_f64_e32 v[8:9], v[8:9], v[26:27]
	v_fmac_f64_e32 v[10:11], v[28:29], v[8:9]
	v_fma_f64 v[26:27], -v[10:11], v[10:11], v[0:1]
	v_fmac_f64_e32 v[10:11], v[26:27], v[8:9]
	v_ldexp_f64 v[8:9], v[10:11], v3
	v_cndmask_b32_e32 v1, v9, v1, vcc
	v_cndmask_b32_e32 v0, v8, v0, vcc
	v_mul_f64 v[8:9], v[6:7], v[0:1]
.LBB73_76:                              ;   in Loop: Header=BB73_72 Depth=1
	s_or_b64 exec, exec, s[12:13]
                                        ; implicit-def: $vgpr0_vgpr1
                                        ; implicit-def: $vgpr6_vgpr7
.LBB73_77:                              ;   in Loop: Header=BB73_72 Depth=1
	s_andn2_saveexec_b64 s[8:9], s[8:9]
	s_cbranch_execz .LBB73_79
; %bb.78:                               ;   in Loop: Header=BB73_72 Depth=1
	v_div_scale_f64 v[8:9], s[12:13], v[0:1], v[0:1], v[6:7]
	v_rcp_f64_e32 v[10:11], v[8:9]
	v_div_scale_f64 v[26:27], vcc, v[6:7], v[0:1], v[6:7]
	v_fma_f64 v[28:29], -v[8:9], v[10:11], 1.0
	v_fmac_f64_e32 v[10:11], v[10:11], v[28:29]
	v_fma_f64 v[28:29], -v[8:9], v[10:11], 1.0
	v_fmac_f64_e32 v[10:11], v[10:11], v[28:29]
	v_mul_f64 v[28:29], v[26:27], v[10:11]
	v_fma_f64 v[8:9], -v[8:9], v[28:29], v[26:27]
	v_div_fmas_f64 v[8:9], v[8:9], v[10:11], v[28:29]
	v_div_fixup_f64 v[6:7], v[8:9], v[0:1], v[6:7]
	v_fma_f64 v[6:7], v[6:7], v[6:7], 1.0
	v_cmp_gt_f64_e32 vcc, s[6:7], v[6:7]
	s_nop 1
	v_cndmask_b32_e32 v3, 0, v19, vcc
	v_ldexp_f64 v[6:7], v[6:7], v3
	v_rsq_f64_e32 v[8:9], v[6:7]
	v_cndmask_b32_e32 v3, 0, v20, vcc
	v_cmp_class_f64_e32 vcc, v[6:7], v18
	v_mul_f64 v[10:11], v[6:7], v[8:9]
	v_mul_f64 v[8:9], v[8:9], 0.5
	v_fma_f64 v[26:27], -v[8:9], v[10:11], 0.5
	v_fmac_f64_e32 v[10:11], v[10:11], v[26:27]
	v_fma_f64 v[28:29], -v[10:11], v[10:11], v[6:7]
	v_fmac_f64_e32 v[8:9], v[8:9], v[26:27]
	v_fmac_f64_e32 v[10:11], v[28:29], v[8:9]
	v_fma_f64 v[26:27], -v[10:11], v[10:11], v[6:7]
	v_fmac_f64_e32 v[10:11], v[26:27], v[8:9]
	v_ldexp_f64 v[8:9], v[10:11], v3
	v_cndmask_b32_e32 v7, v9, v7, vcc
	v_cndmask_b32_e32 v6, v8, v6, vcc
	v_mul_f64 v[8:9], v[0:1], v[6:7]
.LBB73_79:                              ;   in Loop: Header=BB73_72 Depth=1
	s_or_b64 exec, exec, s[8:9]
	v_cmp_gt_f64_e32 vcc, s[6:7], v[8:9]
	s_nop 1
	v_cndmask_b32_e32 v0, 0, v19, vcc
	v_ldexp_f64 v[0:1], v[8:9], v0
	v_rsq_f64_e32 v[6:7], v[0:1]
	v_cndmask_b32_e32 v3, 0, v20, vcc
	v_cmp_class_f64_e32 vcc, v[0:1], v18
	v_mul_f64 v[8:9], v[0:1], v[6:7]
	v_mul_f64 v[6:7], v[6:7], 0.5
	v_fma_f64 v[10:11], -v[6:7], v[8:9], 0.5
	v_fmac_f64_e32 v[8:9], v[8:9], v[10:11]
	v_fmac_f64_e32 v[6:7], v[6:7], v[10:11]
	v_fma_f64 v[10:11], -v[8:9], v[8:9], v[0:1]
	v_fmac_f64_e32 v[8:9], v[10:11], v[6:7]
	v_fma_f64 v[10:11], -v[8:9], v[8:9], v[0:1]
	v_fmac_f64_e32 v[8:9], v[10:11], v[6:7]
	v_ldexp_f64 v[6:7], v[8:9], v3
	v_cndmask_b32_e32 v1, v7, v1, vcc
	v_cndmask_b32_e32 v0, v6, v0, vcc
	v_mov_b32_e32 v3, v2
	ds_write_b128 v15, v[0:3]
.LBB73_80:                              ;   in Loop: Header=BB73_72 Depth=1
	s_or_b64 exec, exec, s[4:5]
	v_mov_b32_e32 v0, s20
	s_waitcnt lgkmcnt(0)
	ds_read_b128 v[6:9], v0
	s_waitcnt lgkmcnt(0)
	v_cmp_neq_f64_e32 vcc, 0, v[6:7]
	v_cmp_neq_f64_e64 s[4:5], 0, v[8:9]
	s_or_b64 vcc, vcc, s[4:5]
	v_cndmask_b32_e32 v1, 0, v9, vcc
	s_nor_b64 s[8:9], vcc, s[2:3]
	v_cndmask_b32_e32 v0, 0, v8, vcc
	v_cndmask_b32_e32 v7, v21, v7, vcc
	;; [unrolled: 1-line block ×3, first 2 shown]
	s_and_saveexec_b64 s[4:5], s[8:9]
	s_cbranch_execz .LBB73_84
; %bb.81:                               ;   in Loop: Header=BB73_72 Depth=1
	v_mbcnt_lo_u32_b32 v0, exec_lo, 0
	v_mbcnt_hi_u32_b32 v0, exec_hi, v0
	v_cmp_eq_u32_e32 vcc, 0, v0
	s_and_saveexec_b64 s[8:9], vcc
	s_cbranch_execz .LBB73_83
; %bb.82:                               ;   in Loop: Header=BB73_72 Depth=1
	global_atomic_smin v2, v24, s[18:19]
.LBB73_83:                              ;   in Loop: Header=BB73_72 Depth=1
	s_or_b64 exec, exec, s[8:9]
	v_mov_b64_e32 v[6:7], 1.0
	v_mov_b64_e32 v[0:1], 0
.LBB73_84:                              ;   in Loop: Header=BB73_72 Depth=1
	s_or_b64 exec, exec, s[4:5]
	v_cmp_lt_u32_e32 vcc, s21, v22
	s_and_saveexec_b64 s[4:5], vcc
	s_cbranch_execz .LBB73_71
; %bb.85:                               ;   in Loop: Header=BB73_72 Depth=1
	v_mul_f64 v[30:31], v[0:1], v[0:1]
	v_fmac_f64_e32 v[30:31], v[6:7], v[6:7]
	ds_read_b128 v[8:11], v14
	ds_read_b128 v[26:29], v14 offset:1152
	v_div_scale_f64 v[32:33], s[8:9], v[30:31], v[30:31], 1.0
	v_rcp_f64_e32 v[34:35], v[32:33]
	s_waitcnt lgkmcnt(0)
	v_add_f64 v[26:27], v[8:9], -v[26:27]
	v_add_f64 v[10:11], v[10:11], -v[28:29]
	v_fma_f64 v[8:9], -v[32:33], v[34:35], 1.0
	v_fmac_f64_e32 v[34:35], v[34:35], v[8:9]
	v_fma_f64 v[8:9], -v[32:33], v[34:35], 1.0
	v_fmac_f64_e32 v[34:35], v[34:35], v[8:9]
	v_div_scale_f64 v[8:9], vcc, 1.0, v[30:31], 1.0
	v_mul_f64 v[28:29], v[8:9], v[34:35]
	v_fma_f64 v[8:9], -v[32:33], v[28:29], v[8:9]
	s_nop 1
	v_div_fmas_f64 v[8:9], v[8:9], v[34:35], v[28:29]
	v_div_fixup_f64 v[28:29], v[8:9], v[30:31], 1.0
	v_mul_f64 v[8:9], v[0:1], v[10:11]
	v_mul_f64 v[0:1], v[0:1], -v[26:27]
	v_fmac_f64_e32 v[8:9], v[26:27], v[6:7]
	v_fmac_f64_e32 v[0:1], v[10:11], v[6:7]
	v_mul_f64 v[8:9], v[28:29], v[8:9]
	v_mul_f64 v[10:11], v[28:29], v[0:1]
	ds_write_b128 v14, v[8:11]
	s_waitcnt lgkmcnt(0)
	ds_read_b128 v[26:29], v17
	ds_read_b128 v[30:33], v23
	s_waitcnt lgkmcnt(0)
	v_fmac_f64_e32 v[30:31], v[8:9], v[26:27]
	v_fmac_f64_e32 v[32:33], v[10:11], v[26:27]
	;; [unrolled: 1-line block ×3, first 2 shown]
	v_fma_f64 v[32:33], v[8:9], -v[28:29], v[32:33]
	ds_write_b128 v23, v[30:33]
	s_branch .LBB73_71
.LBB73_86:
	s_and_saveexec_b64 s[2:3], s[0:1]
	s_cbranch_execz .LBB73_88
; %bb.87:
	ds_read2_b64 v[0:3], v12 offset1:1
	v_mad_u64_u32 v[4:5], s[0:1], v5, s41, v[4:5]
	v_ashrrev_i32_e32 v5, 31, v4
	v_lshl_add_u64 v[4:5], v[4:5], 4, s[24:25]
	s_waitcnt lgkmcnt(0)
	global_store_dwordx4 v[4:5], v[0:3], off
.LBB73_88:
	s_or_b64 exec, exec, s[2:3]
	s_nop 0
	v_or_b32_e32 v0, v13, v22
	v_cmp_eq_u32_e32 vcc, 0, v0
	s_and_saveexec_b64 s[0:1], vcc
	s_cbranch_execz .LBB73_90
; %bb.89:
	s_add_u32 s2, s14, s10
	s_addc_u32 s3, s15, s11
	v_mov_b32_e32 v0, 0
	v_mov_b32_e32 v1, 1
	buffer_wbl2 sc1
	s_waitcnt vmcnt(0)
	global_store_dword v0, v1, s[2:3] sc1
.LBB73_90:
	s_or_b64 exec, exec, s[0:1]
.LBB73_91:
	s_endpgm
.LBB73_92:
	s_cbranch_execz .LBB73_91
; %bb.93:
	v_or_b32_e32 v0, v13, v22
	v_cmp_eq_u32_e32 vcc, 0, v0
	s_and_saveexec_b64 s[0:1], vcc
	s_cbranch_execz .LBB73_91
; %bb.94:
	v_mbcnt_lo_u32_b32 v0, exec_lo, 0
	v_mbcnt_hi_u32_b32 v0, exec_hi, v0
	v_cmp_eq_u32_e32 vcc, 0, v0
	s_and_saveexec_b64 s[0:1], vcc
	s_cbranch_execz .LBB73_96
; %bb.95:
	s_add_i32 s2, s16, s17
	v_mov_b32_e32 v0, 0
	v_mov_b32_e32 v1, s2
	global_atomic_smin v0, v1, s[18:19]
.LBB73_96:
	s_or_b64 exec, exec, s[0:1]
	s_add_u32 s0, s14, s10
	s_addc_u32 s1, s15, s11
	v_mov_b32_e32 v0, 0
	v_mov_b32_e32 v1, 1
	buffer_wbl2 sc1
	s_waitcnt vmcnt(0)
	global_store_dword v0, v1, s[0:1] sc1
	s_endpgm
	.section	.rodata,"a",@progbits
	.p2align	6, 0x0
	.amdhsa_kernel _ZN9rocsparseL17bsric0_2_8_kernelILi64ELi128ELi8E21rocsparse_complex_numIdEEEv20rocsparse_direction_iiPKiS5_PT2_S5_PiS5_S8_21rocsparse_index_base_
		.amdhsa_group_segment_fixed_size 6144
		.amdhsa_private_segment_fixed_size 0
		.amdhsa_kernarg_size 76
		.amdhsa_user_sgpr_count 2
		.amdhsa_user_sgpr_dispatch_ptr 0
		.amdhsa_user_sgpr_queue_ptr 0
		.amdhsa_user_sgpr_kernarg_segment_ptr 1
		.amdhsa_user_sgpr_dispatch_id 0
		.amdhsa_user_sgpr_kernarg_preload_length 0
		.amdhsa_user_sgpr_kernarg_preload_offset 0
		.amdhsa_user_sgpr_private_segment_size 0
		.amdhsa_uses_dynamic_stack 0
		.amdhsa_enable_private_segment 0
		.amdhsa_system_sgpr_workgroup_id_x 1
		.amdhsa_system_sgpr_workgroup_id_y 0
		.amdhsa_system_sgpr_workgroup_id_z 0
		.amdhsa_system_sgpr_workgroup_info 0
		.amdhsa_system_vgpr_workitem_id 1
		.amdhsa_next_free_vgpr 68
		.amdhsa_next_free_sgpr 75
		.amdhsa_accum_offset 68
		.amdhsa_reserve_vcc 1
		.amdhsa_float_round_mode_32 0
		.amdhsa_float_round_mode_16_64 0
		.amdhsa_float_denorm_mode_32 3
		.amdhsa_float_denorm_mode_16_64 3
		.amdhsa_dx10_clamp 1
		.amdhsa_ieee_mode 1
		.amdhsa_fp16_overflow 0
		.amdhsa_tg_split 0
		.amdhsa_exception_fp_ieee_invalid_op 0
		.amdhsa_exception_fp_denorm_src 0
		.amdhsa_exception_fp_ieee_div_zero 0
		.amdhsa_exception_fp_ieee_overflow 0
		.amdhsa_exception_fp_ieee_underflow 0
		.amdhsa_exception_fp_ieee_inexact 0
		.amdhsa_exception_int_div_zero 0
	.end_amdhsa_kernel
	.section	.text._ZN9rocsparseL17bsric0_2_8_kernelILi64ELi128ELi8E21rocsparse_complex_numIdEEEv20rocsparse_direction_iiPKiS5_PT2_S5_PiS5_S8_21rocsparse_index_base_,"axG",@progbits,_ZN9rocsparseL17bsric0_2_8_kernelILi64ELi128ELi8E21rocsparse_complex_numIdEEEv20rocsparse_direction_iiPKiS5_PT2_S5_PiS5_S8_21rocsparse_index_base_,comdat
.Lfunc_end73:
	.size	_ZN9rocsparseL17bsric0_2_8_kernelILi64ELi128ELi8E21rocsparse_complex_numIdEEEv20rocsparse_direction_iiPKiS5_PT2_S5_PiS5_S8_21rocsparse_index_base_, .Lfunc_end73-_ZN9rocsparseL17bsric0_2_8_kernelILi64ELi128ELi8E21rocsparse_complex_numIdEEEv20rocsparse_direction_iiPKiS5_PT2_S5_PiS5_S8_21rocsparse_index_base_
                                        ; -- End function
	.set _ZN9rocsparseL17bsric0_2_8_kernelILi64ELi128ELi8E21rocsparse_complex_numIdEEEv20rocsparse_direction_iiPKiS5_PT2_S5_PiS5_S8_21rocsparse_index_base_.num_vgpr, 68
	.set _ZN9rocsparseL17bsric0_2_8_kernelILi64ELi128ELi8E21rocsparse_complex_numIdEEEv20rocsparse_direction_iiPKiS5_PT2_S5_PiS5_S8_21rocsparse_index_base_.num_agpr, 0
	.set _ZN9rocsparseL17bsric0_2_8_kernelILi64ELi128ELi8E21rocsparse_complex_numIdEEEv20rocsparse_direction_iiPKiS5_PT2_S5_PiS5_S8_21rocsparse_index_base_.numbered_sgpr, 50
	.set _ZN9rocsparseL17bsric0_2_8_kernelILi64ELi128ELi8E21rocsparse_complex_numIdEEEv20rocsparse_direction_iiPKiS5_PT2_S5_PiS5_S8_21rocsparse_index_base_.num_named_barrier, 0
	.set _ZN9rocsparseL17bsric0_2_8_kernelILi64ELi128ELi8E21rocsparse_complex_numIdEEEv20rocsparse_direction_iiPKiS5_PT2_S5_PiS5_S8_21rocsparse_index_base_.private_seg_size, 0
	.set _ZN9rocsparseL17bsric0_2_8_kernelILi64ELi128ELi8E21rocsparse_complex_numIdEEEv20rocsparse_direction_iiPKiS5_PT2_S5_PiS5_S8_21rocsparse_index_base_.uses_vcc, 1
	.set _ZN9rocsparseL17bsric0_2_8_kernelILi64ELi128ELi8E21rocsparse_complex_numIdEEEv20rocsparse_direction_iiPKiS5_PT2_S5_PiS5_S8_21rocsparse_index_base_.uses_flat_scratch, 0
	.set _ZN9rocsparseL17bsric0_2_8_kernelILi64ELi128ELi8E21rocsparse_complex_numIdEEEv20rocsparse_direction_iiPKiS5_PT2_S5_PiS5_S8_21rocsparse_index_base_.has_dyn_sized_stack, 0
	.set _ZN9rocsparseL17bsric0_2_8_kernelILi64ELi128ELi8E21rocsparse_complex_numIdEEEv20rocsparse_direction_iiPKiS5_PT2_S5_PiS5_S8_21rocsparse_index_base_.has_recursion, 0
	.set _ZN9rocsparseL17bsric0_2_8_kernelILi64ELi128ELi8E21rocsparse_complex_numIdEEEv20rocsparse_direction_iiPKiS5_PT2_S5_PiS5_S8_21rocsparse_index_base_.has_indirect_call, 0
	.section	.AMDGPU.csdata,"",@progbits
; Kernel info:
; codeLenInByte = 4780
; TotalNumSgprs: 56
; NumVgprs: 68
; NumAgprs: 0
; TotalNumVgprs: 68
; ScratchSize: 0
; MemoryBound: 1
; FloatMode: 240
; IeeeMode: 1
; LDSByteSize: 6144 bytes/workgroup (compile time only)
; SGPRBlocks: 10
; VGPRBlocks: 8
; NumSGPRsForWavesPerEU: 81
; NumVGPRsForWavesPerEU: 68
; AccumOffset: 68
; Occupancy: 7
; WaveLimiterHint : 1
; COMPUTE_PGM_RSRC2:SCRATCH_EN: 0
; COMPUTE_PGM_RSRC2:USER_SGPR: 2
; COMPUTE_PGM_RSRC2:TRAP_HANDLER: 0
; COMPUTE_PGM_RSRC2:TGID_X_EN: 1
; COMPUTE_PGM_RSRC2:TGID_Y_EN: 0
; COMPUTE_PGM_RSRC2:TGID_Z_EN: 0
; COMPUTE_PGM_RSRC2:TIDIG_COMP_CNT: 1
; COMPUTE_PGM_RSRC3_GFX90A:ACCUM_OFFSET: 16
; COMPUTE_PGM_RSRC3_GFX90A:TG_SPLIT: 0
	.section	.text._ZN9rocsparseL18bsric0_9_16_kernelILi64ELi128ELi16E21rocsparse_complex_numIdEEEv20rocsparse_direction_iiPKiS5_PT2_S5_PiS5_S8_21rocsparse_index_base_,"axG",@progbits,_ZN9rocsparseL18bsric0_9_16_kernelILi64ELi128ELi16E21rocsparse_complex_numIdEEEv20rocsparse_direction_iiPKiS5_PT2_S5_PiS5_S8_21rocsparse_index_base_,comdat
	.globl	_ZN9rocsparseL18bsric0_9_16_kernelILi64ELi128ELi16E21rocsparse_complex_numIdEEEv20rocsparse_direction_iiPKiS5_PT2_S5_PiS5_S8_21rocsparse_index_base_ ; -- Begin function _ZN9rocsparseL18bsric0_9_16_kernelILi64ELi128ELi16E21rocsparse_complex_numIdEEEv20rocsparse_direction_iiPKiS5_PT2_S5_PiS5_S8_21rocsparse_index_base_
	.p2align	8
	.type	_ZN9rocsparseL18bsric0_9_16_kernelILi64ELi128ELi16E21rocsparse_complex_numIdEEEv20rocsparse_direction_iiPKiS5_PT2_S5_PiS5_S8_21rocsparse_index_base_,@function
_ZN9rocsparseL18bsric0_9_16_kernelILi64ELi128ELi16E21rocsparse_complex_numIdEEEv20rocsparse_direction_iiPKiS5_PT2_S5_PiS5_S8_21rocsparse_index_base_: ; @_ZN9rocsparseL18bsric0_9_16_kernelILi64ELi128ELi16E21rocsparse_complex_numIdEEEv20rocsparse_direction_iiPKiS5_PT2_S5_PiS5_S8_21rocsparse_index_base_
; %bb.0:
	s_load_dwordx8 s[8:15], s[0:1], 0x28
	s_mov_b32 s3, 0
	s_lshl_b64 s[2:3], s[2:3], 2
	v_and_b32_e32 v13, 0x3ff, v0
	v_bfe_u32 v12, v0, 10, 10
	s_waitcnt lgkmcnt(0)
	s_add_u32 s2, s12, s2
	s_addc_u32 s3, s13, s3
	s_load_dword s20, s[2:3], 0x0
	s_waitcnt lgkmcnt(0)
	s_ashr_i32 s21, s20, 31
	s_lshl_b64 s[12:13], s[20:21], 2
	s_add_u32 s2, s8, s12
	s_addc_u32 s3, s9, s13
	s_load_dword s33, s[2:3], 0x0
	s_load_dword s21, s[0:1], 0x48
	s_waitcnt lgkmcnt(0)
	s_cmp_lg_u32 s33, -1
	s_cbranch_scc0 .LBB74_134
; %bb.1:
	s_load_dwordx4 s[16:19], s[0:1], 0x10
	s_load_dwordx2 s[22:23], s[0:1], 0x20
	v_lshlrev_b32_e32 v0, 2, v12
	v_lshlrev_b32_e32 v25, 4, v12
	s_waitcnt lgkmcnt(0)
	s_add_u32 s2, s16, s12
	s_addc_u32 s3, s17, s13
	s_load_dword s2, s[2:3], 0x0
	s_waitcnt lgkmcnt(0)
	s_sub_i32 s46, s2, s21
	v_add3_u32 v0, v0, v13, s46
	v_cmp_ge_i32_e32 vcc, s33, v0
	s_and_saveexec_b64 s[2:3], vcc
	s_cbranch_execz .LBB74_4
; %bb.2:
	v_lshlrev_b32_e32 v1, 2, v13
	s_movk_i32 s4, 0x4800
	v_add3_u32 v2, v25, v1, s4
	s_mov_b64 s[4:5], 0
.LBB74_3:                               ; =>This Inner Loop Header: Depth=1
	v_ashrrev_i32_e32 v1, 31, v0
	v_lshl_add_u64 v[4:5], v[0:1], 2, s[18:19]
	global_load_dword v1, v[4:5], off
	v_add_u32_e32 v0, 64, v0
	v_cmp_lt_i32_e32 vcc, s33, v0
	s_or_b64 s[4:5], vcc, s[4:5]
	s_waitcnt vmcnt(0)
	v_subrev_u32_e32 v1, s21, v1
	ds_write_b32 v2, v1
	v_add_u32_e32 v2, 0x100, v2
	s_andn2_b64 exec, exec, s[4:5]
	s_cbranch_execnz .LBB74_3
.LBB74_4:
	s_or_b64 exec, exec, s[2:3]
	v_cmp_gt_u32_e32 vcc, 16, v13
	v_lshlrev_b32_e32 v24, 4, v13
	s_and_saveexec_b64 s[2:3], vcc
	s_cbranch_execz .LBB74_7
; %bb.5:
	v_mul_u32_u24_e32 v1, 0x110, v12
	s_movk_i32 s4, 0x3300
	v_mov_b32_e32 v2, 0
	v_add_u32_e32 v0, -4, v13
	v_add3_u32 v1, v1, v24, s4
	s_mov_b64 s[4:5], 0
	v_mov_b32_e32 v3, v2
	v_mov_b32_e32 v4, v2
	;; [unrolled: 1-line block ×3, first 2 shown]
.LBB74_6:                               ; =>This Inner Loop Header: Depth=1
	v_add_u32_e32 v0, 4, v0
	v_cmp_lt_u32_e32 vcc, 11, v0
	ds_write_b128 v1, v[2:5]
	s_or_b64 s[4:5], vcc, s[4:5]
	v_add_u32_e32 v1, 64, v1
	s_andn2_b64 exec, exec, s[4:5]
	s_cbranch_execnz .LBB74_6
.LBB74_7:
	s_or_b64 exec, exec, s[2:3]
	s_load_dword s44, s[0:1], 0x8
	s_load_dword s45, s[0:1], 0x0
	s_cmp_ge_i32 s46, s33
	s_waitcnt lgkmcnt(0)
	v_cmp_gt_i32_e64 s[0:1], s44, v13
	s_cbranch_scc1 .LBB74_89
; %bb.8:
	s_movk_i32 s6, 0x110
	v_mov_b32_e32 v1, 0x1100
	s_cmp_lg_u32 s45, 0
	v_mov_b32_e32 v0, 0x2200
	v_mad_u32_u24 v27, v12, s6, v1
	v_or_b32_e32 v1, v13, v12
	s_mul_i32 s7, s44, s46
	s_cselect_b64 s[24:25], -1, 0
	v_mad_u32_u24 v26, v12, s6, v0
	s_cmp_gt_i32 s44, 0
	v_cmp_ne_u32_e64 s[4:5], 0, v1
	v_mad_u32_u24 v29, v12, s6, v24
	v_add_u32_e32 v1, s7, v12
	v_mad_u32_u24 v34, v13, s6, v0
	v_mov_b32_e32 v0, 0
	v_cmp_gt_i32_e64 s[2:3], s44, v12
	s_mul_i32 s47, s44, s44
	v_mul_lo_u32 v28, s44, v12
	s_cselect_b64 s[26:27], -1, 0
	v_add_u32_e32 v30, 0x1100, v29
	v_mul_lo_u32 v32, s44, v1
	v_mul_lo_u32 v31, v13, s44
	s_lshl_b32 s48, s44, 2
	v_add_u32_e32 v33, 0x3300, v29
	v_add_u32_e32 v35, 0x2200, v29
	v_mov_b32_e32 v1, v0
	v_mov_b32_e32 v2, v0
	;; [unrolled: 1-line block ×4, first 2 shown]
	s_mov_b32 s28, s46
	s_branch .LBB74_10
.LBB74_9:                               ;   in Loop: Header=BB74_10 Depth=1
	s_or_b64 exec, exec, s[6:7]
	s_add_i32 s28, s28, 1
	s_cmp_ge_i32 s28, s33
	buffer_wbl2 sc1
	s_waitcnt vmcnt(0)
	buffer_inv sc1
	v_add_u32_e32 v32, s47, v32
	s_cselect_b64 s[6:7], -1, 0
	s_and_b64 vcc, exec, s[6:7]
	s_cbranch_vccnz .LBB74_89
.LBB74_10:                              ; =>This Loop Header: Depth=1
                                        ;     Child Loop BB74_14 Depth 2
                                        ;     Child Loop BB74_26 Depth 2
	;; [unrolled: 1-line block ×5, first 2 shown]
                                        ;       Child Loop BB74_56 Depth 3
                                        ;     Child Loop BB74_70 Depth 2
                                        ;       Child Loop BB74_75 Depth 3
                                        ;       Child Loop BB74_78 Depth 3
                                        ;     Child Loop BB74_84 Depth 2
	s_ashr_i32 s29, s28, 31
	s_lshl_b64 s[6:7], s[28:29], 2
	s_add_u32 s6, s18, s6
	s_addc_u32 s7, s19, s7
	s_load_dword s49, s[6:7], 0x0
	s_waitcnt lgkmcnt(0)
	s_sub_i32 s30, s49, s21
	s_ashr_i32 s31, s30, 31
	s_lshl_b64 s[6:7], s[30:31], 2
	s_add_u32 s34, s8, s6
	s_addc_u32 s35, s9, s7
	s_load_dword s31, s[34:35], 0x0
	s_waitcnt lgkmcnt(0)
	s_cmp_eq_u32 s31, -1
	s_cbranch_scc1 .LBB74_88
; %bb.11:                               ;   in Loop: Header=BB74_10 Depth=1
	s_add_u32 s34, s16, s6
	s_addc_u32 s35, s17, s7
	s_load_dword s50, s[34:35], 0x0
	s_mul_i32 s29, s28, s44
	s_and_saveexec_b64 s[34:35], s[0:1]
	s_cbranch_execz .LBB74_24
; %bb.12:                               ;   in Loop: Header=BB74_10 Depth=1
	s_mov_b64 s[36:37], 0
	v_mov_b32_e32 v6, v30
	v_mov_b32_e32 v7, v13
	s_branch .LBB74_14
.LBB74_13:                              ;   in Loop: Header=BB74_14 Depth=2
	s_or_b64 exec, exec, s[40:41]
	v_add_u32_e32 v7, 4, v7
	v_cmp_le_i32_e32 vcc, s44, v7
	s_waitcnt vmcnt(0)
	ds_write_b128 v6, v[8:11] offset:4352
	ds_write_b128 v6, v[0:3]
	s_or_b64 s[36:37], vcc, s[36:37]
	v_add_u32_e32 v6, 64, v6
	s_andn2_b64 exec, exec, s[36:37]
	s_cbranch_execz .LBB74_24
.LBB74_14:                              ;   Parent Loop BB74_10 Depth=1
                                        ; =>  This Inner Loop Header: Depth=2
	s_and_b64 vcc, exec, s[24:25]
	s_cbranch_vccz .LBB74_21
; %bb.15:                               ;   in Loop: Header=BB74_14 Depth=2
	s_mov_b64 s[40:41], 0
	s_mov_b64 s[38:39], 0
                                        ; implicit-def: $vgpr4
	s_and_saveexec_b64 s[42:43], s[2:3]
	s_xor_b64 s[42:43], exec, s[42:43]
; %bb.16:                               ;   in Loop: Header=BB74_14 Depth=2
	v_add_u32_e32 v4, s29, v7
	s_mov_b64 s[38:39], exec
	v_mad_u64_u32 v[4:5], s[52:53], v4, s44, v[12:13]
; %bb.17:                               ;   in Loop: Header=BB74_14 Depth=2
	s_or_b64 exec, exec, s[42:43]
	s_and_b64 vcc, exec, s[40:41]
	s_cbranch_vccz .LBB74_22
.LBB74_18:                              ;   in Loop: Header=BB74_14 Depth=2
                                        ; implicit-def: $vgpr4
	s_and_saveexec_b64 s[40:41], s[2:3]
; %bb.19:                               ;   in Loop: Header=BB74_14 Depth=2
	v_add_u32_e32 v4, v32, v7
	s_or_b64 s[38:39], s[38:39], exec
; %bb.20:                               ;   in Loop: Header=BB74_14 Depth=2
	s_or_b64 exec, exec, s[40:41]
	v_mov_b64_e32 v[8:9], 0
	v_mov_b64_e32 v[10:11], 0
	s_and_saveexec_b64 s[40:41], s[38:39]
	s_cbranch_execz .LBB74_13
	s_branch .LBB74_23
.LBB74_21:                              ;   in Loop: Header=BB74_14 Depth=2
	s_mov_b64 s[38:39], 0
                                        ; implicit-def: $vgpr4
	s_cbranch_execnz .LBB74_18
.LBB74_22:                              ;   in Loop: Header=BB74_14 Depth=2
	v_mov_b64_e32 v[8:9], 0
	v_mov_b64_e32 v[10:11], 0
	s_and_saveexec_b64 s[40:41], s[38:39]
	s_cbranch_execz .LBB74_13
.LBB74_23:                              ;   in Loop: Header=BB74_14 Depth=2
	v_ashrrev_i32_e32 v5, 31, v4
	v_lshl_add_u64 v[4:5], v[4:5], 4, s[22:23]
	global_load_dwordx4 v[8:11], v[4:5], off
	s_branch .LBB74_13
.LBB74_24:                              ;   in Loop: Header=BB74_10 Depth=1
	s_or_b64 exec, exec, s[34:35]
	ds_read_b32 v4, v0 offset:18432
	s_waitcnt lgkmcnt(0)
	s_sub_i32 s34, s50, s21
	s_cmp_le_i32 s34, s31
	s_cselect_b64 s[36:37], -1, 0
	s_mov_b32 s40, 0
	v_cmp_ge_i32_e32 vcc, s30, v4
	s_and_b64 s[36:37], s[36:37], vcc
	s_andn2_b64 vcc, exec, s[36:37]
	s_cbranch_vccnz .LBB74_36
; %bb.25:                               ;   in Loop: Header=BB74_10 Depth=1
	s_mov_b32 s38, 0
	s_mov_b32 s39, 0
.LBB74_26:                              ;   Parent Loop BB74_10 Depth=1
                                        ; =>  This Inner Loop Header: Depth=2
	s_ashr_i32 s35, s34, 31
	s_lshl_b64 s[36:37], s[34:35], 2
	s_add_u32 s36, s18, s36
	s_addc_u32 s37, s19, s37
	s_load_dword s35, s[36:37], 0x0
	s_lshl_b32 s36, s39, 2
	v_mov_b32_e32 v4, s36
	ds_read_b32 v4, v4 offset:18432
	s_mov_b64 s[36:37], -1
	s_waitcnt lgkmcnt(0)
	s_sub_i32 s43, s35, s21
                                        ; implicit-def: $sgpr40
                                        ; implicit-def: $sgpr42
                                        ; implicit-def: $sgpr41
	v_cmp_ge_i32_e32 vcc, s43, v4
	v_readfirstlane_b32 s35, v4
	s_cbranch_vccz .LBB74_32
; %bb.27:                               ;   in Loop: Header=BB74_26 Depth=2
	s_cmp_le_i32 s43, s35
                                        ; implicit-def: $sgpr40
                                        ; implicit-def: $sgpr42
                                        ; implicit-def: $sgpr41
	s_cbranch_scc0 .LBB74_29
; %bb.28:                               ;   in Loop: Header=BB74_26 Depth=2
	s_add_i32 s36, s39, s46
	s_mul_i32 s36, s36, s47
	s_lshl_b32 s37, s38, 2
	v_mov_b32_e32 v5, s36
	s_mul_i32 s36, s34, s47
	v_mov_b32_e32 v4, s37
	v_mov_b32_e32 v6, s36
	ds_write2st64_b32 v4, v6, v5 offset0:68 offset1:70
	s_add_i32 s41, s39, 1
	s_add_i32 s42, s34, 1
	;; [unrolled: 1-line block ×3, first 2 shown]
	s_mov_b64 s[36:37], 0
.LBB74_29:                              ;   in Loop: Header=BB74_26 Depth=2
	s_andn2_b64 vcc, exec, s[36:37]
	s_cbranch_vccnz .LBB74_31
; %bb.30:                               ;   in Loop: Header=BB74_26 Depth=2
	s_add_i32 s41, s39, 1
	s_mov_b32 s40, s38
	s_mov_b32 s42, s34
.LBB74_31:                              ;   in Loop: Header=BB74_26 Depth=2
	s_mov_b64 s[36:37], 0
.LBB74_32:                              ;   in Loop: Header=BB74_26 Depth=2
	s_andn2_b64 vcc, exec, s[36:37]
	s_cbranch_vccnz .LBB74_34
; %bb.33:                               ;   in Loop: Header=BB74_26 Depth=2
	s_add_i32 s42, s34, 1
	s_mov_b32 s41, s39
	s_mov_b32 s40, s38
.LBB74_34:                              ;   in Loop: Header=BB74_26 Depth=2
	s_cmp_le_i32 s42, s31
	s_cselect_b64 s[36:37], -1, 0
	s_cmp_le_i32 s35, s30
	s_cselect_b64 s[34:35], -1, 0
	s_and_b64 s[34:35], s[36:37], s[34:35]
	s_and_b64 vcc, exec, s[34:35]
	s_cbranch_vccz .LBB74_36
; %bb.35:                               ;   in Loop: Header=BB74_26 Depth=2
	s_mov_b32 s38, s40
	s_mov_b32 s34, s42
	;; [unrolled: 1-line block ×3, first 2 shown]
	s_branch .LBB74_26
.LBB74_36:                              ;   in Loop: Header=BB74_10 Depth=1
	s_add_u32 s6, s10, s6
	s_addc_u32 s7, s11, s7
	s_waitcnt lgkmcnt(0)
.LBB74_37:                              ;   Parent Loop BB74_10 Depth=1
                                        ; =>  This Inner Loop Header: Depth=2
	global_load_dword v4, v0, s[6:7] sc1
	s_waitcnt vmcnt(0)
	v_cmp_eq_u32_e32 vcc, 0, v4
	s_cbranch_vccnz .LBB74_37
; %bb.38:                               ;   in Loop: Header=BB74_10 Depth=1
	buffer_inv sc1
	s_and_saveexec_b64 s[6:7], s[0:1]
	s_cbranch_execz .LBB74_51
; %bb.39:                               ;   in Loop: Header=BB74_10 Depth=1
	s_mul_i32 s41, s31, s44
	v_add_u32_e32 v4, s41, v12
	v_mul_lo_u32 v6, v4, s44
	s_mov_b64 s[30:31], 0
	v_mov_b32_e32 v7, v29
	v_mov_b32_e32 v8, v13
	s_branch .LBB74_41
.LBB74_40:                              ;   in Loop: Header=BB74_41 Depth=2
	s_or_b64 exec, exec, s[36:37]
	v_add_u32_e32 v8, 4, v8
	v_cmp_le_i32_e32 vcc, s44, v8
	s_waitcnt vmcnt(0)
	ds_write_b128 v7, v[14:17]
	s_or_b64 s[30:31], vcc, s[30:31]
	v_add_u32_e32 v7, 64, v7
	s_andn2_b64 exec, exec, s[30:31]
	s_cbranch_execz .LBB74_51
.LBB74_41:                              ;   Parent Loop BB74_10 Depth=1
                                        ; =>  This Inner Loop Header: Depth=2
	s_and_b64 vcc, exec, s[24:25]
	s_cbranch_vccz .LBB74_48
; %bb.42:                               ;   in Loop: Header=BB74_41 Depth=2
	s_mov_b64 s[36:37], 0
	s_mov_b64 s[34:35], 0
                                        ; implicit-def: $vgpr4
	s_and_saveexec_b64 s[38:39], s[2:3]
	s_xor_b64 s[38:39], exec, s[38:39]
; %bb.43:                               ;   in Loop: Header=BB74_41 Depth=2
	v_add_u32_e32 v4, s41, v8
	s_mov_b64 s[34:35], exec
	v_mad_u64_u32 v[4:5], s[42:43], v4, s44, v[12:13]
; %bb.44:                               ;   in Loop: Header=BB74_41 Depth=2
	s_or_b64 exec, exec, s[38:39]
	s_and_b64 vcc, exec, s[36:37]
	s_cbranch_vccz .LBB74_49
.LBB74_45:                              ;   in Loop: Header=BB74_41 Depth=2
                                        ; implicit-def: $vgpr4
	s_and_saveexec_b64 s[36:37], s[2:3]
; %bb.46:                               ;   in Loop: Header=BB74_41 Depth=2
	v_add_u32_e32 v4, v6, v8
	s_or_b64 s[34:35], s[34:35], exec
; %bb.47:                               ;   in Loop: Header=BB74_41 Depth=2
	s_or_b64 exec, exec, s[36:37]
	v_mov_b64_e32 v[14:15], 0
	v_mov_b64_e32 v[16:17], 0
	s_and_saveexec_b64 s[36:37], s[34:35]
	s_cbranch_execz .LBB74_40
	s_branch .LBB74_50
.LBB74_48:                              ;   in Loop: Header=BB74_41 Depth=2
	s_mov_b64 s[34:35], 0
                                        ; implicit-def: $vgpr4
	s_cbranch_execnz .LBB74_45
.LBB74_49:                              ;   in Loop: Header=BB74_41 Depth=2
	v_mov_b64_e32 v[14:15], 0
	v_mov_b64_e32 v[16:17], 0
	s_and_saveexec_b64 s[36:37], s[34:35]
	s_cbranch_execz .LBB74_40
.LBB74_50:                              ;   in Loop: Header=BB74_41 Depth=2
	v_ashrrev_i32_e32 v5, 31, v4
	v_lshl_add_u64 v[4:5], v[4:5], 4, s[22:23]
	global_load_dwordx4 v[14:17], v[4:5], off
	s_branch .LBB74_40
.LBB74_51:                              ;   in Loop: Header=BB74_10 Depth=1
	s_or_b64 exec, exec, s[6:7]
	s_cmp_lt_i32 s40, 2
	s_cbranch_scc1 .LBB74_67
; %bb.52:                               ;   in Loop: Header=BB74_10 Depth=1
	s_add_i32 s36, s40, -2
	s_mov_b32 s37, 0
	s_branch .LBB74_54
.LBB74_53:                              ;   in Loop: Header=BB74_54 Depth=2
	s_or_b64 exec, exec, s[6:7]
	s_add_i32 s6, s37, 1
	s_cmp_eq_u32 s37, s36
	s_mov_b32 s37, s6
	s_cbranch_scc1 .LBB74_67
.LBB74_54:                              ;   Parent Loop BB74_10 Depth=1
                                        ; =>  This Loop Header: Depth=2
                                        ;       Child Loop BB74_56 Depth 3
	s_and_saveexec_b64 s[6:7], s[0:1]
	s_cbranch_execz .LBB74_53
; %bb.55:                               ;   in Loop: Header=BB74_54 Depth=2
	s_lshl_b32 s30, s37, 2
	v_mov_b32_e32 v4, s30
	ds_read2st64_b32 v[4:5], v4 offset0:68 offset1:70
	s_mov_b64 s[30:31], 0
	v_mov_b32_e32 v41, v13
	s_waitcnt lgkmcnt(0)
	v_add_u32_e32 v37, v5, v28
	v_add_u32_e32 v38, v12, v5
	;; [unrolled: 1-line block ×4, first 2 shown]
.LBB74_56:                              ;   Parent Loop BB74_10 Depth=1
                                        ;     Parent Loop BB74_54 Depth=2
                                        ; =>    This Inner Loop Header: Depth=3
	v_mov_b64_e32 v[18:19], 0
	s_mov_b32 s38, 0
	v_mov_b32_e32 v14, v39
	v_mov_b32_e32 v16, v38
	v_mov_b64_e32 v[20:21], 0
	s_and_b64 vcc, exec, s[24:25]
	s_cbranch_vccnz .LBB74_59
	s_branch .LBB74_58
.LBB74_57:                              ;   in Loop: Header=BB74_56 Depth=3
	v_mov_b64_e32 v[18:19], v[4:5]
	v_mov_b64_e32 v[20:21], v[22:23]
	s_and_b64 vcc, exec, s[24:25]
	s_cbranch_vccnz .LBB74_59
.LBB74_58:                              ;   in Loop: Header=BB74_56 Depth=3
                                        ; implicit-def: $vgpr4_vgpr5
                                        ; implicit-def: $vgpr22_vgpr23
	s_cbranch_execz .LBB74_65
	s_branch .LBB74_62
.LBB74_59:                              ;   in Loop: Header=BB74_56 Depth=3
	v_ashrrev_i32_e32 v15, 31, v14
	v_lshl_add_u64 v[4:5], v[14:15], 4, s[22:23]
	global_load_dwordx4 v[4:7], v[4:5], off
	v_mov_b64_e32 v[8:9], 0
	v_mov_b64_e32 v[10:11], 0
	s_and_saveexec_b64 s[34:35], s[2:3]
	s_cbranch_execz .LBB74_61
; %bb.60:                               ;   in Loop: Header=BB74_56 Depth=3
	v_ashrrev_i32_e32 v17, 31, v16
	v_lshl_add_u64 v[8:9], v[16:17], 4, s[22:23]
	global_load_dwordx4 v[8:11], v[8:9], off
.LBB74_61:                              ;   in Loop: Header=BB74_56 Depth=3
	s_or_b64 exec, exec, s[34:35]
	s_waitcnt vmcnt(0)
	v_fma_f64 v[22:23], v[4:5], v[8:9], v[20:21]
	v_fmac_f64_e32 v[22:23], v[6:7], v[10:11]
	v_fma_f64 v[6:7], v[6:7], v[8:9], v[18:19]
	v_fma_f64 v[4:5], v[4:5], -v[10:11], v[6:7]
	s_branch .LBB74_65
.LBB74_62:                              ;   in Loop: Header=BB74_56 Depth=3
	v_add_u32_e32 v4, s38, v40
	v_ashrrev_i32_e32 v5, 31, v4
	v_lshl_add_u64 v[4:5], v[4:5], 4, s[22:23]
	global_load_dwordx4 v[4:7], v[4:5], off
	v_mov_b64_e32 v[8:9], 0
	v_mov_b64_e32 v[10:11], 0
	s_and_saveexec_b64 s[34:35], s[2:3]
	s_cbranch_execz .LBB74_64
; %bb.63:                               ;   in Loop: Header=BB74_56 Depth=3
	v_add_u32_e32 v8, s38, v37
	v_ashrrev_i32_e32 v9, 31, v8
	v_lshl_add_u64 v[8:9], v[8:9], 4, s[22:23]
	global_load_dwordx4 v[8:11], v[8:9], off
.LBB74_64:                              ;   in Loop: Header=BB74_56 Depth=3
	s_or_b64 exec, exec, s[34:35]
	s_waitcnt vmcnt(0)
	v_fmac_f64_e32 v[20:21], v[4:5], v[8:9]
	v_fmac_f64_e32 v[20:21], v[6:7], v[10:11]
	;; [unrolled: 1-line block ×3, first 2 shown]
	v_fma_f64 v[4:5], v[4:5], -v[10:11], v[18:19]
	v_mov_b64_e32 v[22:23], v[20:21]
.LBB74_65:                              ;   in Loop: Header=BB74_56 Depth=3
	s_add_i32 s38, s38, 1
	v_add_u32_e32 v16, s44, v16
	s_cmp_eq_u32 s44, s38
	v_add_u32_e32 v14, s44, v14
	s_cbranch_scc0 .LBB74_57
; %bb.66:                               ;   in Loop: Header=BB74_56 Depth=3
	v_lshl_add_u32 v10, v41, 4, v27
	ds_read_b128 v[6:9], v10
	v_add_u32_e32 v41, 4, v41
	v_cmp_le_i32_e32 vcc, s44, v41
	v_add_u32_e32 v39, 4, v39
	s_or_b64 s[30:31], vcc, s[30:31]
	s_waitcnt lgkmcnt(0)
	v_add_f64 v[6:7], v[22:23], v[6:7]
	v_add_f64 v[8:9], v[4:5], v[8:9]
	v_add_u32_e32 v40, s48, v40
	ds_write_b128 v10, v[6:9]
	s_andn2_b64 exec, exec, s[30:31]
	s_cbranch_execnz .LBB74_56
	s_branch .LBB74_53
.LBB74_67:                              ;   in Loop: Header=BB74_10 Depth=1
	s_andn2_b64 vcc, exec, s[26:27]
	s_waitcnt lgkmcnt(0)
	s_cbranch_vccnz .LBB74_79
; %bb.68:                               ;   in Loop: Header=BB74_10 Depth=1
	s_mov_b32 s34, 0
	v_mov_b32_e32 v21, s49
	v_mov_b32_e32 v18, v34
	s_mov_b32 s35, 0
	s_branch .LBB74_70
.LBB74_69:                              ;   in Loop: Header=BB74_70 Depth=2
	s_or_b64 exec, exec, s[6:7]
	s_add_i32 s35, s35, 1
	s_addk_i32 s34, 0x110
	s_cmp_eq_u32 s35, s44
	v_add_u32_e32 v18, 16, v18
	s_waitcnt lgkmcnt(0)
	s_cbranch_scc1 .LBB74_79
.LBB74_70:                              ;   Parent Loop BB74_10 Depth=1
                                        ; =>  This Loop Header: Depth=2
                                        ;       Child Loop BB74_75 Depth 3
                                        ;       Child Loop BB74_78 Depth 3
	s_lshl_b32 s6, s35, 4
	s_mul_i32 s7, s35, 0x110
	s_add_i32 s7, s7, s6
	v_mov_b32_e32 v4, s7
	ds_read_b128 v[8:11], v4
	v_add_u32_e32 v19, s6, v26
	ds_read_b128 v[4:7], v19
	s_waitcnt lgkmcnt(1)
	v_cmp_neq_f64_e32 vcc, 0, v[8:9]
	v_cmp_neq_f64_e64 s[6:7], 0, v[10:11]
	s_or_b64 vcc, vcc, s[6:7]
	v_cndmask_b32_e32 v15, v36, v9, vcc
	s_nor_b64 s[30:31], vcc, s[4:5]
	v_cndmask_b32_e32 v14, 0, v8, vcc
	v_cndmask_b32_e32 v17, 0, v11, vcc
	;; [unrolled: 1-line block ×3, first 2 shown]
	s_and_saveexec_b64 s[6:7], s[30:31]
	s_cbranch_execz .LBB74_74
; %bb.71:                               ;   in Loop: Header=BB74_70 Depth=2
	v_mbcnt_lo_u32_b32 v8, exec_lo, 0
	v_mbcnt_hi_u32_b32 v8, exec_hi, v8
	v_cmp_eq_u32_e32 vcc, 0, v8
	s_and_saveexec_b64 s[30:31], vcc
	s_cbranch_execz .LBB74_73
; %bb.72:                               ;   in Loop: Header=BB74_70 Depth=2
	global_atomic_smin v0, v21, s[14:15]
.LBB74_73:                              ;   in Loop: Header=BB74_70 Depth=2
	s_or_b64 exec, exec, s[30:31]
	v_mov_b64_e32 v[16:17], 0
	v_mov_b64_e32 v[14:15], 1.0
.LBB74_74:                              ;   in Loop: Header=BB74_70 Depth=2
	s_or_b64 exec, exec, s[6:7]
	v_lshl_add_u32 v8, s35, 4, v27
	ds_read_b128 v[8:11], v8
	s_cmp_eq_u32 s35, 0
	v_mov_b32_e32 v20, v26
	s_mov_b32 s6, s34
	s_mov_b32 s7, s35
	s_cbranch_scc1 .LBB74_76
.LBB74_75:                              ;   Parent Loop BB74_10 Depth=1
                                        ;     Parent Loop BB74_70 Depth=2
                                        ; =>    This Inner Loop Header: Depth=3
	v_mov_b32_e32 v22, s6
	ds_read_b128 v[38:41], v20
	ds_read_b128 v[42:45], v22
	s_add_i32 s7, s7, -1
	s_add_i32 s6, s6, 16
	v_add_u32_e32 v20, 16, v20
	s_cmp_eq_u32 s7, 0
	s_waitcnt lgkmcnt(0)
	v_fmac_f64_e32 v[8:9], v[42:43], v[38:39]
	v_fmac_f64_e32 v[10:11], v[44:45], v[38:39]
	;; [unrolled: 1-line block ×3, first 2 shown]
	v_fma_f64 v[10:11], v[42:43], -v[40:41], v[10:11]
	s_cbranch_scc0 .LBB74_75
.LBB74_76:                              ;   in Loop: Header=BB74_70 Depth=2
	v_mul_f64 v[22:23], v[16:17], v[16:17]
	v_fmac_f64_e32 v[22:23], v[14:15], v[14:15]
	v_div_scale_f64 v[38:39], s[6:7], v[22:23], v[22:23], 1.0
	v_rcp_f64_e32 v[40:41], v[38:39]
	s_waitcnt lgkmcnt(0)
	v_add_f64 v[8:9], v[4:5], -v[8:9]
	v_add_f64 v[6:7], v[6:7], -v[10:11]
	v_fma_f64 v[4:5], -v[38:39], v[40:41], 1.0
	v_fmac_f64_e32 v[40:41], v[40:41], v[4:5]
	v_fma_f64 v[4:5], -v[38:39], v[40:41], 1.0
	v_fmac_f64_e32 v[40:41], v[40:41], v[4:5]
	v_div_scale_f64 v[4:5], vcc, 1.0, v[22:23], 1.0
	v_mul_f64 v[10:11], v[4:5], v[40:41]
	v_fma_f64 v[4:5], -v[38:39], v[10:11], v[4:5]
	s_nop 1
	v_div_fmas_f64 v[4:5], v[4:5], v[40:41], v[10:11]
	v_div_fixup_f64 v[10:11], v[4:5], v[22:23], 1.0
	v_mul_f64 v[4:5], v[16:17], v[6:7]
	v_fmac_f64_e32 v[4:5], v[8:9], v[14:15]
	v_mul_f64 v[8:9], v[16:17], -v[8:9]
	v_fmac_f64_e32 v[8:9], v[6:7], v[14:15]
	v_mul_f64 v[4:5], v[10:11], v[4:5]
	v_mul_f64 v[6:7], v[10:11], v[8:9]
	ds_write_b128 v19, v[4:7]
	s_waitcnt lgkmcnt(0)
	s_and_saveexec_b64 s[6:7], s[0:1]
	s_cbranch_execz .LBB74_69
; %bb.77:                               ;   in Loop: Header=BB74_70 Depth=2
	s_mov_b64 s[30:31], 0
	v_mov_b32_e32 v8, v18
	v_mov_b32_e32 v9, v33
	;; [unrolled: 1-line block ×3, first 2 shown]
.LBB74_78:                              ;   Parent Loop BB74_10 Depth=1
                                        ;     Parent Loop BB74_70 Depth=2
                                        ; =>    This Inner Loop Header: Depth=3
	ds_read_b128 v[14:17], v8
	ds_read_b128 v[38:41], v9
	v_add_u32_e32 v10, 4, v10
	v_cmp_le_i32_e32 vcc, s44, v10
	s_or_b64 s[30:31], vcc, s[30:31]
	v_add_u32_e32 v8, 0x440, v8
	s_waitcnt lgkmcnt(0)
	v_fmac_f64_e32 v[38:39], v[4:5], v[14:15]
	v_fmac_f64_e32 v[40:41], v[6:7], v[14:15]
	;; [unrolled: 1-line block ×3, first 2 shown]
	v_fma_f64 v[40:41], v[4:5], -v[16:17], v[40:41]
	ds_write_b128 v9, v[38:41]
	v_add_u32_e32 v9, 64, v9
	s_andn2_b64 exec, exec, s[30:31]
	s_cbranch_execnz .LBB74_78
	s_branch .LBB74_69
.LBB74_79:                              ;   in Loop: Header=BB74_10 Depth=1
	s_and_saveexec_b64 s[6:7], s[0:1]
	s_cbranch_execz .LBB74_9
; %bb.80:                               ;   in Loop: Header=BB74_10 Depth=1
	s_mov_b64 s[30:31], 0
	v_mov_b32_e32 v6, v35
	v_mov_b32_e32 v7, v13
	s_branch .LBB74_84
.LBB74_81:                              ;   in Loop: Header=BB74_84 Depth=2
	v_add_u32_e32 v4, v32, v7
.LBB74_82:                              ;   in Loop: Header=BB74_84 Depth=2
	ds_read2_b64 v[8:11], v6 offset1:1
	v_ashrrev_i32_e32 v5, 31, v4
	v_lshl_add_u64 v[4:5], v[4:5], 4, s[22:23]
	s_waitcnt lgkmcnt(0)
	global_store_dwordx4 v[4:5], v[8:11], off
.LBB74_83:                              ;   in Loop: Header=BB74_84 Depth=2
	s_or_b64 exec, exec, s[34:35]
	v_add_u32_e32 v7, 4, v7
	v_cmp_le_i32_e32 vcc, s44, v7
	s_or_b64 s[30:31], vcc, s[30:31]
	v_add_u32_e32 v6, 64, v6
	s_andn2_b64 exec, exec, s[30:31]
	s_cbranch_execz .LBB74_9
.LBB74_84:                              ;   Parent Loop BB74_10 Depth=1
                                        ; =>  This Inner Loop Header: Depth=2
	s_and_saveexec_b64 s[34:35], s[2:3]
	s_cbranch_execz .LBB74_83
; %bb.85:                               ;   in Loop: Header=BB74_84 Depth=2
	s_and_b64 vcc, exec, s[24:25]
	s_cbranch_vccz .LBB74_87
; %bb.86:                               ;   in Loop: Header=BB74_84 Depth=2
	v_add_u32_e32 v4, s29, v7
	v_mad_u64_u32 v[4:5], s[36:37], v4, s44, v[12:13]
	s_cbranch_execnz .LBB74_82
	s_branch .LBB74_81
.LBB74_87:                              ;   in Loop: Header=BB74_84 Depth=2
                                        ; implicit-def: $vgpr4
	s_branch .LBB74_81
.LBB74_88:                              ;   in Loop: Header=BB74_10 Depth=1
                                        ; implicit-def: $sgpr28
                                        ; implicit-def: $vgpr32
	s_cbranch_execz .LBB74_10
.LBB74_89:
	v_cmp_gt_i32_e64 s[0:1], s44, v13
	s_and_saveexec_b64 s[4:5], s[0:1]
	s_cbranch_execz .LBB74_102
; %bb.90:
	s_mul_i32 s26, s33, s44
	v_add_u32_e32 v0, s26, v12
	s_cmp_lg_u32 s45, 0
	v_mul_lo_u32 v2, v0, s44
	v_mul_u32_u24_e32 v0, 0x110, v12
	s_movk_i32 s8, 0x2200
	s_cselect_b64 s[6:7], -1, 0
	v_cmp_gt_i32_e64 s[2:3], s44, v12
	v_add3_u32 v3, v0, v24, s8
	s_mov_b64 s[8:9], 0
	v_mov_b32_e32 v4, v13
	s_branch .LBB74_92
.LBB74_91:                              ;   in Loop: Header=BB74_92 Depth=1
	s_or_b64 exec, exec, s[18:19]
	v_add_u32_e32 v4, 4, v4
	v_cmp_le_i32_e32 vcc, s44, v4
	s_waitcnt vmcnt(0)
	ds_write_b128 v3, v[6:9]
	s_or_b64 s[8:9], vcc, s[8:9]
	v_add_u32_e32 v3, 64, v3
	s_andn2_b64 exec, exec, s[8:9]
	s_cbranch_execz .LBB74_102
.LBB74_92:                              ; =>This Inner Loop Header: Depth=1
	s_and_b64 vcc, exec, s[6:7]
	s_cbranch_vccz .LBB74_99
; %bb.93:                               ;   in Loop: Header=BB74_92 Depth=1
	s_mov_b64 s[18:19], 0
	s_mov_b64 s[16:17], 0
                                        ; implicit-def: $vgpr0
	s_and_saveexec_b64 s[24:25], s[2:3]
	s_xor_b64 s[24:25], exec, s[24:25]
; %bb.94:                               ;   in Loop: Header=BB74_92 Depth=1
	v_add_u32_e32 v0, s26, v4
	s_mov_b64 s[16:17], exec
	v_mad_u64_u32 v[0:1], s[28:29], v0, s44, v[12:13]
; %bb.95:                               ;   in Loop: Header=BB74_92 Depth=1
	s_or_b64 exec, exec, s[24:25]
	s_and_b64 vcc, exec, s[18:19]
	s_cbranch_vccz .LBB74_100
.LBB74_96:                              ;   in Loop: Header=BB74_92 Depth=1
                                        ; implicit-def: $vgpr0
	s_and_saveexec_b64 s[18:19], s[2:3]
; %bb.97:                               ;   in Loop: Header=BB74_92 Depth=1
	v_add_u32_e32 v0, v2, v4
	s_or_b64 s[16:17], s[16:17], exec
; %bb.98:                               ;   in Loop: Header=BB74_92 Depth=1
	s_or_b64 exec, exec, s[18:19]
	v_mov_b64_e32 v[6:7], 0
	v_mov_b64_e32 v[8:9], 0
	s_and_saveexec_b64 s[18:19], s[16:17]
	s_cbranch_execz .LBB74_91
	s_branch .LBB74_101
.LBB74_99:                              ;   in Loop: Header=BB74_92 Depth=1
	s_mov_b64 s[16:17], 0
                                        ; implicit-def: $vgpr0
	s_cbranch_execnz .LBB74_96
.LBB74_100:                             ;   in Loop: Header=BB74_92 Depth=1
	v_mov_b64_e32 v[6:7], 0
	v_mov_b64_e32 v[8:9], 0
	s_and_saveexec_b64 s[18:19], s[16:17]
	s_cbranch_execz .LBB74_91
.LBB74_101:                             ;   in Loop: Header=BB74_92 Depth=1
	v_ashrrev_i32_e32 v1, 31, v0
	v_lshl_add_u64 v[0:1], v[0:1], 4, s[22:23]
	global_load_dwordx4 v[6:9], v[0:1], off
	s_branch .LBB74_91
.LBB74_102:
	s_or_b64 exec, exec, s[4:5]
	s_cmp_lt_i32 s44, 1
	s_waitcnt lgkmcnt(0)
	s_cbranch_scc1 .LBB74_121
; %bb.103:
	v_or_b32_e32 v2, v13, v12
	s_movk_i32 s4, 0x110
	v_mov_b32_e32 v0, 0x2200
	v_mul_u32_u24_e32 v1, 0x110, v12
	v_cmp_ne_u32_e64 s[2:3], 0, v2
	s_movk_i32 s6, 0x3300
	v_mov_b32_e32 v2, 0x3300
	v_mad_u32_u24 v10, v12, s4, v0
	s_add_i32 s5, s20, s21
	v_mad_u32_u24 v11, v12, s4, v2
	v_add3_u32 v16, v1, v24, s6
	s_mov_b32 s6, 0
	s_mov_b32 s18, 0
	v_add_u32_e32 v14, v10, v25
	v_add_u32_e32 v15, v11, v25
	v_mad_u32_u24 v17, v13, s4, v0
	s_brev_b32 s7, 8
	v_mov_b32_e32 v18, 0x260
	v_mov_b32_e32 v2, 0
	v_mov_b32_e32 v19, 0x3ff00000
	v_mov_b32_e32 v22, s5
	v_mov_b32_e32 v20, 0x100
	v_mov_b32_e32 v21, 0xffffff80
	s_branch .LBB74_105
.LBB74_104:                             ;   in Loop: Header=BB74_105 Depth=1
	s_or_b64 exec, exec, s[4:5]
	s_add_i32 s18, s18, 1
	s_cmp_eq_u32 s18, s44
	v_add_u32_e32 v17, 16, v17
	s_waitcnt lgkmcnt(0)
	s_cbranch_scc1 .LBB74_121
.LBB74_105:                             ; =>This Loop Header: Depth=1
                                        ;     Child Loop BB74_120 Depth 2
	v_cmp_eq_u32_e32 vcc, s18, v12
	s_and_saveexec_b64 s[4:5], vcc
	s_cbranch_execz .LBB74_113
; %bb.106:                              ;   in Loop: Header=BB74_105 Depth=1
	ds_read_b128 v[4:7], v15
	ds_read_b128 v[26:29], v14
	s_waitcnt lgkmcnt(0)
	v_add_f64 v[0:1], v[26:27], -v[4:5]
	v_add_f64 v[8:9], v[28:29], -v[6:7]
	v_xor_b32_e32 v3, 0x80000000, v1
	v_cmp_gt_f64_e32 vcc, 0, v[0:1]
	v_xor_b32_e32 v4, 0x80000000, v9
                                        ; implicit-def: $vgpr6_vgpr7
	s_nop 0
	v_cndmask_b32_e32 v1, v1, v3, vcc
	v_cmp_gt_f64_e32 vcc, 0, v[8:9]
	s_nop 1
	v_cndmask_b32_e32 v5, v9, v4, vcc
	v_mov_b32_e32 v4, v8
	v_cmp_ngt_f64_e32 vcc, v[0:1], v[4:5]
	s_and_saveexec_b64 s[8:9], vcc
	s_xor_b64 s[8:9], exec, s[8:9]
	s_cbranch_execz .LBB74_110
; %bb.107:                              ;   in Loop: Header=BB74_105 Depth=1
	v_mov_b64_e32 v[6:7], 0
	v_cmp_neq_f64_e32 vcc, 0, v[8:9]
	s_and_saveexec_b64 s[16:17], vcc
	s_cbranch_execz .LBB74_109
; %bb.108:                              ;   in Loop: Header=BB74_105 Depth=1
	v_div_scale_f64 v[6:7], s[24:25], v[4:5], v[4:5], v[0:1]
	v_rcp_f64_e32 v[8:9], v[6:7]
	v_div_scale_f64 v[26:27], vcc, v[0:1], v[4:5], v[0:1]
	v_fma_f64 v[28:29], -v[6:7], v[8:9], 1.0
	v_fmac_f64_e32 v[8:9], v[8:9], v[28:29]
	v_fma_f64 v[28:29], -v[6:7], v[8:9], 1.0
	v_fmac_f64_e32 v[8:9], v[8:9], v[28:29]
	v_mul_f64 v[28:29], v[26:27], v[8:9]
	v_fma_f64 v[6:7], -v[6:7], v[28:29], v[26:27]
	v_div_fmas_f64 v[6:7], v[6:7], v[8:9], v[28:29]
	v_div_fixup_f64 v[0:1], v[6:7], v[4:5], v[0:1]
	v_fma_f64 v[0:1], v[0:1], v[0:1], 1.0
	v_cmp_gt_f64_e32 vcc, s[6:7], v[0:1]
	s_nop 1
	v_cndmask_b32_e32 v3, 0, v20, vcc
	v_ldexp_f64 v[0:1], v[0:1], v3
	v_rsq_f64_e32 v[6:7], v[0:1]
	v_cndmask_b32_e32 v3, 0, v21, vcc
	v_cmp_class_f64_e32 vcc, v[0:1], v18
	v_mul_f64 v[8:9], v[0:1], v[6:7]
	v_mul_f64 v[6:7], v[6:7], 0.5
	v_fma_f64 v[26:27], -v[6:7], v[8:9], 0.5
	v_fmac_f64_e32 v[8:9], v[8:9], v[26:27]
	v_fma_f64 v[28:29], -v[8:9], v[8:9], v[0:1]
	v_fmac_f64_e32 v[6:7], v[6:7], v[26:27]
	v_fmac_f64_e32 v[8:9], v[28:29], v[6:7]
	v_fma_f64 v[26:27], -v[8:9], v[8:9], v[0:1]
	v_fmac_f64_e32 v[8:9], v[26:27], v[6:7]
	v_ldexp_f64 v[6:7], v[8:9], v3
	v_cndmask_b32_e32 v1, v7, v1, vcc
	v_cndmask_b32_e32 v0, v6, v0, vcc
	v_mul_f64 v[6:7], v[4:5], v[0:1]
.LBB74_109:                             ;   in Loop: Header=BB74_105 Depth=1
	s_or_b64 exec, exec, s[16:17]
                                        ; implicit-def: $vgpr0_vgpr1
                                        ; implicit-def: $vgpr4_vgpr5
.LBB74_110:                             ;   in Loop: Header=BB74_105 Depth=1
	s_andn2_saveexec_b64 s[8:9], s[8:9]
	s_cbranch_execz .LBB74_112
; %bb.111:                              ;   in Loop: Header=BB74_105 Depth=1
	v_div_scale_f64 v[6:7], s[16:17], v[0:1], v[0:1], v[4:5]
	v_rcp_f64_e32 v[8:9], v[6:7]
	v_div_scale_f64 v[26:27], vcc, v[4:5], v[0:1], v[4:5]
	v_fma_f64 v[28:29], -v[6:7], v[8:9], 1.0
	v_fmac_f64_e32 v[8:9], v[8:9], v[28:29]
	v_fma_f64 v[28:29], -v[6:7], v[8:9], 1.0
	v_fmac_f64_e32 v[8:9], v[8:9], v[28:29]
	v_mul_f64 v[28:29], v[26:27], v[8:9]
	v_fma_f64 v[6:7], -v[6:7], v[28:29], v[26:27]
	v_div_fmas_f64 v[6:7], v[6:7], v[8:9], v[28:29]
	v_div_fixup_f64 v[4:5], v[6:7], v[0:1], v[4:5]
	v_fma_f64 v[4:5], v[4:5], v[4:5], 1.0
	v_cmp_gt_f64_e32 vcc, s[6:7], v[4:5]
	s_nop 1
	v_cndmask_b32_e32 v3, 0, v20, vcc
	v_ldexp_f64 v[4:5], v[4:5], v3
	v_rsq_f64_e32 v[6:7], v[4:5]
	v_cndmask_b32_e32 v3, 0, v21, vcc
	v_cmp_class_f64_e32 vcc, v[4:5], v18
	v_mul_f64 v[8:9], v[4:5], v[6:7]
	v_mul_f64 v[6:7], v[6:7], 0.5
	v_fma_f64 v[26:27], -v[6:7], v[8:9], 0.5
	v_fmac_f64_e32 v[8:9], v[8:9], v[26:27]
	v_fma_f64 v[28:29], -v[8:9], v[8:9], v[4:5]
	v_fmac_f64_e32 v[6:7], v[6:7], v[26:27]
	v_fmac_f64_e32 v[8:9], v[28:29], v[6:7]
	v_fma_f64 v[26:27], -v[8:9], v[8:9], v[4:5]
	v_fmac_f64_e32 v[8:9], v[26:27], v[6:7]
	v_ldexp_f64 v[6:7], v[8:9], v3
	v_cndmask_b32_e32 v5, v7, v5, vcc
	v_cndmask_b32_e32 v4, v6, v4, vcc
	v_mul_f64 v[6:7], v[0:1], v[4:5]
.LBB74_112:                             ;   in Loop: Header=BB74_105 Depth=1
	s_or_b64 exec, exec, s[8:9]
	v_cmp_gt_f64_e32 vcc, s[6:7], v[6:7]
	s_nop 1
	v_cndmask_b32_e32 v0, 0, v20, vcc
	v_ldexp_f64 v[0:1], v[6:7], v0
	v_rsq_f64_e32 v[4:5], v[0:1]
	v_cndmask_b32_e32 v3, 0, v21, vcc
	v_cmp_class_f64_e32 vcc, v[0:1], v18
	v_mul_f64 v[6:7], v[0:1], v[4:5]
	v_mul_f64 v[4:5], v[4:5], 0.5
	v_fma_f64 v[8:9], -v[4:5], v[6:7], 0.5
	v_fmac_f64_e32 v[6:7], v[6:7], v[8:9]
	v_fmac_f64_e32 v[4:5], v[4:5], v[8:9]
	v_fma_f64 v[8:9], -v[6:7], v[6:7], v[0:1]
	v_fmac_f64_e32 v[6:7], v[8:9], v[4:5]
	v_fma_f64 v[8:9], -v[6:7], v[6:7], v[0:1]
	v_fmac_f64_e32 v[6:7], v[8:9], v[4:5]
	v_ldexp_f64 v[4:5], v[6:7], v3
	v_cndmask_b32_e32 v1, v5, v1, vcc
	v_cndmask_b32_e32 v0, v4, v0, vcc
	v_mov_b32_e32 v3, v2
	ds_write_b128 v14, v[0:3]
.LBB74_113:                             ;   in Loop: Header=BB74_105 Depth=1
	s_or_b64 exec, exec, s[4:5]
	s_lshl_b32 s4, s18, 4
	s_mul_i32 s5, s18, 0x110
	s_add_i32 s5, s5, s4
	v_mov_b32_e32 v0, s5
	s_waitcnt lgkmcnt(0)
	ds_read_b128 v[26:29], v0 offset:8704
	v_add_u32_e32 v3, s4, v10
	ds_read_b128 v[4:7], v3
	s_waitcnt lgkmcnt(1)
	v_cmp_neq_f64_e32 vcc, 0, v[26:27]
	v_cmp_neq_f64_e64 s[4:5], 0, v[28:29]
	s_or_b64 vcc, vcc, s[4:5]
	v_cndmask_b32_e32 v1, 0, v29, vcc
	s_nor_b64 s[8:9], vcc, s[2:3]
	v_cndmask_b32_e32 v0, 0, v28, vcc
	v_cndmask_b32_e32 v9, v19, v27, vcc
	;; [unrolled: 1-line block ×3, first 2 shown]
	s_and_saveexec_b64 s[4:5], s[8:9]
	s_cbranch_execz .LBB74_117
; %bb.114:                              ;   in Loop: Header=BB74_105 Depth=1
	v_mbcnt_lo_u32_b32 v0, exec_lo, 0
	v_mbcnt_hi_u32_b32 v0, exec_hi, v0
	v_cmp_eq_u32_e32 vcc, 0, v0
	s_and_saveexec_b64 s[8:9], vcc
	s_cbranch_execz .LBB74_116
; %bb.115:                              ;   in Loop: Header=BB74_105 Depth=1
	global_atomic_smin v2, v22, s[14:15]
.LBB74_116:                             ;   in Loop: Header=BB74_105 Depth=1
	s_or_b64 exec, exec, s[8:9]
	v_mov_b64_e32 v[8:9], 1.0
	v_mov_b64_e32 v[0:1], 0
.LBB74_117:                             ;   in Loop: Header=BB74_105 Depth=1
	s_or_b64 exec, exec, s[4:5]
	v_cmp_lt_u32_e32 vcc, s18, v12
	s_and_saveexec_b64 s[4:5], vcc
	s_cbranch_execz .LBB74_104
; %bb.118:                              ;   in Loop: Header=BB74_105 Depth=1
	v_mul_f64 v[30:31], v[0:1], v[0:1]
	v_lshl_add_u32 v23, s18, 4, v11
	v_fmac_f64_e32 v[30:31], v[8:9], v[8:9]
	ds_read_b128 v[26:29], v23
	v_div_scale_f64 v[32:33], s[8:9], v[30:31], v[30:31], 1.0
	v_rcp_f64_e32 v[34:35], v[32:33]
	s_waitcnt lgkmcnt(0)
	v_add_f64 v[26:27], v[4:5], -v[26:27]
	v_add_f64 v[6:7], v[6:7], -v[28:29]
	v_fma_f64 v[4:5], -v[32:33], v[34:35], 1.0
	v_fmac_f64_e32 v[34:35], v[34:35], v[4:5]
	v_fma_f64 v[4:5], -v[32:33], v[34:35], 1.0
	v_fmac_f64_e32 v[34:35], v[34:35], v[4:5]
	v_div_scale_f64 v[4:5], vcc, 1.0, v[30:31], 1.0
	v_mul_f64 v[28:29], v[4:5], v[34:35]
	v_fma_f64 v[4:5], -v[32:33], v[28:29], v[4:5]
	s_nop 1
	v_div_fmas_f64 v[4:5], v[4:5], v[34:35], v[28:29]
	v_div_fixup_f64 v[28:29], v[4:5], v[30:31], 1.0
	v_mul_f64 v[4:5], v[0:1], v[6:7]
	v_mul_f64 v[0:1], v[0:1], -v[26:27]
	v_fmac_f64_e32 v[4:5], v[26:27], v[8:9]
	v_fmac_f64_e32 v[0:1], v[6:7], v[8:9]
	v_mul_f64 v[4:5], v[28:29], v[4:5]
	v_mul_f64 v[6:7], v[28:29], v[0:1]
	ds_write_b128 v3, v[4:7]
	s_waitcnt lgkmcnt(0)
	s_and_b64 exec, exec, s[0:1]
	s_cbranch_execz .LBB74_104
; %bb.119:                              ;   in Loop: Header=BB74_105 Depth=1
	s_mov_b64 s[8:9], 0
	v_mov_b32_e32 v0, v17
	v_mov_b32_e32 v1, v16
	;; [unrolled: 1-line block ×3, first 2 shown]
.LBB74_120:                             ;   Parent Loop BB74_105 Depth=1
                                        ; =>  This Inner Loop Header: Depth=2
	ds_read_b128 v[26:29], v0
	ds_read_b128 v[30:33], v1
	v_add_u32_e32 v3, 4, v3
	v_cmp_le_i32_e32 vcc, s44, v3
	s_or_b64 s[8:9], vcc, s[8:9]
	v_add_u32_e32 v0, 0x440, v0
	s_waitcnt lgkmcnt(0)
	v_fmac_f64_e32 v[30:31], v[4:5], v[26:27]
	v_fmac_f64_e32 v[32:33], v[6:7], v[26:27]
	;; [unrolled: 1-line block ×3, first 2 shown]
	v_fma_f64 v[32:33], v[4:5], -v[28:29], v[32:33]
	ds_write_b128 v1, v[30:33]
	v_add_u32_e32 v1, 64, v1
	s_andn2_b64 exec, exec, s[8:9]
	s_cbranch_execnz .LBB74_120
	s_branch .LBB74_104
.LBB74_121:
	s_and_saveexec_b64 s[2:3], s[0:1]
	s_cbranch_execz .LBB74_130
; %bb.122:
	s_mul_i32 s33, s33, s44
	v_add_u32_e32 v0, s33, v12
	s_cmp_lg_u32 s45, 0
	v_mul_lo_u32 v2, v0, s44
	v_mul_u32_u24_e32 v0, 0x110, v12
	s_movk_i32 s6, 0x2200
	v_cmp_gt_i32_e64 s[0:1], s44, v12
	s_cselect_b64 s[4:5], -1, 0
	v_add3_u32 v3, v0, v24, s6
	s_mov_b64 s[6:7], 0
	v_mov_b32_e32 v4, v13
	s_branch .LBB74_126
.LBB74_123:                             ;   in Loop: Header=BB74_126 Depth=1
	v_add_u32_e32 v0, v2, v4
.LBB74_124:                             ;   in Loop: Header=BB74_126 Depth=1
	ds_read2_b64 v[6:9], v3 offset1:1
	v_ashrrev_i32_e32 v1, 31, v0
	v_lshl_add_u64 v[0:1], v[0:1], 4, s[22:23]
	s_waitcnt lgkmcnt(0)
	global_store_dwordx4 v[0:1], v[6:9], off
.LBB74_125:                             ;   in Loop: Header=BB74_126 Depth=1
	s_or_b64 exec, exec, s[8:9]
	v_add_u32_e32 v4, 4, v4
	v_cmp_le_i32_e32 vcc, s44, v4
	s_or_b64 s[6:7], vcc, s[6:7]
	v_add_u32_e32 v3, 64, v3
	s_andn2_b64 exec, exec, s[6:7]
	s_cbranch_execz .LBB74_130
.LBB74_126:                             ; =>This Inner Loop Header: Depth=1
	s_and_saveexec_b64 s[8:9], s[0:1]
	s_cbranch_execz .LBB74_125
; %bb.127:                              ;   in Loop: Header=BB74_126 Depth=1
	s_and_b64 vcc, exec, s[4:5]
	s_cbranch_vccz .LBB74_129
; %bb.128:                              ;   in Loop: Header=BB74_126 Depth=1
	v_add_u32_e32 v0, s33, v4
	v_mad_u64_u32 v[0:1], s[16:17], v0, s44, v[12:13]
	s_cbranch_execnz .LBB74_124
	s_branch .LBB74_123
.LBB74_129:                             ;   in Loop: Header=BB74_126 Depth=1
                                        ; implicit-def: $vgpr0
	s_branch .LBB74_123
.LBB74_130:
	s_or_b64 exec, exec, s[2:3]
	v_or_b32_e32 v0, v13, v12
	v_cmp_eq_u32_e32 vcc, 0, v0
	s_and_saveexec_b64 s[0:1], vcc
	s_cbranch_execz .LBB74_132
; %bb.131:
	s_add_u32 s2, s10, s12
	s_addc_u32 s3, s11, s13
	v_mov_b32_e32 v0, 0
	v_mov_b32_e32 v1, 1
	buffer_wbl2 sc1
	s_waitcnt vmcnt(0)
	global_store_dword v0, v1, s[2:3] sc1
.LBB74_132:
	s_or_b64 exec, exec, s[0:1]
.LBB74_133:
	s_endpgm
.LBB74_134:
	s_cbranch_execz .LBB74_133
; %bb.135:
	v_or_b32_e32 v0, v13, v12
	v_cmp_eq_u32_e32 vcc, 0, v0
	s_and_saveexec_b64 s[0:1], vcc
	s_cbranch_execz .LBB74_133
; %bb.136:
	v_mbcnt_lo_u32_b32 v0, exec_lo, 0
	v_mbcnt_hi_u32_b32 v0, exec_hi, v0
	v_cmp_eq_u32_e32 vcc, 0, v0
	s_and_saveexec_b64 s[0:1], vcc
	s_cbranch_execz .LBB74_138
; %bb.137:
	s_add_i32 s2, s20, s21
	v_mov_b32_e32 v0, 0
	v_mov_b32_e32 v1, s2
	global_atomic_smin v0, v1, s[14:15]
.LBB74_138:
	s_or_b64 exec, exec, s[0:1]
	s_add_u32 s0, s10, s12
	s_addc_u32 s1, s11, s13
	v_mov_b32_e32 v0, 0
	v_mov_b32_e32 v1, 1
	buffer_wbl2 sc1
	s_waitcnt vmcnt(0)
	global_store_dword v0, v1, s[0:1] sc1
	s_endpgm
	.section	.rodata,"a",@progbits
	.p2align	6, 0x0
	.amdhsa_kernel _ZN9rocsparseL18bsric0_9_16_kernelILi64ELi128ELi16E21rocsparse_complex_numIdEEEv20rocsparse_direction_iiPKiS5_PT2_S5_PiS5_S8_21rocsparse_index_base_
		.amdhsa_group_segment_fixed_size 18944
		.amdhsa_private_segment_fixed_size 0
		.amdhsa_kernarg_size 76
		.amdhsa_user_sgpr_count 2
		.amdhsa_user_sgpr_dispatch_ptr 0
		.amdhsa_user_sgpr_queue_ptr 0
		.amdhsa_user_sgpr_kernarg_segment_ptr 1
		.amdhsa_user_sgpr_dispatch_id 0
		.amdhsa_user_sgpr_kernarg_preload_length 0
		.amdhsa_user_sgpr_kernarg_preload_offset 0
		.amdhsa_user_sgpr_private_segment_size 0
		.amdhsa_uses_dynamic_stack 0
		.amdhsa_enable_private_segment 0
		.amdhsa_system_sgpr_workgroup_id_x 1
		.amdhsa_system_sgpr_workgroup_id_y 0
		.amdhsa_system_sgpr_workgroup_id_z 0
		.amdhsa_system_sgpr_workgroup_info 0
		.amdhsa_system_vgpr_workitem_id 1
		.amdhsa_next_free_vgpr 169
		.amdhsa_next_free_sgpr 96
		.amdhsa_accum_offset 48
		.amdhsa_reserve_vcc 1
		.amdhsa_float_round_mode_32 0
		.amdhsa_float_round_mode_16_64 0
		.amdhsa_float_denorm_mode_32 3
		.amdhsa_float_denorm_mode_16_64 3
		.amdhsa_dx10_clamp 1
		.amdhsa_ieee_mode 1
		.amdhsa_fp16_overflow 0
		.amdhsa_tg_split 0
		.amdhsa_exception_fp_ieee_invalid_op 0
		.amdhsa_exception_fp_denorm_src 0
		.amdhsa_exception_fp_ieee_div_zero 0
		.amdhsa_exception_fp_ieee_overflow 0
		.amdhsa_exception_fp_ieee_underflow 0
		.amdhsa_exception_fp_ieee_inexact 0
		.amdhsa_exception_int_div_zero 0
	.end_amdhsa_kernel
	.section	.text._ZN9rocsparseL18bsric0_9_16_kernelILi64ELi128ELi16E21rocsparse_complex_numIdEEEv20rocsparse_direction_iiPKiS5_PT2_S5_PiS5_S8_21rocsparse_index_base_,"axG",@progbits,_ZN9rocsparseL18bsric0_9_16_kernelILi64ELi128ELi16E21rocsparse_complex_numIdEEEv20rocsparse_direction_iiPKiS5_PT2_S5_PiS5_S8_21rocsparse_index_base_,comdat
.Lfunc_end74:
	.size	_ZN9rocsparseL18bsric0_9_16_kernelILi64ELi128ELi16E21rocsparse_complex_numIdEEEv20rocsparse_direction_iiPKiS5_PT2_S5_PiS5_S8_21rocsparse_index_base_, .Lfunc_end74-_ZN9rocsparseL18bsric0_9_16_kernelILi64ELi128ELi16E21rocsparse_complex_numIdEEEv20rocsparse_direction_iiPKiS5_PT2_S5_PiS5_S8_21rocsparse_index_base_
                                        ; -- End function
	.set _ZN9rocsparseL18bsric0_9_16_kernelILi64ELi128ELi16E21rocsparse_complex_numIdEEEv20rocsparse_direction_iiPKiS5_PT2_S5_PiS5_S8_21rocsparse_index_base_.num_vgpr, 46
	.set _ZN9rocsparseL18bsric0_9_16_kernelILi64ELi128ELi16E21rocsparse_complex_numIdEEEv20rocsparse_direction_iiPKiS5_PT2_S5_PiS5_S8_21rocsparse_index_base_.num_agpr, 0
	.set _ZN9rocsparseL18bsric0_9_16_kernelILi64ELi128ELi16E21rocsparse_complex_numIdEEEv20rocsparse_direction_iiPKiS5_PT2_S5_PiS5_S8_21rocsparse_index_base_.numbered_sgpr, 54
	.set _ZN9rocsparseL18bsric0_9_16_kernelILi64ELi128ELi16E21rocsparse_complex_numIdEEEv20rocsparse_direction_iiPKiS5_PT2_S5_PiS5_S8_21rocsparse_index_base_.num_named_barrier, 0
	.set _ZN9rocsparseL18bsric0_9_16_kernelILi64ELi128ELi16E21rocsparse_complex_numIdEEEv20rocsparse_direction_iiPKiS5_PT2_S5_PiS5_S8_21rocsparse_index_base_.private_seg_size, 0
	.set _ZN9rocsparseL18bsric0_9_16_kernelILi64ELi128ELi16E21rocsparse_complex_numIdEEEv20rocsparse_direction_iiPKiS5_PT2_S5_PiS5_S8_21rocsparse_index_base_.uses_vcc, 1
	.set _ZN9rocsparseL18bsric0_9_16_kernelILi64ELi128ELi16E21rocsparse_complex_numIdEEEv20rocsparse_direction_iiPKiS5_PT2_S5_PiS5_S8_21rocsparse_index_base_.uses_flat_scratch, 0
	.set _ZN9rocsparseL18bsric0_9_16_kernelILi64ELi128ELi16E21rocsparse_complex_numIdEEEv20rocsparse_direction_iiPKiS5_PT2_S5_PiS5_S8_21rocsparse_index_base_.has_dyn_sized_stack, 0
	.set _ZN9rocsparseL18bsric0_9_16_kernelILi64ELi128ELi16E21rocsparse_complex_numIdEEEv20rocsparse_direction_iiPKiS5_PT2_S5_PiS5_S8_21rocsparse_index_base_.has_recursion, 0
	.set _ZN9rocsparseL18bsric0_9_16_kernelILi64ELi128ELi16E21rocsparse_complex_numIdEEEv20rocsparse_direction_iiPKiS5_PT2_S5_PiS5_S8_21rocsparse_index_base_.has_indirect_call, 0
	.section	.AMDGPU.csdata,"",@progbits
; Kernel info:
; codeLenInByte = 4476
; TotalNumSgprs: 60
; NumVgprs: 46
; NumAgprs: 0
; TotalNumVgprs: 46
; ScratchSize: 0
; MemoryBound: 1
; FloatMode: 240
; IeeeMode: 1
; LDSByteSize: 18944 bytes/workgroup (compile time only)
; SGPRBlocks: 12
; VGPRBlocks: 21
; NumSGPRsForWavesPerEU: 102
; NumVGPRsForWavesPerEU: 169
; AccumOffset: 48
; Occupancy: 2
; WaveLimiterHint : 1
; COMPUTE_PGM_RSRC2:SCRATCH_EN: 0
; COMPUTE_PGM_RSRC2:USER_SGPR: 2
; COMPUTE_PGM_RSRC2:TRAP_HANDLER: 0
; COMPUTE_PGM_RSRC2:TGID_X_EN: 1
; COMPUTE_PGM_RSRC2:TGID_Y_EN: 0
; COMPUTE_PGM_RSRC2:TGID_Z_EN: 0
; COMPUTE_PGM_RSRC2:TIDIG_COMP_CNT: 1
; COMPUTE_PGM_RSRC3_GFX90A:ACCUM_OFFSET: 11
; COMPUTE_PGM_RSRC3_GFX90A:TG_SPLIT: 0
	.section	.text._ZN9rocsparseL19bsric0_17_32_kernelILi64ELi128ELi32E21rocsparse_complex_numIdEEEv20rocsparse_direction_iiPKiS5_PT2_S5_PiS5_S8_21rocsparse_index_base_,"axG",@progbits,_ZN9rocsparseL19bsric0_17_32_kernelILi64ELi128ELi32E21rocsparse_complex_numIdEEEv20rocsparse_direction_iiPKiS5_PT2_S5_PiS5_S8_21rocsparse_index_base_,comdat
	.globl	_ZN9rocsparseL19bsric0_17_32_kernelILi64ELi128ELi32E21rocsparse_complex_numIdEEEv20rocsparse_direction_iiPKiS5_PT2_S5_PiS5_S8_21rocsparse_index_base_ ; -- Begin function _ZN9rocsparseL19bsric0_17_32_kernelILi64ELi128ELi32E21rocsparse_complex_numIdEEEv20rocsparse_direction_iiPKiS5_PT2_S5_PiS5_S8_21rocsparse_index_base_
	.p2align	8
	.type	_ZN9rocsparseL19bsric0_17_32_kernelILi64ELi128ELi32E21rocsparse_complex_numIdEEEv20rocsparse_direction_iiPKiS5_PT2_S5_PiS5_S8_21rocsparse_index_base_,@function
_ZN9rocsparseL19bsric0_17_32_kernelILi64ELi128ELi32E21rocsparse_complex_numIdEEEv20rocsparse_direction_iiPKiS5_PT2_S5_PiS5_S8_21rocsparse_index_base_: ; @_ZN9rocsparseL19bsric0_17_32_kernelILi64ELi128ELi32E21rocsparse_complex_numIdEEEv20rocsparse_direction_iiPKiS5_PT2_S5_PiS5_S8_21rocsparse_index_base_
; %bb.0:
	s_load_dwordx8 s[8:15], s[0:1], 0x28
	s_mov_b32 s3, 0
	s_lshl_b64 s[2:3], s[2:3], 2
	v_and_b32_e32 v13, 0x3ff, v0
	v_bfe_u32 v12, v0, 10, 10
	s_waitcnt lgkmcnt(0)
	s_add_u32 s2, s12, s2
	s_addc_u32 s3, s13, s3
	s_load_dword s20, s[2:3], 0x0
	s_waitcnt lgkmcnt(0)
	s_ashr_i32 s21, s20, 31
	s_lshl_b64 s[12:13], s[20:21], 2
	s_add_u32 s2, s8, s12
	s_addc_u32 s3, s9, s13
	s_load_dword s33, s[2:3], 0x0
	s_load_dword s21, s[0:1], 0x48
	s_waitcnt lgkmcnt(0)
	s_cmp_lg_u32 s33, -1
	s_cbranch_scc0 .LBB75_124
; %bb.1:
	s_load_dwordx4 s[16:19], s[0:1], 0x10
	s_load_dwordx2 s[22:23], s[0:1], 0x20
	v_lshlrev_b32_e32 v0, 1, v12
	s_waitcnt lgkmcnt(0)
	s_add_u32 s2, s16, s12
	s_addc_u32 s3, s17, s13
	s_load_dword s2, s[2:3], 0x0
	s_waitcnt lgkmcnt(0)
	s_sub_i32 s48, s2, s21
	v_add3_u32 v0, v0, v13, s48
	v_cmp_ge_i32_e32 vcc, s33, v0
	s_and_saveexec_b64 s[2:3], vcc
	s_cbranch_execz .LBB75_4
; %bb.2:
	v_lshlrev_b32_e32 v1, 3, v12
	v_lshlrev_b32_e32 v2, 2, v13
	s_mov_b32 s4, 0xca00
	v_add3_u32 v2, v1, v2, s4
	s_mov_b64 s[4:5], 0
.LBB75_3:                               ; =>This Inner Loop Header: Depth=1
	v_ashrrev_i32_e32 v1, 31, v0
	v_lshl_add_u64 v[4:5], v[0:1], 2, s[18:19]
	global_load_dword v1, v[4:5], off
	v_add_u32_e32 v0, 64, v0
	v_cmp_lt_i32_e32 vcc, s33, v0
	s_or_b64 s[4:5], vcc, s[4:5]
	s_waitcnt vmcnt(0)
	v_subrev_u32_e32 v1, s21, v1
	ds_write_b32 v2, v1
	v_add_u32_e32 v2, 0x100, v2
	s_andn2_b64 exec, exec, s[4:5]
	s_cbranch_execnz .LBB75_3
.LBB75_4:
	s_or_b64 exec, exec, s[2:3]
	v_cmp_gt_u32_e32 vcc, 32, v13
	v_lshlrev_b32_e32 v24, 4, v13
	s_and_saveexec_b64 s[2:3], vcc
	s_cbranch_execz .LBB75_7
; %bb.5:
	v_mul_u32_u24_e32 v1, 0x210, v12
	s_mov_b32 s4, 0x8400
	v_mov_b32_e32 v2, 0
	v_add_u32_e32 v0, -2, v13
	v_add3_u32 v1, v1, v24, s4
	s_mov_b64 s[4:5], 0
	v_mov_b32_e32 v3, v2
	v_mov_b32_e32 v4, v2
	;; [unrolled: 1-line block ×3, first 2 shown]
.LBB75_6:                               ; =>This Inner Loop Header: Depth=1
	v_add_u32_e32 v0, 2, v0
	v_cmp_lt_u32_e32 vcc, 29, v0
	ds_write_b128 v1, v[2:5]
	s_or_b64 s[4:5], vcc, s[4:5]
	v_add_u32_e32 v1, 32, v1
	s_andn2_b64 exec, exec, s[4:5]
	s_cbranch_execnz .LBB75_6
.LBB75_7:
	s_or_b64 exec, exec, s[2:3]
	s_load_dword s46, s[0:1], 0x8
	s_load_dword s47, s[0:1], 0x0
	s_cmp_ge_i32 s48, s33
	s_waitcnt lgkmcnt(0)
	v_cmp_gt_i32_e64 s[0:1], s46, v13
	s_cbranch_scc1 .LBB75_79
; %bb.8:
	s_cmp_eq_u32 s47, 0
	s_cselect_b64 s[24:25], -1, 0
	s_cmp_lg_u32 s47, 0
	s_movk_i32 s6, 0x210
	v_mov_b32_e32 v0, 0x4200
	v_or_b32_e32 v1, v13, v12
	s_mul_i32 s7, s46, s48
	s_cselect_b64 s[26:27], -1, 0
	v_mad_u32_u24 v26, v12, s6, v0
	s_cmp_gt_i32 s46, 0
	v_cmp_ne_u32_e64 s[4:5], 0, v1
	v_mad_u32_u24 v28, v12, s6, v24
	v_add_u32_e32 v1, s7, v12
	v_mad_u32_u24 v32, v13, s6, v0
	v_mov_b32_e32 v0, 0
	s_mul_i32 s49, s46, s46
	v_cmp_gt_i32_e64 s[2:3], s46, v12
	v_mul_u32_u24_e32 v25, 0x210, v12
	v_mul_lo_u32 v27, s46, v12
	s_cselect_b64 s[28:29], -1, 0
	v_mul_lo_u32 v30, s46, v1
	v_mul_lo_u32 v29, v13, s46
	s_lshl_b32 s50, s46, 1
	v_add_u32_e32 v31, 0x8400, v28
	v_add_u32_e32 v33, 0x4200, v28
	v_mov_b32_e32 v1, v0
	v_mov_b32_e32 v2, v0
	v_mov_b32_e32 v3, v0
	v_mov_b32_e32 v34, 0x3ff00000
	s_mov_b32 s30, s48
	s_branch .LBB75_10
.LBB75_9:                               ;   in Loop: Header=BB75_10 Depth=1
	s_or_b64 exec, exec, s[6:7]
	s_add_i32 s30, s30, 1
	s_cmp_ge_i32 s30, s33
	buffer_wbl2 sc1
	s_waitcnt vmcnt(0)
	buffer_inv sc1
	v_add_u32_e32 v30, s49, v30
	s_cselect_b64 s[6:7], -1, 0
	s_and_b64 vcc, exec, s[6:7]
	s_cbranch_vccnz .LBB75_79
.LBB75_10:                              ; =>This Loop Header: Depth=1
                                        ;     Child Loop BB75_14 Depth 2
                                        ;     Child Loop BB75_26 Depth 2
	;; [unrolled: 1-line block ×4, first 2 shown]
                                        ;       Child Loop BB75_43 Depth 3
                                        ;         Child Loop BB75_48 Depth 4
                                        ;     Child Loop BB75_57 Depth 2
                                        ;       Child Loop BB75_64 Depth 3
                                        ;       Child Loop BB75_68 Depth 3
                                        ;     Child Loop BB75_73 Depth 2
	s_ashr_i32 s31, s30, 31
	s_lshl_b64 s[6:7], s[30:31], 2
	s_add_u32 s6, s18, s6
	s_addc_u32 s7, s19, s7
	s_load_dword s51, s[6:7], 0x0
	s_waitcnt lgkmcnt(0)
	s_sub_i32 s34, s51, s21
	s_ashr_i32 s35, s34, 31
	s_lshl_b64 s[6:7], s[34:35], 2
	s_add_u32 s36, s8, s6
	s_addc_u32 s37, s9, s7
	s_load_dword s52, s[36:37], 0x0
	s_waitcnt lgkmcnt(0)
	s_cmp_eq_u32 s52, -1
	s_cbranch_scc1 .LBB75_78
; %bb.11:                               ;   in Loop: Header=BB75_10 Depth=1
	s_add_u32 s36, s16, s6
	s_addc_u32 s37, s17, s7
	s_load_dword s35, s[36:37], 0x0
	s_mul_i32 s31, s30, s46
	s_and_saveexec_b64 s[36:37], s[0:1]
	s_cbranch_execz .LBB75_24
; %bb.12:                               ;   in Loop: Header=BB75_10 Depth=1
	s_mov_b64 s[38:39], 0
	v_mov_b32_e32 v6, v28
	v_mov_b32_e32 v7, v13
	s_branch .LBB75_14
.LBB75_13:                              ;   in Loop: Header=BB75_14 Depth=2
	s_or_b64 exec, exec, s[42:43]
	v_add_u32_e32 v7, 2, v7
	v_cmp_le_i32_e32 vcc, s46, v7
	s_waitcnt vmcnt(0)
	ds_write_b128 v6, v[8:11] offset:16896
	ds_write_b128 v6, v[0:3]
	s_or_b64 s[38:39], vcc, s[38:39]
	v_add_u32_e32 v6, 32, v6
	s_andn2_b64 exec, exec, s[38:39]
	s_cbranch_execz .LBB75_24
.LBB75_14:                              ;   Parent Loop BB75_10 Depth=1
                                        ; =>  This Inner Loop Header: Depth=2
	s_mov_b64 s[42:43], -1
	s_and_b64 vcc, exec, s[26:27]
	s_mov_b64 s[40:41], 0
                                        ; implicit-def: $vgpr4
	s_cbranch_vccz .LBB75_19
; %bb.15:                               ;   in Loop: Header=BB75_14 Depth=2
	s_mov_b64 s[42:43], 0
                                        ; implicit-def: $vgpr4
	s_and_saveexec_b64 s[44:45], s[2:3]
	s_xor_b64 s[44:45], exec, s[44:45]
; %bb.16:                               ;   in Loop: Header=BB75_14 Depth=2
	v_add_u32_e32 v4, s31, v7
	s_mov_b64 s[40:41], exec
	v_mad_u64_u32 v[4:5], s[54:55], v4, s46, v[12:13]
; %bb.17:                               ;   in Loop: Header=BB75_14 Depth=2
	s_or_b64 exec, exec, s[44:45]
	s_and_b64 vcc, exec, s[42:43]
	s_cbranch_vccnz .LBB75_20
.LBB75_18:                              ;   in Loop: Header=BB75_14 Depth=2
	v_mov_b64_e32 v[8:9], 0
	v_mov_b64_e32 v[10:11], 0
	s_and_saveexec_b64 s[42:43], s[40:41]
	s_cbranch_execz .LBB75_13
	s_branch .LBB75_23
.LBB75_19:                              ;   in Loop: Header=BB75_14 Depth=2
	s_and_b64 vcc, exec, s[42:43]
	s_cbranch_vccz .LBB75_18
.LBB75_20:                              ;   in Loop: Header=BB75_14 Depth=2
                                        ; implicit-def: $vgpr4
	s_and_saveexec_b64 s[42:43], s[2:3]
; %bb.21:                               ;   in Loop: Header=BB75_14 Depth=2
	v_add_u32_e32 v4, v30, v7
	s_or_b64 s[40:41], s[40:41], exec
; %bb.22:                               ;   in Loop: Header=BB75_14 Depth=2
	s_or_b64 exec, exec, s[42:43]
	v_mov_b64_e32 v[8:9], 0
	v_mov_b64_e32 v[10:11], 0
	s_and_saveexec_b64 s[42:43], s[40:41]
	s_cbranch_execz .LBB75_13
.LBB75_23:                              ;   in Loop: Header=BB75_14 Depth=2
	v_ashrrev_i32_e32 v5, 31, v4
	v_lshl_add_u64 v[4:5], v[4:5], 4, s[22:23]
	global_load_dwordx4 v[8:11], v[4:5], off
	s_branch .LBB75_13
.LBB75_24:                              ;   in Loop: Header=BB75_10 Depth=1
	s_or_b64 exec, exec, s[36:37]
	ds_read_b32 v4, v0 offset:51712
	s_waitcnt lgkmcnt(0)
	s_sub_i32 s36, s35, s21
	s_cmp_le_i32 s36, s52
	s_cselect_b64 s[38:39], -1, 0
	s_mov_b32 s37, 0
	v_cmp_ge_i32_e32 vcc, s34, v4
	s_and_b64 s[38:39], s[38:39], vcc
	s_andn2_b64 vcc, exec, s[38:39]
	s_cbranch_vccnz .LBB75_36
; %bb.25:                               ;   in Loop: Header=BB75_10 Depth=1
	s_mov_b32 s35, 0
	s_mov_b32 s40, 0
.LBB75_26:                              ;   Parent Loop BB75_10 Depth=1
                                        ; =>  This Inner Loop Header: Depth=2
	s_ashr_i32 s37, s36, 31
	s_lshl_b64 s[38:39], s[36:37], 2
	s_add_u32 s38, s18, s38
	s_addc_u32 s39, s19, s39
	s_load_dword s37, s[38:39], 0x0
	s_lshl_b32 s38, s40, 2
	v_mov_b32_e32 v4, s38
	ds_read_b32 v4, v4 offset:51712
	s_mov_b64 s[38:39], -1
	s_waitcnt lgkmcnt(0)
	s_sub_i32 s44, s37, s21
                                        ; implicit-def: $sgpr37
                                        ; implicit-def: $sgpr43
                                        ; implicit-def: $sgpr42
	v_cmp_ge_i32_e32 vcc, s44, v4
	v_readfirstlane_b32 s41, v4
	s_cbranch_vccz .LBB75_32
; %bb.27:                               ;   in Loop: Header=BB75_26 Depth=2
	s_cmp_le_i32 s44, s41
                                        ; implicit-def: $sgpr37
                                        ; implicit-def: $sgpr43
                                        ; implicit-def: $sgpr42
	s_cbranch_scc0 .LBB75_29
; %bb.28:                               ;   in Loop: Header=BB75_26 Depth=2
	s_add_i32 s37, s40, s48
	s_mul_i32 s37, s37, s49
	s_lshl_b32 s38, s35, 2
	v_mov_b32_e32 v5, s37
	s_mul_i32 s37, s36, s49
	v_mov_b32_e32 v4, s38
	v_mov_b32_e32 v6, s37
	ds_write2st64_b32 v4, v6, v5 offset0:198 offset1:200
	s_add_i32 s42, s40, 1
	s_add_i32 s43, s36, 1
	s_add_i32 s37, s35, 1
	s_mov_b64 s[38:39], 0
.LBB75_29:                              ;   in Loop: Header=BB75_26 Depth=2
	s_andn2_b64 vcc, exec, s[38:39]
	s_cbranch_vccnz .LBB75_31
; %bb.30:                               ;   in Loop: Header=BB75_26 Depth=2
	s_add_i32 s42, s40, 1
	s_mov_b32 s37, s35
	s_mov_b32 s43, s36
.LBB75_31:                              ;   in Loop: Header=BB75_26 Depth=2
	s_mov_b64 s[38:39], 0
.LBB75_32:                              ;   in Loop: Header=BB75_26 Depth=2
	s_andn2_b64 vcc, exec, s[38:39]
	s_cbranch_vccnz .LBB75_34
; %bb.33:                               ;   in Loop: Header=BB75_26 Depth=2
	s_add_i32 s43, s36, 1
	s_mov_b32 s42, s40
	s_mov_b32 s37, s35
.LBB75_34:                              ;   in Loop: Header=BB75_26 Depth=2
	s_cmp_le_i32 s43, s52
	s_cselect_b64 s[38:39], -1, 0
	s_cmp_le_i32 s41, s34
	s_cselect_b64 s[40:41], -1, 0
	s_and_b64 s[38:39], s[38:39], s[40:41]
	s_and_b64 vcc, exec, s[38:39]
	s_cbranch_vccz .LBB75_36
; %bb.35:                               ;   in Loop: Header=BB75_26 Depth=2
	s_mov_b32 s35, s37
	s_mov_b32 s36, s43
	;; [unrolled: 1-line block ×3, first 2 shown]
	s_branch .LBB75_26
.LBB75_36:                              ;   in Loop: Header=BB75_10 Depth=1
	s_add_u32 s6, s10, s6
	s_addc_u32 s7, s11, s7
	s_waitcnt lgkmcnt(0)
.LBB75_37:                              ;   Parent Loop BB75_10 Depth=1
                                        ; =>  This Inner Loop Header: Depth=2
	global_load_dword v4, v0, s[6:7] sc1
	s_waitcnt vmcnt(0)
	v_cmp_eq_u32_e32 vcc, 0, v4
	s_cbranch_vccnz .LBB75_37
; %bb.38:                               ;   in Loop: Header=BB75_10 Depth=1
	s_cmp_lt_i32 s37, 2
	buffer_inv sc1
	s_cbranch_scc1 .LBB75_54
; %bb.39:                               ;   in Loop: Header=BB75_10 Depth=1
	s_add_i32 s38, s37, -2
	s_mov_b32 s39, 0
	s_branch .LBB75_41
.LBB75_40:                              ;   in Loop: Header=BB75_41 Depth=2
	s_or_b64 exec, exec, s[6:7]
	s_add_i32 s6, s39, 1
	s_cmp_eq_u32 s39, s38
	s_mov_b32 s39, s6
	s_cbranch_scc1 .LBB75_54
.LBB75_41:                              ;   Parent Loop BB75_10 Depth=1
                                        ; =>  This Loop Header: Depth=2
                                        ;       Child Loop BB75_43 Depth 3
                                        ;         Child Loop BB75_48 Depth 4
	s_and_saveexec_b64 s[6:7], s[0:1]
	s_cbranch_execz .LBB75_40
; %bb.42:                               ;   in Loop: Header=BB75_41 Depth=2
	s_lshl_b32 s34, s39, 2
	v_mov_b32_e32 v4, s34
	ds_read2st64_b32 v[4:5], v4 offset0:198 offset1:200
	s_mov_b64 s[34:35], 0
	v_mov_b32_e32 v39, v13
	s_waitcnt lgkmcnt(0)
	v_add_u32_e32 v35, v5, v27
	v_add_u32_e32 v36, v12, v5
	;; [unrolled: 1-line block ×4, first 2 shown]
.LBB75_43:                              ;   Parent Loop BB75_10 Depth=1
                                        ;     Parent Loop BB75_41 Depth=2
                                        ; =>    This Loop Header: Depth=3
                                        ;         Child Loop BB75_48 Depth 4
	v_mov_b64_e32 v[18:19], 0
	s_mov_b32 s40, 0
	v_mov_b32_e32 v14, v37
	v_mov_b32_e32 v16, v36
	v_mov_b64_e32 v[20:21], 0
	s_mov_b64 s[36:37], -1
	s_and_b64 vcc, exec, s[26:27]
                                        ; implicit-def: $vgpr4_vgpr5
                                        ; implicit-def: $vgpr22_vgpr23
	s_cbranch_vccz .LBB75_48
	s_branch .LBB75_45
.LBB75_44:                              ;   in Loop: Header=BB75_48 Depth=4
	v_mov_b64_e32 v[18:19], v[4:5]
	v_mov_b64_e32 v[20:21], v[22:23]
	s_mov_b64 s[36:37], -1
	s_and_b64 vcc, exec, s[26:27]
                                        ; implicit-def: $vgpr4_vgpr5
                                        ; implicit-def: $vgpr22_vgpr23
	s_cbranch_vccz .LBB75_48
.LBB75_45:                              ;   in Loop: Header=BB75_43 Depth=3
	v_ashrrev_i32_e32 v15, 31, v14
	v_lshl_add_u64 v[4:5], v[14:15], 4, s[22:23]
	global_load_dwordx4 v[4:7], v[4:5], off
	v_mov_b64_e32 v[8:9], 0
	v_mov_b64_e32 v[10:11], 0
	s_and_saveexec_b64 s[36:37], s[2:3]
	s_cbranch_execz .LBB75_47
; %bb.46:                               ;   in Loop: Header=BB75_43 Depth=3
	v_ashrrev_i32_e32 v17, 31, v16
	v_lshl_add_u64 v[8:9], v[16:17], 4, s[22:23]
	global_load_dwordx4 v[8:11], v[8:9], off
.LBB75_47:                              ;   in Loop: Header=BB75_43 Depth=3
	s_or_b64 exec, exec, s[36:37]
	s_waitcnt vmcnt(0)
	v_fma_f64 v[22:23], v[4:5], v[8:9], v[20:21]
	v_fmac_f64_e32 v[22:23], v[6:7], v[10:11]
	v_fma_f64 v[6:7], v[6:7], v[8:9], v[18:19]
	v_fma_f64 v[4:5], v[4:5], -v[10:11], v[6:7]
	s_mov_b64 s[36:37], 0
.LBB75_48:                              ;   Parent Loop BB75_10 Depth=1
                                        ;     Parent Loop BB75_41 Depth=2
                                        ;       Parent Loop BB75_43 Depth=3
                                        ; =>      This Inner Loop Header: Depth=4
	s_and_b64 vcc, exec, s[36:37]
	s_cbranch_vccz .LBB75_52
; %bb.49:                               ;   in Loop: Header=BB75_48 Depth=4
	v_add_u32_e32 v4, s40, v38
	v_ashrrev_i32_e32 v5, 31, v4
	v_lshl_add_u64 v[4:5], v[4:5], 4, s[22:23]
	global_load_dwordx4 v[4:7], v[4:5], off
	v_mov_b64_e32 v[8:9], 0
	v_mov_b64_e32 v[10:11], 0
	s_and_saveexec_b64 s[36:37], s[2:3]
	s_cbranch_execz .LBB75_51
; %bb.50:                               ;   in Loop: Header=BB75_48 Depth=4
	v_add_u32_e32 v8, s40, v35
	v_ashrrev_i32_e32 v9, 31, v8
	v_lshl_add_u64 v[8:9], v[8:9], 4, s[22:23]
	global_load_dwordx4 v[8:11], v[8:9], off
.LBB75_51:                              ;   in Loop: Header=BB75_48 Depth=4
	s_or_b64 exec, exec, s[36:37]
	s_waitcnt vmcnt(0)
	v_fmac_f64_e32 v[20:21], v[4:5], v[8:9]
	v_fmac_f64_e32 v[20:21], v[6:7], v[10:11]
	;; [unrolled: 1-line block ×3, first 2 shown]
	v_fma_f64 v[4:5], v[4:5], -v[10:11], v[18:19]
	v_mov_b64_e32 v[22:23], v[20:21]
.LBB75_52:                              ;   in Loop: Header=BB75_48 Depth=4
	s_add_i32 s40, s40, 1
	v_add_u32_e32 v16, s46, v16
	s_cmp_eq_u32 s46, s40
	v_add_u32_e32 v14, s46, v14
	s_cbranch_scc0 .LBB75_44
; %bb.53:                               ;   in Loop: Header=BB75_43 Depth=3
	v_lshl_add_u32 v10, v39, 4, v25
	ds_read_b128 v[6:9], v10
	v_add_u32_e32 v39, 2, v39
	v_cmp_le_i32_e32 vcc, s46, v39
	v_add_u32_e32 v37, 2, v37
	s_or_b64 s[34:35], vcc, s[34:35]
	s_waitcnt lgkmcnt(0)
	v_add_f64 v[6:7], v[22:23], v[6:7]
	v_add_f64 v[8:9], v[4:5], v[8:9]
	v_add_u32_e32 v38, s50, v38
	ds_write_b128 v10, v[6:9]
	s_andn2_b64 exec, exec, s[34:35]
	s_cbranch_execnz .LBB75_43
	s_branch .LBB75_40
.LBB75_54:                              ;   in Loop: Header=BB75_10 Depth=1
	s_andn2_b64 vcc, exec, s[28:29]
	s_waitcnt lgkmcnt(0)
	s_cbranch_vccnz .LBB75_69
; %bb.55:                               ;   in Loop: Header=BB75_10 Depth=1
	s_mul_i32 s36, s49, s52
	s_mov_b32 s37, 0
	v_mov_b32_e32 v21, s51
	v_mov_b32_e32 v18, v32
	s_mov_b32 s38, s36
	s_branch .LBB75_57
.LBB75_56:                              ;   in Loop: Header=BB75_57 Depth=2
	s_or_b64 exec, exec, s[6:7]
	s_add_i32 s37, s37, 1
	s_add_i32 s38, s38, 1
	s_cmp_eq_u32 s37, s46
	v_add_u32_e32 v18, 16, v18
	s_waitcnt lgkmcnt(0)
	s_cbranch_scc1 .LBB75_69
.LBB75_57:                              ;   Parent Loop BB75_10 Depth=1
                                        ; =>  This Loop Header: Depth=2
                                        ;       Child Loop BB75_64 Depth 3
                                        ;       Child Loop BB75_68 Depth 3
	s_mul_i32 s39, s37, s46
	s_add_i32 s39, s39, s36
	s_add_i32 s6, s39, s37
	s_ashr_i32 s7, s6, 31
	s_lshl_b64 s[6:7], s[6:7], 4
	s_add_u32 s6, s22, s6
	s_addc_u32 s7, s23, s7
	global_load_dwordx4 v[8:11], v0, s[6:7]
	v_lshl_add_u32 v19, s37, 4, v26
	ds_read_b128 v[4:7], v19
	s_waitcnt vmcnt(0)
	v_cmp_neq_f64_e32 vcc, 0, v[8:9]
	v_cmp_neq_f64_e64 s[6:7], 0, v[10:11]
	s_or_b64 vcc, vcc, s[6:7]
	v_cndmask_b32_e32 v15, v34, v9, vcc
	s_nor_b64 s[34:35], vcc, s[4:5]
	v_cndmask_b32_e32 v14, 0, v8, vcc
	v_cndmask_b32_e32 v17, 0, v11, vcc
	;; [unrolled: 1-line block ×3, first 2 shown]
	s_and_saveexec_b64 s[6:7], s[34:35]
	s_cbranch_execz .LBB75_61
; %bb.58:                               ;   in Loop: Header=BB75_57 Depth=2
	v_mbcnt_lo_u32_b32 v8, exec_lo, 0
	v_mbcnt_hi_u32_b32 v8, exec_hi, v8
	v_cmp_eq_u32_e32 vcc, 0, v8
	s_and_saveexec_b64 s[34:35], vcc
	s_cbranch_execz .LBB75_60
; %bb.59:                               ;   in Loop: Header=BB75_57 Depth=2
	global_atomic_smin v0, v21, s[14:15]
.LBB75_60:                              ;   in Loop: Header=BB75_57 Depth=2
	s_or_b64 exec, exec, s[34:35]
	v_mov_b64_e32 v[16:17], 0
	v_mov_b64_e32 v[14:15], 1.0
.LBB75_61:                              ;   in Loop: Header=BB75_57 Depth=2
	s_or_b64 exec, exec, s[6:7]
	v_lshl_add_u32 v8, s37, 4, v25
	ds_read_b128 v[8:11], v8
	s_cmp_eq_u32 s37, 0
	s_cbranch_scc1 .LBB75_66
; %bb.62:                               ;   in Loop: Header=BB75_57 Depth=2
	s_mov_b32 s34, 0
	s_mov_b32 s35, s37
	;; [unrolled: 1-line block ×3, first 2 shown]
	v_mov_b32_e32 v20, v26
	s_branch .LBB75_64
.LBB75_63:                              ;   in Loop: Header=BB75_64 Depth=3
	s_ashr_i32 s7, s6, 31
	s_lshl_b64 s[6:7], s[6:7], 4
	s_add_u32 s6, s22, s6
	s_addc_u32 s7, s23, s7
	global_load_dwordx4 v[36:39], v0, s[6:7]
	ds_read_b128 v[40:43], v20
	s_add_i32 s34, s34, 1
	s_add_i32 s40, s40, s46
	s_add_i32 s35, s35, -1
	s_cmp_eq_u32 s35, 0
	v_add_u32_e32 v20, 16, v20
	s_waitcnt vmcnt(0) lgkmcnt(0)
	v_fmac_f64_e32 v[8:9], v[36:37], v[40:41]
	v_fmac_f64_e32 v[10:11], v[38:39], v[40:41]
	;; [unrolled: 1-line block ×3, first 2 shown]
	v_fma_f64 v[10:11], v[36:37], -v[42:43], v[10:11]
	s_cbranch_scc1 .LBB75_66
.LBB75_64:                              ;   Parent Loop BB75_10 Depth=1
                                        ;     Parent Loop BB75_57 Depth=2
                                        ; =>    This Inner Loop Header: Depth=3
	s_andn2_b64 vcc, exec, s[24:25]
	s_mov_b32 s6, s40
	s_cbranch_vccnz .LBB75_63
; %bb.65:                               ;   in Loop: Header=BB75_64 Depth=3
	s_add_i32 s6, s34, s39
	s_branch .LBB75_63
.LBB75_66:                              ;   in Loop: Header=BB75_57 Depth=2
	v_mul_f64 v[22:23], v[16:17], v[16:17]
	v_fmac_f64_e32 v[22:23], v[14:15], v[14:15]
	v_div_scale_f64 v[36:37], s[6:7], v[22:23], v[22:23], 1.0
	v_rcp_f64_e32 v[38:39], v[36:37]
	s_waitcnt lgkmcnt(0)
	v_add_f64 v[8:9], v[4:5], -v[8:9]
	v_add_f64 v[6:7], v[6:7], -v[10:11]
	v_fma_f64 v[4:5], -v[36:37], v[38:39], 1.0
	v_fmac_f64_e32 v[38:39], v[38:39], v[4:5]
	v_fma_f64 v[4:5], -v[36:37], v[38:39], 1.0
	v_fmac_f64_e32 v[38:39], v[38:39], v[4:5]
	v_div_scale_f64 v[4:5], vcc, 1.0, v[22:23], 1.0
	v_mul_f64 v[10:11], v[4:5], v[38:39]
	v_fma_f64 v[4:5], -v[36:37], v[10:11], v[4:5]
	s_nop 1
	v_div_fmas_f64 v[4:5], v[4:5], v[38:39], v[10:11]
	v_div_fixup_f64 v[10:11], v[4:5], v[22:23], 1.0
	v_mul_f64 v[4:5], v[16:17], v[6:7]
	v_fmac_f64_e32 v[4:5], v[8:9], v[14:15]
	v_mul_f64 v[8:9], v[16:17], -v[8:9]
	v_fmac_f64_e32 v[8:9], v[6:7], v[14:15]
	v_mul_f64 v[4:5], v[10:11], v[4:5]
	v_mul_f64 v[6:7], v[10:11], v[8:9]
	ds_write_b128 v19, v[4:7]
	s_waitcnt lgkmcnt(0)
	s_and_saveexec_b64 s[6:7], s[0:1]
	s_cbranch_execz .LBB75_56
; %bb.67:                               ;   in Loop: Header=BB75_57 Depth=2
	s_mov_b64 s[34:35], 0
	v_mov_b32_e32 v8, v18
	v_mov_b32_e32 v9, v31
	;; [unrolled: 1-line block ×3, first 2 shown]
.LBB75_68:                              ;   Parent Loop BB75_10 Depth=1
                                        ;     Parent Loop BB75_57 Depth=2
                                        ; =>    This Inner Loop Header: Depth=3
	ds_read_b128 v[14:17], v8
	ds_read_b128 v[36:39], v9
	v_add_u32_e32 v10, 2, v10
	v_cmp_le_i32_e32 vcc, s46, v10
	s_or_b64 s[34:35], vcc, s[34:35]
	v_add_u32_e32 v8, 0x420, v8
	s_waitcnt lgkmcnt(0)
	v_fmac_f64_e32 v[36:37], v[4:5], v[14:15]
	v_fmac_f64_e32 v[38:39], v[6:7], v[14:15]
	;; [unrolled: 1-line block ×3, first 2 shown]
	v_fma_f64 v[38:39], v[4:5], -v[16:17], v[38:39]
	ds_write_b128 v9, v[36:39]
	v_add_u32_e32 v9, 32, v9
	s_andn2_b64 exec, exec, s[34:35]
	s_cbranch_execnz .LBB75_68
	s_branch .LBB75_56
.LBB75_69:                              ;   in Loop: Header=BB75_10 Depth=1
	s_and_saveexec_b64 s[6:7], s[0:1]
	s_cbranch_execz .LBB75_9
; %bb.70:                               ;   in Loop: Header=BB75_10 Depth=1
	s_mov_b64 s[34:35], 0
	v_mov_b32_e32 v6, v33
	v_mov_b32_e32 v7, v13
	s_branch .LBB75_73
.LBB75_71:                              ;   in Loop: Header=BB75_73 Depth=2
	ds_read2_b64 v[8:11], v6 offset1:1
	v_ashrrev_i32_e32 v5, 31, v4
	v_lshl_add_u64 v[4:5], v[4:5], 4, s[22:23]
	s_waitcnt lgkmcnt(0)
	global_store_dwordx4 v[4:5], v[8:11], off
.LBB75_72:                              ;   in Loop: Header=BB75_73 Depth=2
	s_or_b64 exec, exec, s[36:37]
	v_add_u32_e32 v7, 2, v7
	v_cmp_le_i32_e32 vcc, s46, v7
	s_or_b64 s[34:35], vcc, s[34:35]
	v_add_u32_e32 v6, 32, v6
	s_andn2_b64 exec, exec, s[34:35]
	s_cbranch_execz .LBB75_9
.LBB75_73:                              ;   Parent Loop BB75_10 Depth=1
                                        ; =>  This Inner Loop Header: Depth=2
	s_and_saveexec_b64 s[36:37], s[2:3]
	s_cbranch_execz .LBB75_72
; %bb.74:                               ;   in Loop: Header=BB75_73 Depth=2
	s_mov_b64 s[38:39], -1
	s_and_b64 vcc, exec, s[26:27]
                                        ; implicit-def: $vgpr4
	s_cbranch_vccz .LBB75_76
; %bb.75:                               ;   in Loop: Header=BB75_73 Depth=2
	v_add_u32_e32 v4, s31, v7
	v_mad_u64_u32 v[4:5], s[38:39], v4, s46, v[12:13]
	s_mov_b64 s[38:39], 0
.LBB75_76:                              ;   in Loop: Header=BB75_73 Depth=2
	s_andn2_b64 vcc, exec, s[38:39]
	s_cbranch_vccnz .LBB75_71
; %bb.77:                               ;   in Loop: Header=BB75_73 Depth=2
	v_add_u32_e32 v4, v30, v7
	s_branch .LBB75_71
.LBB75_78:                              ;   in Loop: Header=BB75_10 Depth=1
                                        ; implicit-def: $sgpr30
                                        ; implicit-def: $vgpr30
	s_cbranch_execz .LBB75_10
.LBB75_79:
	v_cmp_gt_i32_e64 s[0:1], s46, v13
	s_and_saveexec_b64 s[4:5], s[0:1]
	s_cbranch_execz .LBB75_92
; %bb.80:
	s_mul_i32 s26, s33, s46
	v_add_u32_e32 v0, s26, v12
	s_cmp_lg_u32 s47, 0
	v_mul_lo_u32 v2, v0, s46
	v_mul_u32_u24_e32 v0, 0x210, v12
	s_movk_i32 s8, 0x4200
	s_cselect_b64 s[6:7], -1, 0
	v_cmp_gt_i32_e64 s[2:3], s46, v12
	v_add3_u32 v3, v0, v24, s8
	s_mov_b64 s[8:9], 0
	v_mov_b32_e32 v4, v13
	s_branch .LBB75_82
.LBB75_81:                              ;   in Loop: Header=BB75_82 Depth=1
	s_or_b64 exec, exec, s[18:19]
	v_add_u32_e32 v4, 2, v4
	v_cmp_le_i32_e32 vcc, s46, v4
	s_waitcnt vmcnt(0)
	ds_write_b128 v3, v[6:9]
	s_or_b64 s[8:9], vcc, s[8:9]
	v_add_u32_e32 v3, 32, v3
	s_andn2_b64 exec, exec, s[8:9]
	s_cbranch_execz .LBB75_92
.LBB75_82:                              ; =>This Inner Loop Header: Depth=1
	s_and_b64 vcc, exec, s[6:7]
	s_cbranch_vccz .LBB75_89
; %bb.83:                               ;   in Loop: Header=BB75_82 Depth=1
	s_mov_b64 s[18:19], 0
	s_mov_b64 s[16:17], 0
                                        ; implicit-def: $vgpr0
	s_and_saveexec_b64 s[24:25], s[2:3]
	s_xor_b64 s[24:25], exec, s[24:25]
; %bb.84:                               ;   in Loop: Header=BB75_82 Depth=1
	v_add_u32_e32 v0, s26, v4
	s_mov_b64 s[16:17], exec
	v_mad_u64_u32 v[0:1], s[28:29], v0, s46, v[12:13]
; %bb.85:                               ;   in Loop: Header=BB75_82 Depth=1
	s_or_b64 exec, exec, s[24:25]
	s_and_b64 vcc, exec, s[18:19]
	s_cbranch_vccz .LBB75_90
.LBB75_86:                              ;   in Loop: Header=BB75_82 Depth=1
                                        ; implicit-def: $vgpr0
	s_and_saveexec_b64 s[18:19], s[2:3]
; %bb.87:                               ;   in Loop: Header=BB75_82 Depth=1
	v_add_u32_e32 v0, v2, v4
	s_or_b64 s[16:17], s[16:17], exec
; %bb.88:                               ;   in Loop: Header=BB75_82 Depth=1
	s_or_b64 exec, exec, s[18:19]
	v_mov_b64_e32 v[6:7], 0
	v_mov_b64_e32 v[8:9], 0
	s_and_saveexec_b64 s[18:19], s[16:17]
	s_cbranch_execz .LBB75_81
	s_branch .LBB75_91
.LBB75_89:                              ;   in Loop: Header=BB75_82 Depth=1
	s_mov_b64 s[16:17], 0
                                        ; implicit-def: $vgpr0
	s_cbranch_execnz .LBB75_86
.LBB75_90:                              ;   in Loop: Header=BB75_82 Depth=1
	v_mov_b64_e32 v[6:7], 0
	v_mov_b64_e32 v[8:9], 0
	s_and_saveexec_b64 s[18:19], s[16:17]
	s_cbranch_execz .LBB75_81
.LBB75_91:                              ;   in Loop: Header=BB75_82 Depth=1
	v_ashrrev_i32_e32 v1, 31, v0
	v_lshl_add_u64 v[0:1], v[0:1], 4, s[22:23]
	global_load_dwordx4 v[6:9], v[0:1], off
	s_branch .LBB75_81
.LBB75_92:
	s_or_b64 exec, exec, s[4:5]
	s_cmp_lt_i32 s46, 1
	s_waitcnt lgkmcnt(0)
	s_cbranch_scc1 .LBB75_111
; %bb.93:
	v_or_b32_e32 v2, v13, v12
	s_movk_i32 s4, 0x210
	v_mov_b32_e32 v0, 0x4200
	v_mul_u32_u24_e32 v1, 0x210, v12
	v_cmp_ne_u32_e64 s[2:3], 0, v2
	s_mov_b32 s6, 0x8400
	v_mov_b32_e32 v2, 0x8400
	v_mad_u32_u24 v10, v12, s4, v0
	s_add_i32 s5, s20, s21
	v_mad_u32_u24 v11, v12, s4, v2
	v_lshlrev_b32_e32 v2, 4, v12
	v_add3_u32 v16, v1, v24, s6
	s_mov_b32 s6, 0
	s_mov_b32 s18, 0
	v_add_u32_e32 v14, v10, v2
	v_add_u32_e32 v15, v11, v2
	v_mad_u32_u24 v17, v13, s4, v0
	s_brev_b32 s7, 8
	v_mov_b32_e32 v18, 0x260
	v_mov_b32_e32 v2, 0
	;; [unrolled: 1-line block ×6, first 2 shown]
	s_branch .LBB75_95
.LBB75_94:                              ;   in Loop: Header=BB75_95 Depth=1
	s_or_b64 exec, exec, s[4:5]
	s_add_i32 s18, s18, 1
	s_cmp_eq_u32 s18, s46
	v_add_u32_e32 v17, 16, v17
	s_waitcnt lgkmcnt(0)
	s_cbranch_scc1 .LBB75_111
.LBB75_95:                              ; =>This Loop Header: Depth=1
                                        ;     Child Loop BB75_110 Depth 2
	v_cmp_eq_u32_e32 vcc, s18, v12
	s_and_saveexec_b64 s[4:5], vcc
	s_cbranch_execz .LBB75_103
; %bb.96:                               ;   in Loop: Header=BB75_95 Depth=1
	ds_read_b128 v[4:7], v15
	ds_read_b128 v[26:29], v14
	s_waitcnt lgkmcnt(0)
	v_add_f64 v[0:1], v[26:27], -v[4:5]
	v_add_f64 v[8:9], v[28:29], -v[6:7]
	v_xor_b32_e32 v3, 0x80000000, v1
	v_cmp_gt_f64_e32 vcc, 0, v[0:1]
	v_xor_b32_e32 v4, 0x80000000, v9
                                        ; implicit-def: $vgpr6_vgpr7
	s_nop 0
	v_cndmask_b32_e32 v1, v1, v3, vcc
	v_cmp_gt_f64_e32 vcc, 0, v[8:9]
	s_nop 1
	v_cndmask_b32_e32 v5, v9, v4, vcc
	v_mov_b32_e32 v4, v8
	v_cmp_ngt_f64_e32 vcc, v[0:1], v[4:5]
	s_and_saveexec_b64 s[8:9], vcc
	s_xor_b64 s[8:9], exec, s[8:9]
	s_cbranch_execz .LBB75_100
; %bb.97:                               ;   in Loop: Header=BB75_95 Depth=1
	v_mov_b64_e32 v[6:7], 0
	v_cmp_neq_f64_e32 vcc, 0, v[8:9]
	s_and_saveexec_b64 s[16:17], vcc
	s_cbranch_execz .LBB75_99
; %bb.98:                               ;   in Loop: Header=BB75_95 Depth=1
	v_div_scale_f64 v[6:7], s[24:25], v[4:5], v[4:5], v[0:1]
	v_rcp_f64_e32 v[8:9], v[6:7]
	v_div_scale_f64 v[26:27], vcc, v[0:1], v[4:5], v[0:1]
	v_fma_f64 v[28:29], -v[6:7], v[8:9], 1.0
	v_fmac_f64_e32 v[8:9], v[8:9], v[28:29]
	v_fma_f64 v[28:29], -v[6:7], v[8:9], 1.0
	v_fmac_f64_e32 v[8:9], v[8:9], v[28:29]
	v_mul_f64 v[28:29], v[26:27], v[8:9]
	v_fma_f64 v[6:7], -v[6:7], v[28:29], v[26:27]
	v_div_fmas_f64 v[6:7], v[6:7], v[8:9], v[28:29]
	v_div_fixup_f64 v[0:1], v[6:7], v[4:5], v[0:1]
	v_fma_f64 v[0:1], v[0:1], v[0:1], 1.0
	v_cmp_gt_f64_e32 vcc, s[6:7], v[0:1]
	s_nop 1
	v_cndmask_b32_e32 v3, 0, v20, vcc
	v_ldexp_f64 v[0:1], v[0:1], v3
	v_rsq_f64_e32 v[6:7], v[0:1]
	v_cndmask_b32_e32 v3, 0, v21, vcc
	v_cmp_class_f64_e32 vcc, v[0:1], v18
	v_mul_f64 v[8:9], v[0:1], v[6:7]
	v_mul_f64 v[6:7], v[6:7], 0.5
	v_fma_f64 v[26:27], -v[6:7], v[8:9], 0.5
	v_fmac_f64_e32 v[8:9], v[8:9], v[26:27]
	v_fma_f64 v[28:29], -v[8:9], v[8:9], v[0:1]
	v_fmac_f64_e32 v[6:7], v[6:7], v[26:27]
	v_fmac_f64_e32 v[8:9], v[28:29], v[6:7]
	v_fma_f64 v[26:27], -v[8:9], v[8:9], v[0:1]
	v_fmac_f64_e32 v[8:9], v[26:27], v[6:7]
	v_ldexp_f64 v[6:7], v[8:9], v3
	v_cndmask_b32_e32 v1, v7, v1, vcc
	v_cndmask_b32_e32 v0, v6, v0, vcc
	v_mul_f64 v[6:7], v[4:5], v[0:1]
.LBB75_99:                              ;   in Loop: Header=BB75_95 Depth=1
	s_or_b64 exec, exec, s[16:17]
                                        ; implicit-def: $vgpr0_vgpr1
                                        ; implicit-def: $vgpr4_vgpr5
.LBB75_100:                             ;   in Loop: Header=BB75_95 Depth=1
	s_andn2_saveexec_b64 s[8:9], s[8:9]
	s_cbranch_execz .LBB75_102
; %bb.101:                              ;   in Loop: Header=BB75_95 Depth=1
	v_div_scale_f64 v[6:7], s[16:17], v[0:1], v[0:1], v[4:5]
	v_rcp_f64_e32 v[8:9], v[6:7]
	v_div_scale_f64 v[26:27], vcc, v[4:5], v[0:1], v[4:5]
	v_fma_f64 v[28:29], -v[6:7], v[8:9], 1.0
	v_fmac_f64_e32 v[8:9], v[8:9], v[28:29]
	v_fma_f64 v[28:29], -v[6:7], v[8:9], 1.0
	v_fmac_f64_e32 v[8:9], v[8:9], v[28:29]
	v_mul_f64 v[28:29], v[26:27], v[8:9]
	v_fma_f64 v[6:7], -v[6:7], v[28:29], v[26:27]
	v_div_fmas_f64 v[6:7], v[6:7], v[8:9], v[28:29]
	v_div_fixup_f64 v[4:5], v[6:7], v[0:1], v[4:5]
	v_fma_f64 v[4:5], v[4:5], v[4:5], 1.0
	v_cmp_gt_f64_e32 vcc, s[6:7], v[4:5]
	s_nop 1
	v_cndmask_b32_e32 v3, 0, v20, vcc
	v_ldexp_f64 v[4:5], v[4:5], v3
	v_rsq_f64_e32 v[6:7], v[4:5]
	v_cndmask_b32_e32 v3, 0, v21, vcc
	v_cmp_class_f64_e32 vcc, v[4:5], v18
	v_mul_f64 v[8:9], v[4:5], v[6:7]
	v_mul_f64 v[6:7], v[6:7], 0.5
	v_fma_f64 v[26:27], -v[6:7], v[8:9], 0.5
	v_fmac_f64_e32 v[8:9], v[8:9], v[26:27]
	v_fma_f64 v[28:29], -v[8:9], v[8:9], v[4:5]
	v_fmac_f64_e32 v[6:7], v[6:7], v[26:27]
	v_fmac_f64_e32 v[8:9], v[28:29], v[6:7]
	v_fma_f64 v[26:27], -v[8:9], v[8:9], v[4:5]
	v_fmac_f64_e32 v[8:9], v[26:27], v[6:7]
	v_ldexp_f64 v[6:7], v[8:9], v3
	v_cndmask_b32_e32 v5, v7, v5, vcc
	v_cndmask_b32_e32 v4, v6, v4, vcc
	v_mul_f64 v[6:7], v[0:1], v[4:5]
.LBB75_102:                             ;   in Loop: Header=BB75_95 Depth=1
	s_or_b64 exec, exec, s[8:9]
	v_cmp_gt_f64_e32 vcc, s[6:7], v[6:7]
	s_nop 1
	v_cndmask_b32_e32 v0, 0, v20, vcc
	v_ldexp_f64 v[0:1], v[6:7], v0
	v_rsq_f64_e32 v[4:5], v[0:1]
	v_cndmask_b32_e32 v3, 0, v21, vcc
	v_cmp_class_f64_e32 vcc, v[0:1], v18
	v_mul_f64 v[6:7], v[0:1], v[4:5]
	v_mul_f64 v[4:5], v[4:5], 0.5
	v_fma_f64 v[8:9], -v[4:5], v[6:7], 0.5
	v_fmac_f64_e32 v[6:7], v[6:7], v[8:9]
	v_fmac_f64_e32 v[4:5], v[4:5], v[8:9]
	v_fma_f64 v[8:9], -v[6:7], v[6:7], v[0:1]
	v_fmac_f64_e32 v[6:7], v[8:9], v[4:5]
	v_fma_f64 v[8:9], -v[6:7], v[6:7], v[0:1]
	v_fmac_f64_e32 v[6:7], v[8:9], v[4:5]
	v_ldexp_f64 v[4:5], v[6:7], v3
	v_cndmask_b32_e32 v1, v5, v1, vcc
	v_cndmask_b32_e32 v0, v4, v0, vcc
	v_mov_b32_e32 v3, v2
	ds_write_b128 v14, v[0:3]
.LBB75_103:                             ;   in Loop: Header=BB75_95 Depth=1
	s_or_b64 exec, exec, s[4:5]
	s_lshl_b32 s4, s18, 4
	s_mul_i32 s5, s18, 0x210
	s_add_i32 s5, s5, s4
	v_mov_b32_e32 v0, s5
	s_waitcnt lgkmcnt(0)
	ds_read_b128 v[26:29], v0 offset:16896
	v_add_u32_e32 v3, s4, v10
	ds_read_b128 v[4:7], v3
	s_waitcnt lgkmcnt(1)
	v_cmp_neq_f64_e32 vcc, 0, v[26:27]
	v_cmp_neq_f64_e64 s[4:5], 0, v[28:29]
	s_or_b64 vcc, vcc, s[4:5]
	v_cndmask_b32_e32 v1, 0, v29, vcc
	s_nor_b64 s[8:9], vcc, s[2:3]
	v_cndmask_b32_e32 v0, 0, v28, vcc
	v_cndmask_b32_e32 v9, v19, v27, vcc
	;; [unrolled: 1-line block ×3, first 2 shown]
	s_and_saveexec_b64 s[4:5], s[8:9]
	s_cbranch_execz .LBB75_107
; %bb.104:                              ;   in Loop: Header=BB75_95 Depth=1
	v_mbcnt_lo_u32_b32 v0, exec_lo, 0
	v_mbcnt_hi_u32_b32 v0, exec_hi, v0
	v_cmp_eq_u32_e32 vcc, 0, v0
	s_and_saveexec_b64 s[8:9], vcc
	s_cbranch_execz .LBB75_106
; %bb.105:                              ;   in Loop: Header=BB75_95 Depth=1
	global_atomic_smin v2, v22, s[14:15]
.LBB75_106:                             ;   in Loop: Header=BB75_95 Depth=1
	s_or_b64 exec, exec, s[8:9]
	v_mov_b64_e32 v[8:9], 1.0
	v_mov_b64_e32 v[0:1], 0
.LBB75_107:                             ;   in Loop: Header=BB75_95 Depth=1
	s_or_b64 exec, exec, s[4:5]
	v_cmp_lt_u32_e32 vcc, s18, v12
	s_and_saveexec_b64 s[4:5], vcc
	s_cbranch_execz .LBB75_94
; %bb.108:                              ;   in Loop: Header=BB75_95 Depth=1
	v_mul_f64 v[30:31], v[0:1], v[0:1]
	v_lshl_add_u32 v23, s18, 4, v11
	v_fmac_f64_e32 v[30:31], v[8:9], v[8:9]
	ds_read_b128 v[26:29], v23
	v_div_scale_f64 v[32:33], s[8:9], v[30:31], v[30:31], 1.0
	v_rcp_f64_e32 v[34:35], v[32:33]
	s_waitcnt lgkmcnt(0)
	v_add_f64 v[26:27], v[4:5], -v[26:27]
	v_add_f64 v[6:7], v[6:7], -v[28:29]
	v_fma_f64 v[4:5], -v[32:33], v[34:35], 1.0
	v_fmac_f64_e32 v[34:35], v[34:35], v[4:5]
	v_fma_f64 v[4:5], -v[32:33], v[34:35], 1.0
	v_fmac_f64_e32 v[34:35], v[34:35], v[4:5]
	v_div_scale_f64 v[4:5], vcc, 1.0, v[30:31], 1.0
	v_mul_f64 v[28:29], v[4:5], v[34:35]
	v_fma_f64 v[4:5], -v[32:33], v[28:29], v[4:5]
	s_nop 1
	v_div_fmas_f64 v[4:5], v[4:5], v[34:35], v[28:29]
	v_div_fixup_f64 v[28:29], v[4:5], v[30:31], 1.0
	v_mul_f64 v[4:5], v[0:1], v[6:7]
	v_mul_f64 v[0:1], v[0:1], -v[26:27]
	v_fmac_f64_e32 v[4:5], v[26:27], v[8:9]
	v_fmac_f64_e32 v[0:1], v[6:7], v[8:9]
	v_mul_f64 v[4:5], v[28:29], v[4:5]
	v_mul_f64 v[6:7], v[28:29], v[0:1]
	ds_write_b128 v3, v[4:7]
	s_waitcnt lgkmcnt(0)
	s_and_b64 exec, exec, s[0:1]
	s_cbranch_execz .LBB75_94
; %bb.109:                              ;   in Loop: Header=BB75_95 Depth=1
	s_mov_b64 s[8:9], 0
	v_mov_b32_e32 v0, v17
	v_mov_b32_e32 v1, v16
	;; [unrolled: 1-line block ×3, first 2 shown]
.LBB75_110:                             ;   Parent Loop BB75_95 Depth=1
                                        ; =>  This Inner Loop Header: Depth=2
	ds_read_b128 v[26:29], v0
	ds_read_b128 v[30:33], v1
	v_add_u32_e32 v3, 2, v3
	v_cmp_le_i32_e32 vcc, s46, v3
	s_or_b64 s[8:9], vcc, s[8:9]
	v_add_u32_e32 v0, 0x420, v0
	s_waitcnt lgkmcnt(0)
	v_fmac_f64_e32 v[30:31], v[4:5], v[26:27]
	v_fmac_f64_e32 v[32:33], v[6:7], v[26:27]
	v_fmac_f64_e32 v[30:31], v[6:7], v[28:29]
	v_fma_f64 v[32:33], v[4:5], -v[28:29], v[32:33]
	ds_write_b128 v1, v[30:33]
	v_add_u32_e32 v1, 32, v1
	s_andn2_b64 exec, exec, s[8:9]
	s_cbranch_execnz .LBB75_110
	s_branch .LBB75_94
.LBB75_111:
	s_and_saveexec_b64 s[2:3], s[0:1]
	s_cbranch_execz .LBB75_120
; %bb.112:
	s_mul_i32 s33, s33, s46
	v_add_u32_e32 v0, s33, v12
	s_cmp_lg_u32 s47, 0
	v_mul_lo_u32 v2, v0, s46
	v_mul_u32_u24_e32 v0, 0x210, v12
	s_movk_i32 s6, 0x4200
	v_cmp_gt_i32_e64 s[0:1], s46, v12
	s_cselect_b64 s[4:5], -1, 0
	v_add3_u32 v3, v0, v24, s6
	s_mov_b64 s[6:7], 0
	v_mov_b32_e32 v4, v13
	s_branch .LBB75_116
.LBB75_113:                             ;   in Loop: Header=BB75_116 Depth=1
	v_add_u32_e32 v0, v2, v4
.LBB75_114:                             ;   in Loop: Header=BB75_116 Depth=1
	ds_read2_b64 v[6:9], v3 offset1:1
	v_ashrrev_i32_e32 v1, 31, v0
	v_lshl_add_u64 v[0:1], v[0:1], 4, s[22:23]
	s_waitcnt lgkmcnt(0)
	global_store_dwordx4 v[0:1], v[6:9], off
.LBB75_115:                             ;   in Loop: Header=BB75_116 Depth=1
	s_or_b64 exec, exec, s[8:9]
	v_add_u32_e32 v4, 2, v4
	v_cmp_le_i32_e32 vcc, s46, v4
	s_or_b64 s[6:7], vcc, s[6:7]
	v_add_u32_e32 v3, 32, v3
	s_andn2_b64 exec, exec, s[6:7]
	s_cbranch_execz .LBB75_120
.LBB75_116:                             ; =>This Inner Loop Header: Depth=1
	s_and_saveexec_b64 s[8:9], s[0:1]
	s_cbranch_execz .LBB75_115
; %bb.117:                              ;   in Loop: Header=BB75_116 Depth=1
	s_and_b64 vcc, exec, s[4:5]
	s_cbranch_vccz .LBB75_119
; %bb.118:                              ;   in Loop: Header=BB75_116 Depth=1
	v_add_u32_e32 v0, s33, v4
	v_mad_u64_u32 v[0:1], s[16:17], v0, s46, v[12:13]
	s_cbranch_execnz .LBB75_114
	s_branch .LBB75_113
.LBB75_119:                             ;   in Loop: Header=BB75_116 Depth=1
                                        ; implicit-def: $vgpr0
	s_branch .LBB75_113
.LBB75_120:
	s_or_b64 exec, exec, s[2:3]
	v_or_b32_e32 v0, v13, v12
	v_cmp_eq_u32_e32 vcc, 0, v0
	s_and_saveexec_b64 s[0:1], vcc
	s_cbranch_execz .LBB75_122
; %bb.121:
	s_add_u32 s2, s10, s12
	s_addc_u32 s3, s11, s13
	v_mov_b32_e32 v0, 0
	v_mov_b32_e32 v1, 1
	buffer_wbl2 sc1
	s_waitcnt vmcnt(0)
	global_store_dword v0, v1, s[2:3] sc1
.LBB75_122:
	s_or_b64 exec, exec, s[0:1]
.LBB75_123:
	s_endpgm
.LBB75_124:
	s_cbranch_execz .LBB75_123
; %bb.125:
	v_or_b32_e32 v0, v13, v12
	v_cmp_eq_u32_e32 vcc, 0, v0
	s_and_saveexec_b64 s[0:1], vcc
	s_cbranch_execz .LBB75_123
; %bb.126:
	v_mbcnt_lo_u32_b32 v0, exec_lo, 0
	v_mbcnt_hi_u32_b32 v0, exec_hi, v0
	v_cmp_eq_u32_e32 vcc, 0, v0
	s_and_saveexec_b64 s[0:1], vcc
	s_cbranch_execz .LBB75_128
; %bb.127:
	s_add_i32 s2, s20, s21
	v_mov_b32_e32 v0, 0
	v_mov_b32_e32 v1, s2
	global_atomic_smin v0, v1, s[14:15]
.LBB75_128:
	s_or_b64 exec, exec, s[0:1]
	s_add_u32 s0, s10, s12
	s_addc_u32 s1, s11, s13
	v_mov_b32_e32 v0, 0
	v_mov_b32_e32 v1, 1
	buffer_wbl2 sc1
	s_waitcnt vmcnt(0)
	global_store_dword v0, v1, s[0:1] sc1
	s_endpgm
	.section	.rodata,"a",@progbits
	.p2align	6, 0x0
	.amdhsa_kernel _ZN9rocsparseL19bsric0_17_32_kernelILi64ELi128ELi32E21rocsparse_complex_numIdEEEv20rocsparse_direction_iiPKiS5_PT2_S5_PiS5_S8_21rocsparse_index_base_
		.amdhsa_group_segment_fixed_size 52224
		.amdhsa_private_segment_fixed_size 0
		.amdhsa_kernarg_size 76
		.amdhsa_user_sgpr_count 2
		.amdhsa_user_sgpr_dispatch_ptr 0
		.amdhsa_user_sgpr_queue_ptr 0
		.amdhsa_user_sgpr_kernarg_segment_ptr 1
		.amdhsa_user_sgpr_dispatch_id 0
		.amdhsa_user_sgpr_kernarg_preload_length 0
		.amdhsa_user_sgpr_kernarg_preload_offset 0
		.amdhsa_user_sgpr_private_segment_size 0
		.amdhsa_uses_dynamic_stack 0
		.amdhsa_enable_private_segment 0
		.amdhsa_system_sgpr_workgroup_id_x 1
		.amdhsa_system_sgpr_workgroup_id_y 0
		.amdhsa_system_sgpr_workgroup_id_z 0
		.amdhsa_system_sgpr_workgroup_info 0
		.amdhsa_system_vgpr_workitem_id 1
		.amdhsa_next_free_vgpr 257
		.amdhsa_next_free_sgpr 96
		.amdhsa_accum_offset 44
		.amdhsa_reserve_vcc 1
		.amdhsa_float_round_mode_32 0
		.amdhsa_float_round_mode_16_64 0
		.amdhsa_float_denorm_mode_32 3
		.amdhsa_float_denorm_mode_16_64 3
		.amdhsa_dx10_clamp 1
		.amdhsa_ieee_mode 1
		.amdhsa_fp16_overflow 0
		.amdhsa_tg_split 0
		.amdhsa_exception_fp_ieee_invalid_op 0
		.amdhsa_exception_fp_denorm_src 0
		.amdhsa_exception_fp_ieee_div_zero 0
		.amdhsa_exception_fp_ieee_overflow 0
		.amdhsa_exception_fp_ieee_underflow 0
		.amdhsa_exception_fp_ieee_inexact 0
		.amdhsa_exception_int_div_zero 0
	.end_amdhsa_kernel
	.section	.text._ZN9rocsparseL19bsric0_17_32_kernelILi64ELi128ELi32E21rocsparse_complex_numIdEEEv20rocsparse_direction_iiPKiS5_PT2_S5_PiS5_S8_21rocsparse_index_base_,"axG",@progbits,_ZN9rocsparseL19bsric0_17_32_kernelILi64ELi128ELi32E21rocsparse_complex_numIdEEEv20rocsparse_direction_iiPKiS5_PT2_S5_PiS5_S8_21rocsparse_index_base_,comdat
.Lfunc_end75:
	.size	_ZN9rocsparseL19bsric0_17_32_kernelILi64ELi128ELi32E21rocsparse_complex_numIdEEEv20rocsparse_direction_iiPKiS5_PT2_S5_PiS5_S8_21rocsparse_index_base_, .Lfunc_end75-_ZN9rocsparseL19bsric0_17_32_kernelILi64ELi128ELi32E21rocsparse_complex_numIdEEEv20rocsparse_direction_iiPKiS5_PT2_S5_PiS5_S8_21rocsparse_index_base_
                                        ; -- End function
	.set _ZN9rocsparseL19bsric0_17_32_kernelILi64ELi128ELi32E21rocsparse_complex_numIdEEEv20rocsparse_direction_iiPKiS5_PT2_S5_PiS5_S8_21rocsparse_index_base_.num_vgpr, 44
	.set _ZN9rocsparseL19bsric0_17_32_kernelILi64ELi128ELi32E21rocsparse_complex_numIdEEEv20rocsparse_direction_iiPKiS5_PT2_S5_PiS5_S8_21rocsparse_index_base_.num_agpr, 0
	.set _ZN9rocsparseL19bsric0_17_32_kernelILi64ELi128ELi32E21rocsparse_complex_numIdEEEv20rocsparse_direction_iiPKiS5_PT2_S5_PiS5_S8_21rocsparse_index_base_.numbered_sgpr, 56
	.set _ZN9rocsparseL19bsric0_17_32_kernelILi64ELi128ELi32E21rocsparse_complex_numIdEEEv20rocsparse_direction_iiPKiS5_PT2_S5_PiS5_S8_21rocsparse_index_base_.num_named_barrier, 0
	.set _ZN9rocsparseL19bsric0_17_32_kernelILi64ELi128ELi32E21rocsparse_complex_numIdEEEv20rocsparse_direction_iiPKiS5_PT2_S5_PiS5_S8_21rocsparse_index_base_.private_seg_size, 0
	.set _ZN9rocsparseL19bsric0_17_32_kernelILi64ELi128ELi32E21rocsparse_complex_numIdEEEv20rocsparse_direction_iiPKiS5_PT2_S5_PiS5_S8_21rocsparse_index_base_.uses_vcc, 1
	.set _ZN9rocsparseL19bsric0_17_32_kernelILi64ELi128ELi32E21rocsparse_complex_numIdEEEv20rocsparse_direction_iiPKiS5_PT2_S5_PiS5_S8_21rocsparse_index_base_.uses_flat_scratch, 0
	.set _ZN9rocsparseL19bsric0_17_32_kernelILi64ELi128ELi32E21rocsparse_complex_numIdEEEv20rocsparse_direction_iiPKiS5_PT2_S5_PiS5_S8_21rocsparse_index_base_.has_dyn_sized_stack, 0
	.set _ZN9rocsparseL19bsric0_17_32_kernelILi64ELi128ELi32E21rocsparse_complex_numIdEEEv20rocsparse_direction_iiPKiS5_PT2_S5_PiS5_S8_21rocsparse_index_base_.has_recursion, 0
	.set _ZN9rocsparseL19bsric0_17_32_kernelILi64ELi128ELi32E21rocsparse_complex_numIdEEEv20rocsparse_direction_iiPKiS5_PT2_S5_PiS5_S8_21rocsparse_index_base_.has_indirect_call, 0
	.section	.AMDGPU.csdata,"",@progbits
; Kernel info:
; codeLenInByte = 4344
; TotalNumSgprs: 62
; NumVgprs: 44
; NumAgprs: 0
; TotalNumVgprs: 44
; ScratchSize: 0
; MemoryBound: 1
; FloatMode: 240
; IeeeMode: 1
; LDSByteSize: 52224 bytes/workgroup (compile time only)
; SGPRBlocks: 12
; VGPRBlocks: 32
; NumSGPRsForWavesPerEU: 102
; NumVGPRsForWavesPerEU: 257
; AccumOffset: 44
; Occupancy: 1
; WaveLimiterHint : 1
; COMPUTE_PGM_RSRC2:SCRATCH_EN: 0
; COMPUTE_PGM_RSRC2:USER_SGPR: 2
; COMPUTE_PGM_RSRC2:TRAP_HANDLER: 0
; COMPUTE_PGM_RSRC2:TGID_X_EN: 1
; COMPUTE_PGM_RSRC2:TGID_Y_EN: 0
; COMPUTE_PGM_RSRC2:TGID_Z_EN: 0
; COMPUTE_PGM_RSRC2:TIDIG_COMP_CNT: 1
; COMPUTE_PGM_RSRC3_GFX90A:ACCUM_OFFSET: 10
; COMPUTE_PGM_RSRC3_GFX90A:TG_SPLIT: 0
	.section	.AMDGPU.gpr_maximums,"",@progbits
	.set amdgpu.max_num_vgpr, 0
	.set amdgpu.max_num_agpr, 0
	.set amdgpu.max_num_sgpr, 0
	.section	.AMDGPU.csdata,"",@progbits
	.type	__hip_cuid_92f6c875c5e88616,@object ; @__hip_cuid_92f6c875c5e88616
	.section	.bss,"aw",@nobits
	.globl	__hip_cuid_92f6c875c5e88616
__hip_cuid_92f6c875c5e88616:
	.byte	0                               ; 0x0
	.size	__hip_cuid_92f6c875c5e88616, 1

	.ident	"AMD clang version 22.0.0git (https://github.com/RadeonOpenCompute/llvm-project roc-7.2.4 26084 f58b06dce1f9c15707c5f808fd002e18c2accf7e)"
	.section	".note.GNU-stack","",@progbits
	.addrsig
	.addrsig_sym __hip_cuid_92f6c875c5e88616
	.amdgpu_metadata
---
amdhsa.kernels:
  - .agpr_count:     0
    .args:
      - .offset:         0
        .size:           4
        .value_kind:     by_value
      - .offset:         4
        .size:           4
        .value_kind:     by_value
      - .offset:         8
        .size:           4
        .value_kind:     by_value
      - .actual_access:  read_only
        .address_space:  global
        .offset:         16
        .size:           8
        .value_kind:     global_buffer
      - .actual_access:  read_only
        .address_space:  global
        .offset:         24
        .size:           8
        .value_kind:     global_buffer
      - .address_space:  global
        .offset:         32
        .size:           8
        .value_kind:     global_buffer
      - .actual_access:  read_only
        .address_space:  global
        .offset:         40
        .size:           8
        .value_kind:     global_buffer
      - .address_space:  global
        .offset:         48
        .size:           8
        .value_kind:     global_buffer
      - .actual_access:  read_only
        .address_space:  global
        .offset:         56
        .size:           8
        .value_kind:     global_buffer
      - .address_space:  global
        .offset:         64
        .size:           8
        .value_kind:     global_buffer
      - .offset:         72
        .size:           4
        .value_kind:     by_value
    .group_segment_fixed_size: 0
    .kernarg_segment_align: 8
    .kernarg_segment_size: 76
    .language:       OpenCL C
    .language_version:
      - 2
      - 0
    .max_flat_workgroup_size: 32
    .name:           _ZN9rocsparseL23bsric0_binsearch_kernelILj32ELj32ELb0EfEEv20rocsparse_direction_iiPKiS3_PT2_S3_PiS3_S6_21rocsparse_index_base_
    .private_segment_fixed_size: 0
    .sgpr_count:     62
    .sgpr_spill_count: 0
    .symbol:         _ZN9rocsparseL23bsric0_binsearch_kernelILj32ELj32ELb0EfEEv20rocsparse_direction_iiPKiS3_PT2_S3_PiS3_S6_21rocsparse_index_base_.kd
    .uniform_work_group_size: 1
    .uses_dynamic_stack: false
    .vgpr_count:     45
    .vgpr_spill_count: 0
    .wavefront_size: 64
  - .agpr_count:     0
    .args:
      - .offset:         0
        .size:           4
        .value_kind:     by_value
      - .offset:         4
        .size:           4
        .value_kind:     by_value
      - .offset:         8
        .size:           4
        .value_kind:     by_value
      - .actual_access:  read_only
        .address_space:  global
        .offset:         16
        .size:           8
        .value_kind:     global_buffer
      - .actual_access:  read_only
        .address_space:  global
        .offset:         24
        .size:           8
        .value_kind:     global_buffer
      - .address_space:  global
        .offset:         32
        .size:           8
        .value_kind:     global_buffer
      - .actual_access:  read_only
        .address_space:  global
        .offset:         40
        .size:           8
        .value_kind:     global_buffer
      - .address_space:  global
        .offset:         48
        .size:           8
        .value_kind:     global_buffer
      - .actual_access:  read_only
        .address_space:  global
        .offset:         56
        .size:           8
        .value_kind:     global_buffer
      - .address_space:  global
        .offset:         64
        .size:           8
        .value_kind:     global_buffer
      - .offset:         72
        .size:           4
        .value_kind:     by_value
    .group_segment_fixed_size: 0
    .kernarg_segment_align: 8
    .kernarg_segment_size: 76
    .language:       OpenCL C
    .language_version:
      - 2
      - 0
    .max_flat_workgroup_size: 64
    .name:           _ZN9rocsparseL23bsric0_binsearch_kernelILj64ELj64ELb1EfEEv20rocsparse_direction_iiPKiS3_PT2_S3_PiS3_S6_21rocsparse_index_base_
    .private_segment_fixed_size: 0
    .sgpr_count:     62
    .sgpr_spill_count: 0
    .symbol:         _ZN9rocsparseL23bsric0_binsearch_kernelILj64ELj64ELb1EfEEv20rocsparse_direction_iiPKiS3_PT2_S3_PiS3_S6_21rocsparse_index_base_.kd
    .uniform_work_group_size: 1
    .uses_dynamic_stack: false
    .vgpr_count:     45
    .vgpr_spill_count: 0
    .wavefront_size: 64
  - .agpr_count:     0
    .args:
      - .offset:         0
        .size:           4
        .value_kind:     by_value
      - .offset:         4
        .size:           4
        .value_kind:     by_value
      - .offset:         8
        .size:           4
        .value_kind:     by_value
      - .actual_access:  read_only
        .address_space:  global
        .offset:         16
        .size:           8
        .value_kind:     global_buffer
      - .actual_access:  read_only
        .address_space:  global
        .offset:         24
        .size:           8
        .value_kind:     global_buffer
      - .address_space:  global
        .offset:         32
        .size:           8
        .value_kind:     global_buffer
      - .actual_access:  read_only
        .address_space:  global
        .offset:         40
        .size:           8
        .value_kind:     global_buffer
      - .address_space:  global
        .offset:         48
        .size:           8
        .value_kind:     global_buffer
      - .actual_access:  read_only
        .address_space:  global
        .offset:         56
        .size:           8
        .value_kind:     global_buffer
      - .address_space:  global
        .offset:         64
        .size:           8
        .value_kind:     global_buffer
      - .offset:         72
        .size:           4
        .value_kind:     by_value
    .group_segment_fixed_size: 416
    .kernarg_segment_align: 8
    .kernarg_segment_size: 76
    .language:       OpenCL C
    .language_version:
      - 2
      - 0
    .max_flat_workgroup_size: 1
    .name:           _ZN9rocsparseL26bsric0_2_8_unrolled_kernelILi1ELi32ELi1EfEEv20rocsparse_direction_iiPKiS3_PT2_S3_PiS3_S6_21rocsparse_index_base_
    .private_segment_fixed_size: 0
    .sgpr_count:     44
    .sgpr_spill_count: 0
    .symbol:         _ZN9rocsparseL26bsric0_2_8_unrolled_kernelILi1ELi32ELi1EfEEv20rocsparse_direction_iiPKiS3_PT2_S3_PiS3_S6_21rocsparse_index_base_.kd
    .uniform_work_group_size: 1
    .uses_dynamic_stack: false
    .vgpr_count:     53
    .vgpr_spill_count: 0
    .wavefront_size: 64
  - .agpr_count:     0
    .args:
      - .offset:         0
        .size:           4
        .value_kind:     by_value
      - .offset:         4
        .size:           4
        .value_kind:     by_value
      - .offset:         8
        .size:           4
        .value_kind:     by_value
      - .actual_access:  read_only
        .address_space:  global
        .offset:         16
        .size:           8
        .value_kind:     global_buffer
      - .actual_access:  read_only
        .address_space:  global
        .offset:         24
        .size:           8
        .value_kind:     global_buffer
      - .address_space:  global
        .offset:         32
        .size:           8
        .value_kind:     global_buffer
      - .actual_access:  read_only
        .address_space:  global
        .offset:         40
        .size:           8
        .value_kind:     global_buffer
      - .address_space:  global
        .offset:         48
        .size:           8
        .value_kind:     global_buffer
      - .actual_access:  read_only
        .address_space:  global
        .offset:         56
        .size:           8
        .value_kind:     global_buffer
      - .address_space:  global
        .offset:         64
        .size:           8
        .value_kind:     global_buffer
      - .offset:         72
        .size:           4
        .value_kind:     by_value
    .group_segment_fixed_size: 504
    .kernarg_segment_align: 8
    .kernarg_segment_size: 76
    .language:       OpenCL C
    .language_version:
      - 2
      - 0
    .max_flat_workgroup_size: 4
    .name:           _ZN9rocsparseL26bsric0_2_8_unrolled_kernelILi4ELi32ELi2EfEEv20rocsparse_direction_iiPKiS3_PT2_S3_PiS3_S6_21rocsparse_index_base_
    .private_segment_fixed_size: 0
    .sgpr_count:     48
    .sgpr_spill_count: 0
    .symbol:         _ZN9rocsparseL26bsric0_2_8_unrolled_kernelILi4ELi32ELi2EfEEv20rocsparse_direction_iiPKiS3_PT2_S3_PiS3_S6_21rocsparse_index_base_.kd
    .uniform_work_group_size: 1
    .uses_dynamic_stack: false
    .vgpr_count:     66
    .vgpr_spill_count: 0
    .wavefront_size: 64
  - .agpr_count:     0
    .args:
      - .offset:         0
        .size:           4
        .value_kind:     by_value
      - .offset:         4
        .size:           4
        .value_kind:     by_value
      - .offset:         8
        .size:           4
        .value_kind:     by_value
      - .actual_access:  read_only
        .address_space:  global
        .offset:         16
        .size:           8
        .value_kind:     global_buffer
      - .actual_access:  read_only
        .address_space:  global
        .offset:         24
        .size:           8
        .value_kind:     global_buffer
      - .address_space:  global
        .offset:         32
        .size:           8
        .value_kind:     global_buffer
      - .actual_access:  read_only
        .address_space:  global
        .offset:         40
        .size:           8
        .value_kind:     global_buffer
      - .address_space:  global
        .offset:         48
        .size:           8
        .value_kind:     global_buffer
      - .actual_access:  read_only
        .address_space:  global
        .offset:         56
        .size:           8
        .value_kind:     global_buffer
      - .address_space:  global
        .offset:         64
        .size:           8
        .value_kind:     global_buffer
      - .offset:         72
        .size:           4
        .value_kind:     by_value
    .group_segment_fixed_size: 576
    .kernarg_segment_align: 8
    .kernarg_segment_size: 76
    .language:       OpenCL C
    .language_version:
      - 2
      - 0
    .max_flat_workgroup_size: 9
    .name:           _ZN9rocsparseL26bsric0_2_8_unrolled_kernelILi9ELi32ELi3EfEEv20rocsparse_direction_iiPKiS3_PT2_S3_PiS3_S6_21rocsparse_index_base_
    .private_segment_fixed_size: 0
    .sgpr_count:     46
    .sgpr_spill_count: 0
    .symbol:         _ZN9rocsparseL26bsric0_2_8_unrolled_kernelILi9ELi32ELi3EfEEv20rocsparse_direction_iiPKiS3_PT2_S3_PiS3_S6_21rocsparse_index_base_.kd
    .uniform_work_group_size: 1
    .uses_dynamic_stack: false
    .vgpr_count:     66
    .vgpr_spill_count: 0
    .wavefront_size: 64
  - .agpr_count:     0
    .args:
      - .offset:         0
        .size:           4
        .value_kind:     by_value
      - .offset:         4
        .size:           4
        .value_kind:     by_value
      - .offset:         8
        .size:           4
        .value_kind:     by_value
      - .actual_access:  read_only
        .address_space:  global
        .offset:         16
        .size:           8
        .value_kind:     global_buffer
      - .actual_access:  read_only
        .address_space:  global
        .offset:         24
        .size:           8
        .value_kind:     global_buffer
      - .address_space:  global
        .offset:         32
        .size:           8
        .value_kind:     global_buffer
      - .actual_access:  read_only
        .address_space:  global
        .offset:         40
        .size:           8
        .value_kind:     global_buffer
      - .address_space:  global
        .offset:         48
        .size:           8
        .value_kind:     global_buffer
      - .actual_access:  read_only
        .address_space:  global
        .offset:         56
        .size:           8
        .value_kind:     global_buffer
      - .address_space:  global
        .offset:         64
        .size:           8
        .value_kind:     global_buffer
      - .offset:         72
        .size:           4
        .value_kind:     by_value
    .group_segment_fixed_size: 704
    .kernarg_segment_align: 8
    .kernarg_segment_size: 76
    .language:       OpenCL C
    .language_version:
      - 2
      - 0
    .max_flat_workgroup_size: 16
    .name:           _ZN9rocsparseL26bsric0_2_8_unrolled_kernelILi16ELi32ELi4EfEEv20rocsparse_direction_iiPKiS3_PT2_S3_PiS3_S6_21rocsparse_index_base_
    .private_segment_fixed_size: 0
    .sgpr_count:     46
    .sgpr_spill_count: 0
    .symbol:         _ZN9rocsparseL26bsric0_2_8_unrolled_kernelILi16ELi32ELi4EfEEv20rocsparse_direction_iiPKiS3_PT2_S3_PiS3_S6_21rocsparse_index_base_.kd
    .uniform_work_group_size: 1
    .uses_dynamic_stack: false
    .vgpr_count:     66
    .vgpr_spill_count: 0
    .wavefront_size: 64
  - .agpr_count:     0
    .args:
      - .offset:         0
        .size:           4
        .value_kind:     by_value
      - .offset:         4
        .size:           4
        .value_kind:     by_value
      - .offset:         8
        .size:           4
        .value_kind:     by_value
      - .actual_access:  read_only
        .address_space:  global
        .offset:         16
        .size:           8
        .value_kind:     global_buffer
      - .actual_access:  read_only
        .address_space:  global
        .offset:         24
        .size:           8
        .value_kind:     global_buffer
      - .address_space:  global
        .offset:         32
        .size:           8
        .value_kind:     global_buffer
      - .actual_access:  read_only
        .address_space:  global
        .offset:         40
        .size:           8
        .value_kind:     global_buffer
      - .address_space:  global
        .offset:         48
        .size:           8
        .value_kind:     global_buffer
      - .actual_access:  read_only
        .address_space:  global
        .offset:         56
        .size:           8
        .value_kind:     global_buffer
      - .address_space:  global
        .offset:         64
        .size:           8
        .value_kind:     global_buffer
      - .offset:         72
        .size:           4
        .value_kind:     by_value
    .group_segment_fixed_size: 888
    .kernarg_segment_align: 8
    .kernarg_segment_size: 76
    .language:       OpenCL C
    .language_version:
      - 2
      - 0
    .max_flat_workgroup_size: 25
    .name:           _ZN9rocsparseL26bsric0_2_8_unrolled_kernelILi25ELi32ELi5EfEEv20rocsparse_direction_iiPKiS3_PT2_S3_PiS3_S6_21rocsparse_index_base_
    .private_segment_fixed_size: 0
    .sgpr_count:     46
    .sgpr_spill_count: 0
    .symbol:         _ZN9rocsparseL26bsric0_2_8_unrolled_kernelILi25ELi32ELi5EfEEv20rocsparse_direction_iiPKiS3_PT2_S3_PiS3_S6_21rocsparse_index_base_.kd
    .uniform_work_group_size: 1
    .uses_dynamic_stack: false
    .vgpr_count:     66
    .vgpr_spill_count: 0
    .wavefront_size: 64
  - .agpr_count:     0
    .args:
      - .offset:         0
        .size:           4
        .value_kind:     by_value
      - .offset:         4
        .size:           4
        .value_kind:     by_value
      - .offset:         8
        .size:           4
        .value_kind:     by_value
      - .actual_access:  read_only
        .address_space:  global
        .offset:         16
        .size:           8
        .value_kind:     global_buffer
      - .actual_access:  read_only
        .address_space:  global
        .offset:         24
        .size:           8
        .value_kind:     global_buffer
      - .address_space:  global
        .offset:         32
        .size:           8
        .value_kind:     global_buffer
      - .actual_access:  read_only
        .address_space:  global
        .offset:         40
        .size:           8
        .value_kind:     global_buffer
      - .address_space:  global
        .offset:         48
        .size:           8
        .value_kind:     global_buffer
      - .actual_access:  read_only
        .address_space:  global
        .offset:         56
        .size:           8
        .value_kind:     global_buffer
      - .address_space:  global
        .offset:         64
        .size:           8
        .value_kind:     global_buffer
      - .offset:         72
        .size:           4
        .value_kind:     by_value
    .group_segment_fixed_size: 1088
    .kernarg_segment_align: 8
    .kernarg_segment_size: 76
    .language:       OpenCL C
    .language_version:
      - 2
      - 0
    .max_flat_workgroup_size: 36
    .name:           _ZN9rocsparseL26bsric0_2_8_unrolled_kernelILi36ELi32ELi6EfEEv20rocsparse_direction_iiPKiS3_PT2_S3_PiS3_S6_21rocsparse_index_base_
    .private_segment_fixed_size: 0
    .sgpr_count:     46
    .sgpr_spill_count: 0
    .symbol:         _ZN9rocsparseL26bsric0_2_8_unrolled_kernelILi36ELi32ELi6EfEEv20rocsparse_direction_iiPKiS3_PT2_S3_PiS3_S6_21rocsparse_index_base_.kd
    .uniform_work_group_size: 1
    .uses_dynamic_stack: false
    .vgpr_count:     66
    .vgpr_spill_count: 0
    .wavefront_size: 64
  - .agpr_count:     0
    .args:
      - .offset:         0
        .size:           4
        .value_kind:     by_value
      - .offset:         4
        .size:           4
        .value_kind:     by_value
      - .offset:         8
        .size:           4
        .value_kind:     by_value
      - .actual_access:  read_only
        .address_space:  global
        .offset:         16
        .size:           8
        .value_kind:     global_buffer
      - .actual_access:  read_only
        .address_space:  global
        .offset:         24
        .size:           8
        .value_kind:     global_buffer
      - .address_space:  global
        .offset:         32
        .size:           8
        .value_kind:     global_buffer
      - .actual_access:  read_only
        .address_space:  global
        .offset:         40
        .size:           8
        .value_kind:     global_buffer
      - .address_space:  global
        .offset:         48
        .size:           8
        .value_kind:     global_buffer
      - .actual_access:  read_only
        .address_space:  global
        .offset:         56
        .size:           8
        .value_kind:     global_buffer
      - .address_space:  global
        .offset:         64
        .size:           8
        .value_kind:     global_buffer
      - .offset:         72
        .size:           4
        .value_kind:     by_value
    .group_segment_fixed_size: 1280
    .kernarg_segment_align: 8
    .kernarg_segment_size: 76
    .language:       OpenCL C
    .language_version:
      - 2
      - 0
    .max_flat_workgroup_size: 49
    .name:           _ZN9rocsparseL26bsric0_2_8_unrolled_kernelILi49ELi32ELi7EfEEv20rocsparse_direction_iiPKiS3_PT2_S3_PiS3_S6_21rocsparse_index_base_
    .private_segment_fixed_size: 0
    .sgpr_count:     46
    .sgpr_spill_count: 0
    .symbol:         _ZN9rocsparseL26bsric0_2_8_unrolled_kernelILi49ELi32ELi7EfEEv20rocsparse_direction_iiPKiS3_PT2_S3_PiS3_S6_21rocsparse_index_base_.kd
    .uniform_work_group_size: 1
    .uses_dynamic_stack: false
    .vgpr_count:     66
    .vgpr_spill_count: 0
    .wavefront_size: 64
  - .agpr_count:     0
    .args:
      - .offset:         0
        .size:           4
        .value_kind:     by_value
      - .offset:         4
        .size:           4
        .value_kind:     by_value
      - .offset:         8
        .size:           4
        .value_kind:     by_value
      - .actual_access:  read_only
        .address_space:  global
        .offset:         16
        .size:           8
        .value_kind:     global_buffer
      - .actual_access:  read_only
        .address_space:  global
        .offset:         24
        .size:           8
        .value_kind:     global_buffer
      - .address_space:  global
        .offset:         32
        .size:           8
        .value_kind:     global_buffer
      - .actual_access:  read_only
        .address_space:  global
        .offset:         40
        .size:           8
        .value_kind:     global_buffer
      - .address_space:  global
        .offset:         48
        .size:           8
        .value_kind:     global_buffer
      - .actual_access:  read_only
        .address_space:  global
        .offset:         56
        .size:           8
        .value_kind:     global_buffer
      - .address_space:  global
        .offset:         64
        .size:           8
        .value_kind:     global_buffer
      - .offset:         72
        .size:           4
        .value_kind:     by_value
    .group_segment_fixed_size: 1536
    .kernarg_segment_align: 8
    .kernarg_segment_size: 76
    .language:       OpenCL C
    .language_version:
      - 2
      - 0
    .max_flat_workgroup_size: 64
    .name:           _ZN9rocsparseL26bsric0_2_8_unrolled_kernelILi64ELi32ELi8EfEEv20rocsparse_direction_iiPKiS3_PT2_S3_PiS3_S6_21rocsparse_index_base_
    .private_segment_fixed_size: 0
    .sgpr_count:     46
    .sgpr_spill_count: 0
    .symbol:         _ZN9rocsparseL26bsric0_2_8_unrolled_kernelILi64ELi32ELi8EfEEv20rocsparse_direction_iiPKiS3_PT2_S3_PiS3_S6_21rocsparse_index_base_.kd
    .uniform_work_group_size: 1
    .uses_dynamic_stack: false
    .vgpr_count:     66
    .vgpr_spill_count: 0
    .wavefront_size: 64
  - .agpr_count:     0
    .args:
      - .offset:         0
        .size:           4
        .value_kind:     by_value
      - .offset:         4
        .size:           4
        .value_kind:     by_value
      - .offset:         8
        .size:           4
        .value_kind:     by_value
      - .actual_access:  read_only
        .address_space:  global
        .offset:         16
        .size:           8
        .value_kind:     global_buffer
      - .actual_access:  read_only
        .address_space:  global
        .offset:         24
        .size:           8
        .value_kind:     global_buffer
      - .address_space:  global
        .offset:         32
        .size:           8
        .value_kind:     global_buffer
      - .actual_access:  read_only
        .address_space:  global
        .offset:         40
        .size:           8
        .value_kind:     global_buffer
      - .address_space:  global
        .offset:         48
        .size:           8
        .value_kind:     global_buffer
      - .actual_access:  read_only
        .address_space:  global
        .offset:         56
        .size:           8
        .value_kind:     global_buffer
      - .address_space:  global
        .offset:         64
        .size:           8
        .value_kind:     global_buffer
      - .offset:         72
        .size:           4
        .value_kind:     by_value
    .group_segment_fixed_size: 4736
    .kernarg_segment_align: 8
    .kernarg_segment_size: 76
    .language:       OpenCL C
    .language_version:
      - 2
      - 0
    .max_flat_workgroup_size: 64
    .name:           _ZN9rocsparseL18bsric0_9_16_kernelILi64ELi32ELi16EfEEv20rocsparse_direction_iiPKiS3_PT2_S3_PiS3_S6_21rocsparse_index_base_
    .private_segment_fixed_size: 0
    .sgpr_count:     64
    .sgpr_spill_count: 0
    .symbol:         _ZN9rocsparseL18bsric0_9_16_kernelILi64ELi32ELi16EfEEv20rocsparse_direction_iiPKiS3_PT2_S3_PiS3_S6_21rocsparse_index_base_.kd
    .uniform_work_group_size: 1
    .uses_dynamic_stack: false
    .vgpr_count:     36
    .vgpr_spill_count: 0
    .wavefront_size: 64
  - .agpr_count:     0
    .args:
      - .offset:         0
        .size:           4
        .value_kind:     by_value
      - .offset:         4
        .size:           4
        .value_kind:     by_value
      - .offset:         8
        .size:           4
        .value_kind:     by_value
      - .actual_access:  read_only
        .address_space:  global
        .offset:         16
        .size:           8
        .value_kind:     global_buffer
      - .actual_access:  read_only
        .address_space:  global
        .offset:         24
        .size:           8
        .value_kind:     global_buffer
      - .address_space:  global
        .offset:         32
        .size:           8
        .value_kind:     global_buffer
      - .actual_access:  read_only
        .address_space:  global
        .offset:         40
        .size:           8
        .value_kind:     global_buffer
      - .address_space:  global
        .offset:         48
        .size:           8
        .value_kind:     global_buffer
      - .actual_access:  read_only
        .address_space:  global
        .offset:         56
        .size:           8
        .value_kind:     global_buffer
      - .address_space:  global
        .offset:         64
        .size:           8
        .value_kind:     global_buffer
      - .offset:         72
        .size:           4
        .value_kind:     by_value
    .group_segment_fixed_size: 13056
    .kernarg_segment_align: 8
    .kernarg_segment_size: 76
    .language:       OpenCL C
    .language_version:
      - 2
      - 0
    .max_flat_workgroup_size: 64
    .name:           _ZN9rocsparseL19bsric0_17_32_kernelILi64ELi32ELi32EfEEv20rocsparse_direction_iiPKiS3_PT2_S3_PiS3_S6_21rocsparse_index_base_
    .private_segment_fixed_size: 0
    .sgpr_count:     66
    .sgpr_spill_count: 0
    .symbol:         _ZN9rocsparseL19bsric0_17_32_kernelILi64ELi32ELi32EfEEv20rocsparse_direction_iiPKiS3_PT2_S3_PiS3_S6_21rocsparse_index_base_.kd
    .uniform_work_group_size: 1
    .uses_dynamic_stack: false
    .vgpr_count:     36
    .vgpr_spill_count: 0
    .wavefront_size: 64
  - .agpr_count:     0
    .args:
      - .offset:         0
        .size:           4
        .value_kind:     by_value
      - .offset:         4
        .size:           4
        .value_kind:     by_value
      - .offset:         8
        .size:           4
        .value_kind:     by_value
      - .actual_access:  read_only
        .address_space:  global
        .offset:         16
        .size:           8
        .value_kind:     global_buffer
      - .actual_access:  read_only
        .address_space:  global
        .offset:         24
        .size:           8
        .value_kind:     global_buffer
      - .address_space:  global
        .offset:         32
        .size:           8
        .value_kind:     global_buffer
      - .actual_access:  read_only
        .address_space:  global
        .offset:         40
        .size:           8
        .value_kind:     global_buffer
      - .address_space:  global
        .offset:         48
        .size:           8
        .value_kind:     global_buffer
      - .actual_access:  read_only
        .address_space:  global
        .offset:         56
        .size:           8
        .value_kind:     global_buffer
      - .address_space:  global
        .offset:         64
        .size:           8
        .value_kind:     global_buffer
      - .offset:         72
        .size:           4
        .value_kind:     by_value
    .group_segment_fixed_size: 0
    .kernarg_segment_align: 8
    .kernarg_segment_size: 76
    .language:       OpenCL C
    .language_version:
      - 2
      - 0
    .max_flat_workgroup_size: 64
    .name:           _ZN9rocsparseL23bsric0_binsearch_kernelILj64ELj64ELb0EfEEv20rocsparse_direction_iiPKiS3_PT2_S3_PiS3_S6_21rocsparse_index_base_
    .private_segment_fixed_size: 0
    .sgpr_count:     62
    .sgpr_spill_count: 0
    .symbol:         _ZN9rocsparseL23bsric0_binsearch_kernelILj64ELj64ELb0EfEEv20rocsparse_direction_iiPKiS3_PT2_S3_PiS3_S6_21rocsparse_index_base_.kd
    .uniform_work_group_size: 1
    .uses_dynamic_stack: false
    .vgpr_count:     45
    .vgpr_spill_count: 0
    .wavefront_size: 64
  - .agpr_count:     0
    .args:
      - .offset:         0
        .size:           4
        .value_kind:     by_value
      - .offset:         4
        .size:           4
        .value_kind:     by_value
      - .offset:         8
        .size:           4
        .value_kind:     by_value
      - .actual_access:  read_only
        .address_space:  global
        .offset:         16
        .size:           8
        .value_kind:     global_buffer
      - .actual_access:  read_only
        .address_space:  global
        .offset:         24
        .size:           8
        .value_kind:     global_buffer
      - .address_space:  global
        .offset:         32
        .size:           8
        .value_kind:     global_buffer
      - .actual_access:  read_only
        .address_space:  global
        .offset:         40
        .size:           8
        .value_kind:     global_buffer
      - .address_space:  global
        .offset:         48
        .size:           8
        .value_kind:     global_buffer
      - .actual_access:  read_only
        .address_space:  global
        .offset:         56
        .size:           8
        .value_kind:     global_buffer
      - .address_space:  global
        .offset:         64
        .size:           8
        .value_kind:     global_buffer
      - .offset:         72
        .size:           4
        .value_kind:     by_value
    .group_segment_fixed_size: 1920
    .kernarg_segment_align: 8
    .kernarg_segment_size: 76
    .language:       OpenCL C
    .language_version:
      - 2
      - 0
    .max_flat_workgroup_size: 64
    .name:           _ZN9rocsparseL17bsric0_2_8_kernelILi64ELi64ELi8EfEEv20rocsparse_direction_iiPKiS3_PT2_S3_PiS3_S6_21rocsparse_index_base_
    .private_segment_fixed_size: 0
    .sgpr_count:     56
    .sgpr_spill_count: 0
    .symbol:         _ZN9rocsparseL17bsric0_2_8_kernelILi64ELi64ELi8EfEEv20rocsparse_direction_iiPKiS3_PT2_S3_PiS3_S6_21rocsparse_index_base_.kd
    .uniform_work_group_size: 1
    .uses_dynamic_stack: false
    .vgpr_count:     64
    .vgpr_spill_count: 0
    .wavefront_size: 64
  - .agpr_count:     0
    .args:
      - .offset:         0
        .size:           4
        .value_kind:     by_value
      - .offset:         4
        .size:           4
        .value_kind:     by_value
      - .offset:         8
        .size:           4
        .value_kind:     by_value
      - .actual_access:  read_only
        .address_space:  global
        .offset:         16
        .size:           8
        .value_kind:     global_buffer
      - .actual_access:  read_only
        .address_space:  global
        .offset:         24
        .size:           8
        .value_kind:     global_buffer
      - .address_space:  global
        .offset:         32
        .size:           8
        .value_kind:     global_buffer
      - .actual_access:  read_only
        .address_space:  global
        .offset:         40
        .size:           8
        .value_kind:     global_buffer
      - .address_space:  global
        .offset:         48
        .size:           8
        .value_kind:     global_buffer
      - .actual_access:  read_only
        .address_space:  global
        .offset:         56
        .size:           8
        .value_kind:     global_buffer
      - .address_space:  global
        .offset:         64
        .size:           8
        .value_kind:     global_buffer
      - .offset:         72
        .size:           4
        .value_kind:     by_value
    .group_segment_fixed_size: 5120
    .kernarg_segment_align: 8
    .kernarg_segment_size: 76
    .language:       OpenCL C
    .language_version:
      - 2
      - 0
    .max_flat_workgroup_size: 64
    .name:           _ZN9rocsparseL18bsric0_9_16_kernelILi64ELi64ELi16EfEEv20rocsparse_direction_iiPKiS3_PT2_S3_PiS3_S6_21rocsparse_index_base_
    .private_segment_fixed_size: 0
    .sgpr_count:     64
    .sgpr_spill_count: 0
    .symbol:         _ZN9rocsparseL18bsric0_9_16_kernelILi64ELi64ELi16EfEEv20rocsparse_direction_iiPKiS3_PT2_S3_PiS3_S6_21rocsparse_index_base_.kd
    .uniform_work_group_size: 1
    .uses_dynamic_stack: false
    .vgpr_count:     36
    .vgpr_spill_count: 0
    .wavefront_size: 64
  - .agpr_count:     0
    .args:
      - .offset:         0
        .size:           4
        .value_kind:     by_value
      - .offset:         4
        .size:           4
        .value_kind:     by_value
      - .offset:         8
        .size:           4
        .value_kind:     by_value
      - .actual_access:  read_only
        .address_space:  global
        .offset:         16
        .size:           8
        .value_kind:     global_buffer
      - .actual_access:  read_only
        .address_space:  global
        .offset:         24
        .size:           8
        .value_kind:     global_buffer
      - .address_space:  global
        .offset:         32
        .size:           8
        .value_kind:     global_buffer
      - .actual_access:  read_only
        .address_space:  global
        .offset:         40
        .size:           8
        .value_kind:     global_buffer
      - .address_space:  global
        .offset:         48
        .size:           8
        .value_kind:     global_buffer
      - .actual_access:  read_only
        .address_space:  global
        .offset:         56
        .size:           8
        .value_kind:     global_buffer
      - .address_space:  global
        .offset:         64
        .size:           8
        .value_kind:     global_buffer
      - .offset:         72
        .size:           4
        .value_kind:     by_value
    .group_segment_fixed_size: 13440
    .kernarg_segment_align: 8
    .kernarg_segment_size: 76
    .language:       OpenCL C
    .language_version:
      - 2
      - 0
    .max_flat_workgroup_size: 64
    .name:           _ZN9rocsparseL19bsric0_17_32_kernelILi64ELi64ELi32EfEEv20rocsparse_direction_iiPKiS3_PT2_S3_PiS3_S6_21rocsparse_index_base_
    .private_segment_fixed_size: 0
    .sgpr_count:     66
    .sgpr_spill_count: 0
    .symbol:         _ZN9rocsparseL19bsric0_17_32_kernelILi64ELi64ELi32EfEEv20rocsparse_direction_iiPKiS3_PT2_S3_PiS3_S6_21rocsparse_index_base_.kd
    .uniform_work_group_size: 1
    .uses_dynamic_stack: false
    .vgpr_count:     36
    .vgpr_spill_count: 0
    .wavefront_size: 64
  - .agpr_count:     0
    .args:
      - .offset:         0
        .size:           4
        .value_kind:     by_value
      - .offset:         4
        .size:           4
        .value_kind:     by_value
      - .offset:         8
        .size:           4
        .value_kind:     by_value
      - .actual_access:  read_only
        .address_space:  global
        .offset:         16
        .size:           8
        .value_kind:     global_buffer
      - .actual_access:  read_only
        .address_space:  global
        .offset:         24
        .size:           8
        .value_kind:     global_buffer
      - .address_space:  global
        .offset:         32
        .size:           8
        .value_kind:     global_buffer
      - .actual_access:  read_only
        .address_space:  global
        .offset:         40
        .size:           8
        .value_kind:     global_buffer
      - .address_space:  global
        .offset:         48
        .size:           8
        .value_kind:     global_buffer
      - .actual_access:  read_only
        .address_space:  global
        .offset:         56
        .size:           8
        .value_kind:     global_buffer
      - .address_space:  global
        .offset:         64
        .size:           8
        .value_kind:     global_buffer
      - .offset:         72
        .size:           4
        .value_kind:     by_value
    .group_segment_fixed_size: 2688
    .kernarg_segment_align: 8
    .kernarg_segment_size: 76
    .language:       OpenCL C
    .language_version:
      - 2
      - 0
    .max_flat_workgroup_size: 64
    .name:           _ZN9rocsparseL17bsric0_2_8_kernelILi64ELi128ELi8EfEEv20rocsparse_direction_iiPKiS3_PT2_S3_PiS3_S6_21rocsparse_index_base_
    .private_segment_fixed_size: 0
    .sgpr_count:     56
    .sgpr_spill_count: 0
    .symbol:         _ZN9rocsparseL17bsric0_2_8_kernelILi64ELi128ELi8EfEEv20rocsparse_direction_iiPKiS3_PT2_S3_PiS3_S6_21rocsparse_index_base_.kd
    .uniform_work_group_size: 1
    .uses_dynamic_stack: false
    .vgpr_count:     64
    .vgpr_spill_count: 0
    .wavefront_size: 64
  - .agpr_count:     0
    .args:
      - .offset:         0
        .size:           4
        .value_kind:     by_value
      - .offset:         4
        .size:           4
        .value_kind:     by_value
      - .offset:         8
        .size:           4
        .value_kind:     by_value
      - .actual_access:  read_only
        .address_space:  global
        .offset:         16
        .size:           8
        .value_kind:     global_buffer
      - .actual_access:  read_only
        .address_space:  global
        .offset:         24
        .size:           8
        .value_kind:     global_buffer
      - .address_space:  global
        .offset:         32
        .size:           8
        .value_kind:     global_buffer
      - .actual_access:  read_only
        .address_space:  global
        .offset:         40
        .size:           8
        .value_kind:     global_buffer
      - .address_space:  global
        .offset:         48
        .size:           8
        .value_kind:     global_buffer
      - .actual_access:  read_only
        .address_space:  global
        .offset:         56
        .size:           8
        .value_kind:     global_buffer
      - .address_space:  global
        .offset:         64
        .size:           8
        .value_kind:     global_buffer
      - .offset:         72
        .size:           4
        .value_kind:     by_value
    .group_segment_fixed_size: 5888
    .kernarg_segment_align: 8
    .kernarg_segment_size: 76
    .language:       OpenCL C
    .language_version:
      - 2
      - 0
    .max_flat_workgroup_size: 64
    .name:           _ZN9rocsparseL18bsric0_9_16_kernelILi64ELi128ELi16EfEEv20rocsparse_direction_iiPKiS3_PT2_S3_PiS3_S6_21rocsparse_index_base_
    .private_segment_fixed_size: 0
    .sgpr_count:     64
    .sgpr_spill_count: 0
    .symbol:         _ZN9rocsparseL18bsric0_9_16_kernelILi64ELi128ELi16EfEEv20rocsparse_direction_iiPKiS3_PT2_S3_PiS3_S6_21rocsparse_index_base_.kd
    .uniform_work_group_size: 1
    .uses_dynamic_stack: false
    .vgpr_count:     36
    .vgpr_spill_count: 0
    .wavefront_size: 64
  - .agpr_count:     0
    .args:
      - .offset:         0
        .size:           4
        .value_kind:     by_value
      - .offset:         4
        .size:           4
        .value_kind:     by_value
      - .offset:         8
        .size:           4
        .value_kind:     by_value
      - .actual_access:  read_only
        .address_space:  global
        .offset:         16
        .size:           8
        .value_kind:     global_buffer
      - .actual_access:  read_only
        .address_space:  global
        .offset:         24
        .size:           8
        .value_kind:     global_buffer
      - .address_space:  global
        .offset:         32
        .size:           8
        .value_kind:     global_buffer
      - .actual_access:  read_only
        .address_space:  global
        .offset:         40
        .size:           8
        .value_kind:     global_buffer
      - .address_space:  global
        .offset:         48
        .size:           8
        .value_kind:     global_buffer
      - .actual_access:  read_only
        .address_space:  global
        .offset:         56
        .size:           8
        .value_kind:     global_buffer
      - .address_space:  global
        .offset:         64
        .size:           8
        .value_kind:     global_buffer
      - .offset:         72
        .size:           4
        .value_kind:     by_value
    .group_segment_fixed_size: 14208
    .kernarg_segment_align: 8
    .kernarg_segment_size: 76
    .language:       OpenCL C
    .language_version:
      - 2
      - 0
    .max_flat_workgroup_size: 64
    .name:           _ZN9rocsparseL19bsric0_17_32_kernelILi64ELi128ELi32EfEEv20rocsparse_direction_iiPKiS3_PT2_S3_PiS3_S6_21rocsparse_index_base_
    .private_segment_fixed_size: 0
    .sgpr_count:     66
    .sgpr_spill_count: 0
    .symbol:         _ZN9rocsparseL19bsric0_17_32_kernelILi64ELi128ELi32EfEEv20rocsparse_direction_iiPKiS3_PT2_S3_PiS3_S6_21rocsparse_index_base_.kd
    .uniform_work_group_size: 1
    .uses_dynamic_stack: false
    .vgpr_count:     36
    .vgpr_spill_count: 0
    .wavefront_size: 64
  - .agpr_count:     0
    .args:
      - .offset:         0
        .size:           4
        .value_kind:     by_value
      - .offset:         4
        .size:           4
        .value_kind:     by_value
      - .offset:         8
        .size:           4
        .value_kind:     by_value
      - .actual_access:  read_only
        .address_space:  global
        .offset:         16
        .size:           8
        .value_kind:     global_buffer
      - .actual_access:  read_only
        .address_space:  global
        .offset:         24
        .size:           8
        .value_kind:     global_buffer
      - .address_space:  global
        .offset:         32
        .size:           8
        .value_kind:     global_buffer
      - .actual_access:  read_only
        .address_space:  global
        .offset:         40
        .size:           8
        .value_kind:     global_buffer
      - .address_space:  global
        .offset:         48
        .size:           8
        .value_kind:     global_buffer
      - .actual_access:  read_only
        .address_space:  global
        .offset:         56
        .size:           8
        .value_kind:     global_buffer
      - .address_space:  global
        .offset:         64
        .size:           8
        .value_kind:     global_buffer
      - .offset:         72
        .size:           4
        .value_kind:     by_value
    .group_segment_fixed_size: 0
    .kernarg_segment_align: 8
    .kernarg_segment_size: 76
    .language:       OpenCL C
    .language_version:
      - 2
      - 0
    .max_flat_workgroup_size: 32
    .name:           _ZN9rocsparseL23bsric0_binsearch_kernelILj32ELj32ELb0EdEEv20rocsparse_direction_iiPKiS3_PT2_S3_PiS3_S6_21rocsparse_index_base_
    .private_segment_fixed_size: 0
    .sgpr_count:     63
    .sgpr_spill_count: 0
    .symbol:         _ZN9rocsparseL23bsric0_binsearch_kernelILj32ELj32ELb0EdEEv20rocsparse_direction_iiPKiS3_PT2_S3_PiS3_S6_21rocsparse_index_base_.kd
    .uniform_work_group_size: 1
    .uses_dynamic_stack: false
    .vgpr_count:     52
    .vgpr_spill_count: 0
    .wavefront_size: 64
  - .agpr_count:     0
    .args:
      - .offset:         0
        .size:           4
        .value_kind:     by_value
      - .offset:         4
        .size:           4
        .value_kind:     by_value
      - .offset:         8
        .size:           4
        .value_kind:     by_value
      - .actual_access:  read_only
        .address_space:  global
        .offset:         16
        .size:           8
        .value_kind:     global_buffer
      - .actual_access:  read_only
        .address_space:  global
        .offset:         24
        .size:           8
        .value_kind:     global_buffer
      - .address_space:  global
        .offset:         32
        .size:           8
        .value_kind:     global_buffer
      - .actual_access:  read_only
        .address_space:  global
        .offset:         40
        .size:           8
        .value_kind:     global_buffer
      - .address_space:  global
        .offset:         48
        .size:           8
        .value_kind:     global_buffer
      - .actual_access:  read_only
        .address_space:  global
        .offset:         56
        .size:           8
        .value_kind:     global_buffer
      - .address_space:  global
        .offset:         64
        .size:           8
        .value_kind:     global_buffer
      - .offset:         72
        .size:           4
        .value_kind:     by_value
    .group_segment_fixed_size: 0
    .kernarg_segment_align: 8
    .kernarg_segment_size: 76
    .language:       OpenCL C
    .language_version:
      - 2
      - 0
    .max_flat_workgroup_size: 64
    .name:           _ZN9rocsparseL23bsric0_binsearch_kernelILj64ELj64ELb1EdEEv20rocsparse_direction_iiPKiS3_PT2_S3_PiS3_S6_21rocsparse_index_base_
    .private_segment_fixed_size: 0
    .sgpr_count:     63
    .sgpr_spill_count: 0
    .symbol:         _ZN9rocsparseL23bsric0_binsearch_kernelILj64ELj64ELb1EdEEv20rocsparse_direction_iiPKiS3_PT2_S3_PiS3_S6_21rocsparse_index_base_.kd
    .uniform_work_group_size: 1
    .uses_dynamic_stack: false
    .vgpr_count:     52
    .vgpr_spill_count: 0
    .wavefront_size: 64
  - .agpr_count:     0
    .args:
      - .offset:         0
        .size:           4
        .value_kind:     by_value
      - .offset:         4
        .size:           4
        .value_kind:     by_value
      - .offset:         8
        .size:           4
        .value_kind:     by_value
      - .actual_access:  read_only
        .address_space:  global
        .offset:         16
        .size:           8
        .value_kind:     global_buffer
      - .actual_access:  read_only
        .address_space:  global
        .offset:         24
        .size:           8
        .value_kind:     global_buffer
      - .address_space:  global
        .offset:         32
        .size:           8
        .value_kind:     global_buffer
      - .actual_access:  read_only
        .address_space:  global
        .offset:         40
        .size:           8
        .value_kind:     global_buffer
      - .address_space:  global
        .offset:         48
        .size:           8
        .value_kind:     global_buffer
      - .actual_access:  read_only
        .address_space:  global
        .offset:         56
        .size:           8
        .value_kind:     global_buffer
      - .address_space:  global
        .offset:         64
        .size:           8
        .value_kind:     global_buffer
      - .offset:         72
        .size:           4
        .value_kind:     by_value
    .group_segment_fixed_size: 448
    .kernarg_segment_align: 8
    .kernarg_segment_size: 76
    .language:       OpenCL C
    .language_version:
      - 2
      - 0
    .max_flat_workgroup_size: 1
    .name:           _ZN9rocsparseL26bsric0_2_8_unrolled_kernelILi1ELi32ELi1EdEEv20rocsparse_direction_iiPKiS3_PT2_S3_PiS3_S6_21rocsparse_index_base_
    .private_segment_fixed_size: 0
    .sgpr_count:     44
    .sgpr_spill_count: 0
    .symbol:         _ZN9rocsparseL26bsric0_2_8_unrolled_kernelILi1ELi32ELi1EdEEv20rocsparse_direction_iiPKiS3_PT2_S3_PiS3_S6_21rocsparse_index_base_.kd
    .uniform_work_group_size: 1
    .uses_dynamic_stack: false
    .vgpr_count:     70
    .vgpr_spill_count: 0
    .wavefront_size: 64
  - .agpr_count:     0
    .args:
      - .offset:         0
        .size:           4
        .value_kind:     by_value
      - .offset:         4
        .size:           4
        .value_kind:     by_value
      - .offset:         8
        .size:           4
        .value_kind:     by_value
      - .actual_access:  read_only
        .address_space:  global
        .offset:         16
        .size:           8
        .value_kind:     global_buffer
      - .actual_access:  read_only
        .address_space:  global
        .offset:         24
        .size:           8
        .value_kind:     global_buffer
      - .address_space:  global
        .offset:         32
        .size:           8
        .value_kind:     global_buffer
      - .actual_access:  read_only
        .address_space:  global
        .offset:         40
        .size:           8
        .value_kind:     global_buffer
      - .address_space:  global
        .offset:         48
        .size:           8
        .value_kind:     global_buffer
      - .actual_access:  read_only
        .address_space:  global
        .offset:         56
        .size:           8
        .value_kind:     global_buffer
      - .address_space:  global
        .offset:         64
        .size:           8
        .value_kind:     global_buffer
      - .offset:         72
        .size:           4
        .value_kind:     by_value
    .group_segment_fixed_size: 576
    .kernarg_segment_align: 8
    .kernarg_segment_size: 76
    .language:       OpenCL C
    .language_version:
      - 2
      - 0
    .max_flat_workgroup_size: 4
    .name:           _ZN9rocsparseL26bsric0_2_8_unrolled_kernelILi4ELi32ELi2EdEEv20rocsparse_direction_iiPKiS3_PT2_S3_PiS3_S6_21rocsparse_index_base_
    .private_segment_fixed_size: 0
    .sgpr_count:     48
    .sgpr_spill_count: 0
    .symbol:         _ZN9rocsparseL26bsric0_2_8_unrolled_kernelILi4ELi32ELi2EdEEv20rocsparse_direction_iiPKiS3_PT2_S3_PiS3_S6_21rocsparse_index_base_.kd
    .uniform_work_group_size: 1
    .uses_dynamic_stack: false
    .vgpr_count:     66
    .vgpr_spill_count: 0
    .wavefront_size: 64
  - .agpr_count:     0
    .args:
      - .offset:         0
        .size:           4
        .value_kind:     by_value
      - .offset:         4
        .size:           4
        .value_kind:     by_value
      - .offset:         8
        .size:           4
        .value_kind:     by_value
      - .actual_access:  read_only
        .address_space:  global
        .offset:         16
        .size:           8
        .value_kind:     global_buffer
      - .actual_access:  read_only
        .address_space:  global
        .offset:         24
        .size:           8
        .value_kind:     global_buffer
      - .address_space:  global
        .offset:         32
        .size:           8
        .value_kind:     global_buffer
      - .actual_access:  read_only
        .address_space:  global
        .offset:         40
        .size:           8
        .value_kind:     global_buffer
      - .address_space:  global
        .offset:         48
        .size:           8
        .value_kind:     global_buffer
      - .actual_access:  read_only
        .address_space:  global
        .offset:         56
        .size:           8
        .value_kind:     global_buffer
      - .address_space:  global
        .offset:         64
        .size:           8
        .value_kind:     global_buffer
      - .offset:         72
        .size:           4
        .value_kind:     by_value
    .group_segment_fixed_size: 768
    .kernarg_segment_align: 8
    .kernarg_segment_size: 76
    .language:       OpenCL C
    .language_version:
      - 2
      - 0
    .max_flat_workgroup_size: 9
    .name:           _ZN9rocsparseL26bsric0_2_8_unrolled_kernelILi9ELi32ELi3EdEEv20rocsparse_direction_iiPKiS3_PT2_S3_PiS3_S6_21rocsparse_index_base_
    .private_segment_fixed_size: 0
    .sgpr_count:     46
    .sgpr_spill_count: 0
    .symbol:         _ZN9rocsparseL26bsric0_2_8_unrolled_kernelILi9ELi32ELi3EdEEv20rocsparse_direction_iiPKiS3_PT2_S3_PiS3_S6_21rocsparse_index_base_.kd
    .uniform_work_group_size: 1
    .uses_dynamic_stack: false
    .vgpr_count:     66
    .vgpr_spill_count: 0
    .wavefront_size: 64
  - .agpr_count:     0
    .args:
      - .offset:         0
        .size:           4
        .value_kind:     by_value
      - .offset:         4
        .size:           4
        .value_kind:     by_value
      - .offset:         8
        .size:           4
        .value_kind:     by_value
      - .actual_access:  read_only
        .address_space:  global
        .offset:         16
        .size:           8
        .value_kind:     global_buffer
      - .actual_access:  read_only
        .address_space:  global
        .offset:         24
        .size:           8
        .value_kind:     global_buffer
      - .address_space:  global
        .offset:         32
        .size:           8
        .value_kind:     global_buffer
      - .actual_access:  read_only
        .address_space:  global
        .offset:         40
        .size:           8
        .value_kind:     global_buffer
      - .address_space:  global
        .offset:         48
        .size:           8
        .value_kind:     global_buffer
      - .actual_access:  read_only
        .address_space:  global
        .offset:         56
        .size:           8
        .value_kind:     global_buffer
      - .address_space:  global
        .offset:         64
        .size:           8
        .value_kind:     global_buffer
      - .offset:         72
        .size:           4
        .value_kind:     by_value
    .group_segment_fixed_size: 1024
    .kernarg_segment_align: 8
    .kernarg_segment_size: 76
    .language:       OpenCL C
    .language_version:
      - 2
      - 0
    .max_flat_workgroup_size: 16
    .name:           _ZN9rocsparseL26bsric0_2_8_unrolled_kernelILi16ELi32ELi4EdEEv20rocsparse_direction_iiPKiS3_PT2_S3_PiS3_S6_21rocsparse_index_base_
    .private_segment_fixed_size: 0
    .sgpr_count:     46
    .sgpr_spill_count: 0
    .symbol:         _ZN9rocsparseL26bsric0_2_8_unrolled_kernelILi16ELi32ELi4EdEEv20rocsparse_direction_iiPKiS3_PT2_S3_PiS3_S6_21rocsparse_index_base_.kd
    .uniform_work_group_size: 1
    .uses_dynamic_stack: false
    .vgpr_count:     68
    .vgpr_spill_count: 0
    .wavefront_size: 64
  - .agpr_count:     0
    .args:
      - .offset:         0
        .size:           4
        .value_kind:     by_value
      - .offset:         4
        .size:           4
        .value_kind:     by_value
      - .offset:         8
        .size:           4
        .value_kind:     by_value
      - .actual_access:  read_only
        .address_space:  global
        .offset:         16
        .size:           8
        .value_kind:     global_buffer
      - .actual_access:  read_only
        .address_space:  global
        .offset:         24
        .size:           8
        .value_kind:     global_buffer
      - .address_space:  global
        .offset:         32
        .size:           8
        .value_kind:     global_buffer
      - .actual_access:  read_only
        .address_space:  global
        .offset:         40
        .size:           8
        .value_kind:     global_buffer
      - .address_space:  global
        .offset:         48
        .size:           8
        .value_kind:     global_buffer
      - .actual_access:  read_only
        .address_space:  global
        .offset:         56
        .size:           8
        .value_kind:     global_buffer
      - .address_space:  global
        .offset:         64
        .size:           8
        .value_kind:     global_buffer
      - .offset:         72
        .size:           4
        .value_kind:     by_value
    .group_segment_fixed_size: 1344
    .kernarg_segment_align: 8
    .kernarg_segment_size: 76
    .language:       OpenCL C
    .language_version:
      - 2
      - 0
    .max_flat_workgroup_size: 25
    .name:           _ZN9rocsparseL26bsric0_2_8_unrolled_kernelILi25ELi32ELi5EdEEv20rocsparse_direction_iiPKiS3_PT2_S3_PiS3_S6_21rocsparse_index_base_
    .private_segment_fixed_size: 0
    .sgpr_count:     46
    .sgpr_spill_count: 0
    .symbol:         _ZN9rocsparseL26bsric0_2_8_unrolled_kernelILi25ELi32ELi5EdEEv20rocsparse_direction_iiPKiS3_PT2_S3_PiS3_S6_21rocsparse_index_base_.kd
    .uniform_work_group_size: 1
    .uses_dynamic_stack: false
    .vgpr_count:     68
    .vgpr_spill_count: 0
    .wavefront_size: 64
  - .agpr_count:     0
    .args:
      - .offset:         0
        .size:           4
        .value_kind:     by_value
      - .offset:         4
        .size:           4
        .value_kind:     by_value
      - .offset:         8
        .size:           4
        .value_kind:     by_value
      - .actual_access:  read_only
        .address_space:  global
        .offset:         16
        .size:           8
        .value_kind:     global_buffer
      - .actual_access:  read_only
        .address_space:  global
        .offset:         24
        .size:           8
        .value_kind:     global_buffer
      - .address_space:  global
        .offset:         32
        .size:           8
        .value_kind:     global_buffer
      - .actual_access:  read_only
        .address_space:  global
        .offset:         40
        .size:           8
        .value_kind:     global_buffer
      - .address_space:  global
        .offset:         48
        .size:           8
        .value_kind:     global_buffer
      - .actual_access:  read_only
        .address_space:  global
        .offset:         56
        .size:           8
        .value_kind:     global_buffer
      - .address_space:  global
        .offset:         64
        .size:           8
        .value_kind:     global_buffer
      - .offset:         72
        .size:           4
        .value_kind:     by_value
    .group_segment_fixed_size: 1728
    .kernarg_segment_align: 8
    .kernarg_segment_size: 76
    .language:       OpenCL C
    .language_version:
      - 2
      - 0
    .max_flat_workgroup_size: 36
    .name:           _ZN9rocsparseL26bsric0_2_8_unrolled_kernelILi36ELi32ELi6EdEEv20rocsparse_direction_iiPKiS3_PT2_S3_PiS3_S6_21rocsparse_index_base_
    .private_segment_fixed_size: 0
    .sgpr_count:     46
    .sgpr_spill_count: 0
    .symbol:         _ZN9rocsparseL26bsric0_2_8_unrolled_kernelILi36ELi32ELi6EdEEv20rocsparse_direction_iiPKiS3_PT2_S3_PiS3_S6_21rocsparse_index_base_.kd
    .uniform_work_group_size: 1
    .uses_dynamic_stack: false
    .vgpr_count:     68
    .vgpr_spill_count: 0
    .wavefront_size: 64
  - .agpr_count:     0
    .args:
      - .offset:         0
        .size:           4
        .value_kind:     by_value
      - .offset:         4
        .size:           4
        .value_kind:     by_value
      - .offset:         8
        .size:           4
        .value_kind:     by_value
      - .actual_access:  read_only
        .address_space:  global
        .offset:         16
        .size:           8
        .value_kind:     global_buffer
      - .actual_access:  read_only
        .address_space:  global
        .offset:         24
        .size:           8
        .value_kind:     global_buffer
      - .address_space:  global
        .offset:         32
        .size:           8
        .value_kind:     global_buffer
      - .actual_access:  read_only
        .address_space:  global
        .offset:         40
        .size:           8
        .value_kind:     global_buffer
      - .address_space:  global
        .offset:         48
        .size:           8
        .value_kind:     global_buffer
      - .actual_access:  read_only
        .address_space:  global
        .offset:         56
        .size:           8
        .value_kind:     global_buffer
      - .address_space:  global
        .offset:         64
        .size:           8
        .value_kind:     global_buffer
      - .offset:         72
        .size:           4
        .value_kind:     by_value
    .group_segment_fixed_size: 2176
    .kernarg_segment_align: 8
    .kernarg_segment_size: 76
    .language:       OpenCL C
    .language_version:
      - 2
      - 0
    .max_flat_workgroup_size: 49
    .name:           _ZN9rocsparseL26bsric0_2_8_unrolled_kernelILi49ELi32ELi7EdEEv20rocsparse_direction_iiPKiS3_PT2_S3_PiS3_S6_21rocsparse_index_base_
    .private_segment_fixed_size: 0
    .sgpr_count:     46
    .sgpr_spill_count: 0
    .symbol:         _ZN9rocsparseL26bsric0_2_8_unrolled_kernelILi49ELi32ELi7EdEEv20rocsparse_direction_iiPKiS3_PT2_S3_PiS3_S6_21rocsparse_index_base_.kd
    .uniform_work_group_size: 1
    .uses_dynamic_stack: false
    .vgpr_count:     68
    .vgpr_spill_count: 0
    .wavefront_size: 64
  - .agpr_count:     0
    .args:
      - .offset:         0
        .size:           4
        .value_kind:     by_value
      - .offset:         4
        .size:           4
        .value_kind:     by_value
      - .offset:         8
        .size:           4
        .value_kind:     by_value
      - .actual_access:  read_only
        .address_space:  global
        .offset:         16
        .size:           8
        .value_kind:     global_buffer
      - .actual_access:  read_only
        .address_space:  global
        .offset:         24
        .size:           8
        .value_kind:     global_buffer
      - .address_space:  global
        .offset:         32
        .size:           8
        .value_kind:     global_buffer
      - .actual_access:  read_only
        .address_space:  global
        .offset:         40
        .size:           8
        .value_kind:     global_buffer
      - .address_space:  global
        .offset:         48
        .size:           8
        .value_kind:     global_buffer
      - .actual_access:  read_only
        .address_space:  global
        .offset:         56
        .size:           8
        .value_kind:     global_buffer
      - .address_space:  global
        .offset:         64
        .size:           8
        .value_kind:     global_buffer
      - .offset:         72
        .size:           4
        .value_kind:     by_value
    .group_segment_fixed_size: 2688
    .kernarg_segment_align: 8
    .kernarg_segment_size: 76
    .language:       OpenCL C
    .language_version:
      - 2
      - 0
    .max_flat_workgroup_size: 64
    .name:           _ZN9rocsparseL26bsric0_2_8_unrolled_kernelILi64ELi32ELi8EdEEv20rocsparse_direction_iiPKiS3_PT2_S3_PiS3_S6_21rocsparse_index_base_
    .private_segment_fixed_size: 0
    .sgpr_count:     46
    .sgpr_spill_count: 0
    .symbol:         _ZN9rocsparseL26bsric0_2_8_unrolled_kernelILi64ELi32ELi8EdEEv20rocsparse_direction_iiPKiS3_PT2_S3_PiS3_S6_21rocsparse_index_base_.kd
    .uniform_work_group_size: 1
    .uses_dynamic_stack: false
    .vgpr_count:     68
    .vgpr_spill_count: 0
    .wavefront_size: 64
  - .agpr_count:     0
    .args:
      - .offset:         0
        .size:           4
        .value_kind:     by_value
      - .offset:         4
        .size:           4
        .value_kind:     by_value
      - .offset:         8
        .size:           4
        .value_kind:     by_value
      - .actual_access:  read_only
        .address_space:  global
        .offset:         16
        .size:           8
        .value_kind:     global_buffer
      - .actual_access:  read_only
        .address_space:  global
        .offset:         24
        .size:           8
        .value_kind:     global_buffer
      - .address_space:  global
        .offset:         32
        .size:           8
        .value_kind:     global_buffer
      - .actual_access:  read_only
        .address_space:  global
        .offset:         40
        .size:           8
        .value_kind:     global_buffer
      - .address_space:  global
        .offset:         48
        .size:           8
        .value_kind:     global_buffer
      - .actual_access:  read_only
        .address_space:  global
        .offset:         56
        .size:           8
        .value_kind:     global_buffer
      - .address_space:  global
        .offset:         64
        .size:           8
        .value_kind:     global_buffer
      - .offset:         72
        .size:           4
        .value_kind:     by_value
    .group_segment_fixed_size: 9088
    .kernarg_segment_align: 8
    .kernarg_segment_size: 76
    .language:       OpenCL C
    .language_version:
      - 2
      - 0
    .max_flat_workgroup_size: 64
    .name:           _ZN9rocsparseL18bsric0_9_16_kernelILi64ELi32ELi16EdEEv20rocsparse_direction_iiPKiS3_PT2_S3_PiS3_S6_21rocsparse_index_base_
    .private_segment_fixed_size: 0
    .sgpr_count:     60
    .sgpr_spill_count: 0
    .symbol:         _ZN9rocsparseL18bsric0_9_16_kernelILi64ELi32ELi16EdEEv20rocsparse_direction_iiPKiS3_PT2_S3_PiS3_S6_21rocsparse_index_base_.kd
    .uniform_work_group_size: 1
    .uses_dynamic_stack: false
    .vgpr_count:     32
    .vgpr_spill_count: 0
    .wavefront_size: 64
  - .agpr_count:     0
    .args:
      - .offset:         0
        .size:           4
        .value_kind:     by_value
      - .offset:         4
        .size:           4
        .value_kind:     by_value
      - .offset:         8
        .size:           4
        .value_kind:     by_value
      - .actual_access:  read_only
        .address_space:  global
        .offset:         16
        .size:           8
        .value_kind:     global_buffer
      - .actual_access:  read_only
        .address_space:  global
        .offset:         24
        .size:           8
        .value_kind:     global_buffer
      - .address_space:  global
        .offset:         32
        .size:           8
        .value_kind:     global_buffer
      - .actual_access:  read_only
        .address_space:  global
        .offset:         40
        .size:           8
        .value_kind:     global_buffer
      - .address_space:  global
        .offset:         48
        .size:           8
        .value_kind:     global_buffer
      - .actual_access:  read_only
        .address_space:  global
        .offset:         56
        .size:           8
        .value_kind:     global_buffer
      - .address_space:  global
        .offset:         64
        .size:           8
        .value_kind:     global_buffer
      - .offset:         72
        .size:           4
        .value_kind:     by_value
    .group_segment_fixed_size: 25728
    .kernarg_segment_align: 8
    .kernarg_segment_size: 76
    .language:       OpenCL C
    .language_version:
      - 2
      - 0
    .max_flat_workgroup_size: 64
    .name:           _ZN9rocsparseL19bsric0_17_32_kernelILi64ELi32ELi32EdEEv20rocsparse_direction_iiPKiS3_PT2_S3_PiS3_S6_21rocsparse_index_base_
    .private_segment_fixed_size: 0
    .sgpr_count:     62
    .sgpr_spill_count: 0
    .symbol:         _ZN9rocsparseL19bsric0_17_32_kernelILi64ELi32ELi32EdEEv20rocsparse_direction_iiPKiS3_PT2_S3_PiS3_S6_21rocsparse_index_base_.kd
    .uniform_work_group_size: 1
    .uses_dynamic_stack: false
    .vgpr_count:     32
    .vgpr_spill_count: 0
    .wavefront_size: 64
  - .agpr_count:     0
    .args:
      - .offset:         0
        .size:           4
        .value_kind:     by_value
      - .offset:         4
        .size:           4
        .value_kind:     by_value
      - .offset:         8
        .size:           4
        .value_kind:     by_value
      - .actual_access:  read_only
        .address_space:  global
        .offset:         16
        .size:           8
        .value_kind:     global_buffer
      - .actual_access:  read_only
        .address_space:  global
        .offset:         24
        .size:           8
        .value_kind:     global_buffer
      - .address_space:  global
        .offset:         32
        .size:           8
        .value_kind:     global_buffer
      - .actual_access:  read_only
        .address_space:  global
        .offset:         40
        .size:           8
        .value_kind:     global_buffer
      - .address_space:  global
        .offset:         48
        .size:           8
        .value_kind:     global_buffer
      - .actual_access:  read_only
        .address_space:  global
        .offset:         56
        .size:           8
        .value_kind:     global_buffer
      - .address_space:  global
        .offset:         64
        .size:           8
        .value_kind:     global_buffer
      - .offset:         72
        .size:           4
        .value_kind:     by_value
    .group_segment_fixed_size: 0
    .kernarg_segment_align: 8
    .kernarg_segment_size: 76
    .language:       OpenCL C
    .language_version:
      - 2
      - 0
    .max_flat_workgroup_size: 64
    .name:           _ZN9rocsparseL23bsric0_binsearch_kernelILj64ELj64ELb0EdEEv20rocsparse_direction_iiPKiS3_PT2_S3_PiS3_S6_21rocsparse_index_base_
    .private_segment_fixed_size: 0
    .sgpr_count:     63
    .sgpr_spill_count: 0
    .symbol:         _ZN9rocsparseL23bsric0_binsearch_kernelILj64ELj64ELb0EdEEv20rocsparse_direction_iiPKiS3_PT2_S3_PiS3_S6_21rocsparse_index_base_.kd
    .uniform_work_group_size: 1
    .uses_dynamic_stack: false
    .vgpr_count:     52
    .vgpr_spill_count: 0
    .wavefront_size: 64
  - .agpr_count:     0
    .args:
      - .offset:         0
        .size:           4
        .value_kind:     by_value
      - .offset:         4
        .size:           4
        .value_kind:     by_value
      - .offset:         8
        .size:           4
        .value_kind:     by_value
      - .actual_access:  read_only
        .address_space:  global
        .offset:         16
        .size:           8
        .value_kind:     global_buffer
      - .actual_access:  read_only
        .address_space:  global
        .offset:         24
        .size:           8
        .value_kind:     global_buffer
      - .address_space:  global
        .offset:         32
        .size:           8
        .value_kind:     global_buffer
      - .actual_access:  read_only
        .address_space:  global
        .offset:         40
        .size:           8
        .value_kind:     global_buffer
      - .address_space:  global
        .offset:         48
        .size:           8
        .value_kind:     global_buffer
      - .actual_access:  read_only
        .address_space:  global
        .offset:         56
        .size:           8
        .value_kind:     global_buffer
      - .address_space:  global
        .offset:         64
        .size:           8
        .value_kind:     global_buffer
      - .offset:         72
        .size:           4
        .value_kind:     by_value
    .group_segment_fixed_size: 3072
    .kernarg_segment_align: 8
    .kernarg_segment_size: 76
    .language:       OpenCL C
    .language_version:
      - 2
      - 0
    .max_flat_workgroup_size: 64
    .name:           _ZN9rocsparseL17bsric0_2_8_kernelILi64ELi64ELi8EdEEv20rocsparse_direction_iiPKiS3_PT2_S3_PiS3_S6_21rocsparse_index_base_
    .private_segment_fixed_size: 0
    .sgpr_count:     56
    .sgpr_spill_count: 0
    .symbol:         _ZN9rocsparseL17bsric0_2_8_kernelILi64ELi64ELi8EdEEv20rocsparse_direction_iiPKiS3_PT2_S3_PiS3_S6_21rocsparse_index_base_.kd
    .uniform_work_group_size: 1
    .uses_dynamic_stack: false
    .vgpr_count:     66
    .vgpr_spill_count: 0
    .wavefront_size: 64
  - .agpr_count:     0
    .args:
      - .offset:         0
        .size:           4
        .value_kind:     by_value
      - .offset:         4
        .size:           4
        .value_kind:     by_value
      - .offset:         8
        .size:           4
        .value_kind:     by_value
      - .actual_access:  read_only
        .address_space:  global
        .offset:         16
        .size:           8
        .value_kind:     global_buffer
      - .actual_access:  read_only
        .address_space:  global
        .offset:         24
        .size:           8
        .value_kind:     global_buffer
      - .address_space:  global
        .offset:         32
        .size:           8
        .value_kind:     global_buffer
      - .actual_access:  read_only
        .address_space:  global
        .offset:         40
        .size:           8
        .value_kind:     global_buffer
      - .address_space:  global
        .offset:         48
        .size:           8
        .value_kind:     global_buffer
      - .actual_access:  read_only
        .address_space:  global
        .offset:         56
        .size:           8
        .value_kind:     global_buffer
      - .address_space:  global
        .offset:         64
        .size:           8
        .value_kind:     global_buffer
      - .offset:         72
        .size:           4
        .value_kind:     by_value
    .group_segment_fixed_size: 9472
    .kernarg_segment_align: 8
    .kernarg_segment_size: 76
    .language:       OpenCL C
    .language_version:
      - 2
      - 0
    .max_flat_workgroup_size: 64
    .name:           _ZN9rocsparseL18bsric0_9_16_kernelILi64ELi64ELi16EdEEv20rocsparse_direction_iiPKiS3_PT2_S3_PiS3_S6_21rocsparse_index_base_
    .private_segment_fixed_size: 0
    .sgpr_count:     60
    .sgpr_spill_count: 0
    .symbol:         _ZN9rocsparseL18bsric0_9_16_kernelILi64ELi64ELi16EdEEv20rocsparse_direction_iiPKiS3_PT2_S3_PiS3_S6_21rocsparse_index_base_.kd
    .uniform_work_group_size: 1
    .uses_dynamic_stack: false
    .vgpr_count:     32
    .vgpr_spill_count: 0
    .wavefront_size: 64
  - .agpr_count:     0
    .args:
      - .offset:         0
        .size:           4
        .value_kind:     by_value
      - .offset:         4
        .size:           4
        .value_kind:     by_value
      - .offset:         8
        .size:           4
        .value_kind:     by_value
      - .actual_access:  read_only
        .address_space:  global
        .offset:         16
        .size:           8
        .value_kind:     global_buffer
      - .actual_access:  read_only
        .address_space:  global
        .offset:         24
        .size:           8
        .value_kind:     global_buffer
      - .address_space:  global
        .offset:         32
        .size:           8
        .value_kind:     global_buffer
      - .actual_access:  read_only
        .address_space:  global
        .offset:         40
        .size:           8
        .value_kind:     global_buffer
      - .address_space:  global
        .offset:         48
        .size:           8
        .value_kind:     global_buffer
      - .actual_access:  read_only
        .address_space:  global
        .offset:         56
        .size:           8
        .value_kind:     global_buffer
      - .address_space:  global
        .offset:         64
        .size:           8
        .value_kind:     global_buffer
      - .offset:         72
        .size:           4
        .value_kind:     by_value
    .group_segment_fixed_size: 26112
    .kernarg_segment_align: 8
    .kernarg_segment_size: 76
    .language:       OpenCL C
    .language_version:
      - 2
      - 0
    .max_flat_workgroup_size: 64
    .name:           _ZN9rocsparseL19bsric0_17_32_kernelILi64ELi64ELi32EdEEv20rocsparse_direction_iiPKiS3_PT2_S3_PiS3_S6_21rocsparse_index_base_
    .private_segment_fixed_size: 0
    .sgpr_count:     62
    .sgpr_spill_count: 0
    .symbol:         _ZN9rocsparseL19bsric0_17_32_kernelILi64ELi64ELi32EdEEv20rocsparse_direction_iiPKiS3_PT2_S3_PiS3_S6_21rocsparse_index_base_.kd
    .uniform_work_group_size: 1
    .uses_dynamic_stack: false
    .vgpr_count:     32
    .vgpr_spill_count: 0
    .wavefront_size: 64
  - .agpr_count:     0
    .args:
      - .offset:         0
        .size:           4
        .value_kind:     by_value
      - .offset:         4
        .size:           4
        .value_kind:     by_value
      - .offset:         8
        .size:           4
        .value_kind:     by_value
      - .actual_access:  read_only
        .address_space:  global
        .offset:         16
        .size:           8
        .value_kind:     global_buffer
      - .actual_access:  read_only
        .address_space:  global
        .offset:         24
        .size:           8
        .value_kind:     global_buffer
      - .address_space:  global
        .offset:         32
        .size:           8
        .value_kind:     global_buffer
      - .actual_access:  read_only
        .address_space:  global
        .offset:         40
        .size:           8
        .value_kind:     global_buffer
      - .address_space:  global
        .offset:         48
        .size:           8
        .value_kind:     global_buffer
      - .actual_access:  read_only
        .address_space:  global
        .offset:         56
        .size:           8
        .value_kind:     global_buffer
      - .address_space:  global
        .offset:         64
        .size:           8
        .value_kind:     global_buffer
      - .offset:         72
        .size:           4
        .value_kind:     by_value
    .group_segment_fixed_size: 3840
    .kernarg_segment_align: 8
    .kernarg_segment_size: 76
    .language:       OpenCL C
    .language_version:
      - 2
      - 0
    .max_flat_workgroup_size: 64
    .name:           _ZN9rocsparseL17bsric0_2_8_kernelILi64ELi128ELi8EdEEv20rocsparse_direction_iiPKiS3_PT2_S3_PiS3_S6_21rocsparse_index_base_
    .private_segment_fixed_size: 0
    .sgpr_count:     56
    .sgpr_spill_count: 0
    .symbol:         _ZN9rocsparseL17bsric0_2_8_kernelILi64ELi128ELi8EdEEv20rocsparse_direction_iiPKiS3_PT2_S3_PiS3_S6_21rocsparse_index_base_.kd
    .uniform_work_group_size: 1
    .uses_dynamic_stack: false
    .vgpr_count:     66
    .vgpr_spill_count: 0
    .wavefront_size: 64
  - .agpr_count:     0
    .args:
      - .offset:         0
        .size:           4
        .value_kind:     by_value
      - .offset:         4
        .size:           4
        .value_kind:     by_value
      - .offset:         8
        .size:           4
        .value_kind:     by_value
      - .actual_access:  read_only
        .address_space:  global
        .offset:         16
        .size:           8
        .value_kind:     global_buffer
      - .actual_access:  read_only
        .address_space:  global
        .offset:         24
        .size:           8
        .value_kind:     global_buffer
      - .address_space:  global
        .offset:         32
        .size:           8
        .value_kind:     global_buffer
      - .actual_access:  read_only
        .address_space:  global
        .offset:         40
        .size:           8
        .value_kind:     global_buffer
      - .address_space:  global
        .offset:         48
        .size:           8
        .value_kind:     global_buffer
      - .actual_access:  read_only
        .address_space:  global
        .offset:         56
        .size:           8
        .value_kind:     global_buffer
      - .address_space:  global
        .offset:         64
        .size:           8
        .value_kind:     global_buffer
      - .offset:         72
        .size:           4
        .value_kind:     by_value
    .group_segment_fixed_size: 10240
    .kernarg_segment_align: 8
    .kernarg_segment_size: 76
    .language:       OpenCL C
    .language_version:
      - 2
      - 0
    .max_flat_workgroup_size: 64
    .name:           _ZN9rocsparseL18bsric0_9_16_kernelILi64ELi128ELi16EdEEv20rocsparse_direction_iiPKiS3_PT2_S3_PiS3_S6_21rocsparse_index_base_
    .private_segment_fixed_size: 0
    .sgpr_count:     60
    .sgpr_spill_count: 0
    .symbol:         _ZN9rocsparseL18bsric0_9_16_kernelILi64ELi128ELi16EdEEv20rocsparse_direction_iiPKiS3_PT2_S3_PiS3_S6_21rocsparse_index_base_.kd
    .uniform_work_group_size: 1
    .uses_dynamic_stack: false
    .vgpr_count:     32
    .vgpr_spill_count: 0
    .wavefront_size: 64
  - .agpr_count:     0
    .args:
      - .offset:         0
        .size:           4
        .value_kind:     by_value
      - .offset:         4
        .size:           4
        .value_kind:     by_value
      - .offset:         8
        .size:           4
        .value_kind:     by_value
      - .actual_access:  read_only
        .address_space:  global
        .offset:         16
        .size:           8
        .value_kind:     global_buffer
      - .actual_access:  read_only
        .address_space:  global
        .offset:         24
        .size:           8
        .value_kind:     global_buffer
      - .address_space:  global
        .offset:         32
        .size:           8
        .value_kind:     global_buffer
      - .actual_access:  read_only
        .address_space:  global
        .offset:         40
        .size:           8
        .value_kind:     global_buffer
      - .address_space:  global
        .offset:         48
        .size:           8
        .value_kind:     global_buffer
      - .actual_access:  read_only
        .address_space:  global
        .offset:         56
        .size:           8
        .value_kind:     global_buffer
      - .address_space:  global
        .offset:         64
        .size:           8
        .value_kind:     global_buffer
      - .offset:         72
        .size:           4
        .value_kind:     by_value
    .group_segment_fixed_size: 26880
    .kernarg_segment_align: 8
    .kernarg_segment_size: 76
    .language:       OpenCL C
    .language_version:
      - 2
      - 0
    .max_flat_workgroup_size: 64
    .name:           _ZN9rocsparseL19bsric0_17_32_kernelILi64ELi128ELi32EdEEv20rocsparse_direction_iiPKiS3_PT2_S3_PiS3_S6_21rocsparse_index_base_
    .private_segment_fixed_size: 0
    .sgpr_count:     62
    .sgpr_spill_count: 0
    .symbol:         _ZN9rocsparseL19bsric0_17_32_kernelILi64ELi128ELi32EdEEv20rocsparse_direction_iiPKiS3_PT2_S3_PiS3_S6_21rocsparse_index_base_.kd
    .uniform_work_group_size: 1
    .uses_dynamic_stack: false
    .vgpr_count:     32
    .vgpr_spill_count: 0
    .wavefront_size: 64
  - .agpr_count:     0
    .args:
      - .offset:         0
        .size:           4
        .value_kind:     by_value
      - .offset:         4
        .size:           4
        .value_kind:     by_value
      - .offset:         8
        .size:           4
        .value_kind:     by_value
      - .actual_access:  read_only
        .address_space:  global
        .offset:         16
        .size:           8
        .value_kind:     global_buffer
      - .actual_access:  read_only
        .address_space:  global
        .offset:         24
        .size:           8
        .value_kind:     global_buffer
      - .address_space:  global
        .offset:         32
        .size:           8
        .value_kind:     global_buffer
      - .actual_access:  read_only
        .address_space:  global
        .offset:         40
        .size:           8
        .value_kind:     global_buffer
      - .address_space:  global
        .offset:         48
        .size:           8
        .value_kind:     global_buffer
      - .actual_access:  read_only
        .address_space:  global
        .offset:         56
        .size:           8
        .value_kind:     global_buffer
      - .address_space:  global
        .offset:         64
        .size:           8
        .value_kind:     global_buffer
      - .offset:         72
        .size:           4
        .value_kind:     by_value
    .group_segment_fixed_size: 0
    .kernarg_segment_align: 8
    .kernarg_segment_size: 76
    .language:       OpenCL C
    .language_version:
      - 2
      - 0
    .max_flat_workgroup_size: 32
    .name:           _ZN9rocsparseL23bsric0_binsearch_kernelILj32ELj32ELb0E21rocsparse_complex_numIfEEEv20rocsparse_direction_iiPKiS5_PT2_S5_PiS5_S8_21rocsparse_index_base_
    .private_segment_fixed_size: 0
    .sgpr_count:     62
    .sgpr_spill_count: 0
    .symbol:         _ZN9rocsparseL23bsric0_binsearch_kernelILj32ELj32ELb0E21rocsparse_complex_numIfEEEv20rocsparse_direction_iiPKiS5_PT2_S5_PiS5_S8_21rocsparse_index_base_.kd
    .uniform_work_group_size: 1
    .uses_dynamic_stack: false
    .vgpr_count:     49
    .vgpr_spill_count: 0
    .wavefront_size: 64
  - .agpr_count:     0
    .args:
      - .offset:         0
        .size:           4
        .value_kind:     by_value
      - .offset:         4
        .size:           4
        .value_kind:     by_value
      - .offset:         8
        .size:           4
        .value_kind:     by_value
      - .actual_access:  read_only
        .address_space:  global
        .offset:         16
        .size:           8
        .value_kind:     global_buffer
      - .actual_access:  read_only
        .address_space:  global
        .offset:         24
        .size:           8
        .value_kind:     global_buffer
      - .address_space:  global
        .offset:         32
        .size:           8
        .value_kind:     global_buffer
      - .actual_access:  read_only
        .address_space:  global
        .offset:         40
        .size:           8
        .value_kind:     global_buffer
      - .address_space:  global
        .offset:         48
        .size:           8
        .value_kind:     global_buffer
      - .actual_access:  read_only
        .address_space:  global
        .offset:         56
        .size:           8
        .value_kind:     global_buffer
      - .address_space:  global
        .offset:         64
        .size:           8
        .value_kind:     global_buffer
      - .offset:         72
        .size:           4
        .value_kind:     by_value
    .group_segment_fixed_size: 0
    .kernarg_segment_align: 8
    .kernarg_segment_size: 76
    .language:       OpenCL C
    .language_version:
      - 2
      - 0
    .max_flat_workgroup_size: 64
    .name:           _ZN9rocsparseL23bsric0_binsearch_kernelILj64ELj64ELb1E21rocsparse_complex_numIfEEEv20rocsparse_direction_iiPKiS5_PT2_S5_PiS5_S8_21rocsparse_index_base_
    .private_segment_fixed_size: 0
    .sgpr_count:     62
    .sgpr_spill_count: 0
    .symbol:         _ZN9rocsparseL23bsric0_binsearch_kernelILj64ELj64ELb1E21rocsparse_complex_numIfEEEv20rocsparse_direction_iiPKiS5_PT2_S5_PiS5_S8_21rocsparse_index_base_.kd
    .uniform_work_group_size: 1
    .uses_dynamic_stack: false
    .vgpr_count:     49
    .vgpr_spill_count: 0
    .wavefront_size: 64
  - .agpr_count:     0
    .args:
      - .offset:         0
        .size:           4
        .value_kind:     by_value
      - .offset:         4
        .size:           4
        .value_kind:     by_value
      - .offset:         8
        .size:           4
        .value_kind:     by_value
      - .actual_access:  read_only
        .address_space:  global
        .offset:         16
        .size:           8
        .value_kind:     global_buffer
      - .actual_access:  read_only
        .address_space:  global
        .offset:         24
        .size:           8
        .value_kind:     global_buffer
      - .address_space:  global
        .offset:         32
        .size:           8
        .value_kind:     global_buffer
      - .actual_access:  read_only
        .address_space:  global
        .offset:         40
        .size:           8
        .value_kind:     global_buffer
      - .address_space:  global
        .offset:         48
        .size:           8
        .value_kind:     global_buffer
      - .actual_access:  read_only
        .address_space:  global
        .offset:         56
        .size:           8
        .value_kind:     global_buffer
      - .address_space:  global
        .offset:         64
        .size:           8
        .value_kind:     global_buffer
      - .offset:         72
        .size:           4
        .value_kind:     by_value
    .group_segment_fixed_size: 448
    .kernarg_segment_align: 8
    .kernarg_segment_size: 76
    .language:       OpenCL C
    .language_version:
      - 2
      - 0
    .max_flat_workgroup_size: 1
    .name:           _ZN9rocsparseL26bsric0_2_8_unrolled_kernelILi1ELi32ELi1E21rocsparse_complex_numIfEEEv20rocsparse_direction_iiPKiS5_PT2_S5_PiS5_S8_21rocsparse_index_base_
    .private_segment_fixed_size: 0
    .sgpr_count:     46
    .sgpr_spill_count: 0
    .symbol:         _ZN9rocsparseL26bsric0_2_8_unrolled_kernelILi1ELi32ELi1E21rocsparse_complex_numIfEEEv20rocsparse_direction_iiPKiS5_PT2_S5_PiS5_S8_21rocsparse_index_base_.kd
    .uniform_work_group_size: 1
    .uses_dynamic_stack: false
    .vgpr_count:     70
    .vgpr_spill_count: 0
    .wavefront_size: 64
  - .agpr_count:     0
    .args:
      - .offset:         0
        .size:           4
        .value_kind:     by_value
      - .offset:         4
        .size:           4
        .value_kind:     by_value
      - .offset:         8
        .size:           4
        .value_kind:     by_value
      - .actual_access:  read_only
        .address_space:  global
        .offset:         16
        .size:           8
        .value_kind:     global_buffer
      - .actual_access:  read_only
        .address_space:  global
        .offset:         24
        .size:           8
        .value_kind:     global_buffer
      - .address_space:  global
        .offset:         32
        .size:           8
        .value_kind:     global_buffer
      - .actual_access:  read_only
        .address_space:  global
        .offset:         40
        .size:           8
        .value_kind:     global_buffer
      - .address_space:  global
        .offset:         48
        .size:           8
        .value_kind:     global_buffer
      - .actual_access:  read_only
        .address_space:  global
        .offset:         56
        .size:           8
        .value_kind:     global_buffer
      - .address_space:  global
        .offset:         64
        .size:           8
        .value_kind:     global_buffer
      - .offset:         72
        .size:           4
        .value_kind:     by_value
    .group_segment_fixed_size: 576
    .kernarg_segment_align: 8
    .kernarg_segment_size: 76
    .language:       OpenCL C
    .language_version:
      - 2
      - 0
    .max_flat_workgroup_size: 4
    .name:           _ZN9rocsparseL26bsric0_2_8_unrolled_kernelILi4ELi32ELi2E21rocsparse_complex_numIfEEEv20rocsparse_direction_iiPKiS5_PT2_S5_PiS5_S8_21rocsparse_index_base_
    .private_segment_fixed_size: 0
    .sgpr_count:     46
    .sgpr_spill_count: 0
    .symbol:         _ZN9rocsparseL26bsric0_2_8_unrolled_kernelILi4ELi32ELi2E21rocsparse_complex_numIfEEEv20rocsparse_direction_iiPKiS5_PT2_S5_PiS5_S8_21rocsparse_index_base_.kd
    .uniform_work_group_size: 1
    .uses_dynamic_stack: false
    .vgpr_count:     68
    .vgpr_spill_count: 0
    .wavefront_size: 64
  - .agpr_count:     0
    .args:
      - .offset:         0
        .size:           4
        .value_kind:     by_value
      - .offset:         4
        .size:           4
        .value_kind:     by_value
      - .offset:         8
        .size:           4
        .value_kind:     by_value
      - .actual_access:  read_only
        .address_space:  global
        .offset:         16
        .size:           8
        .value_kind:     global_buffer
      - .actual_access:  read_only
        .address_space:  global
        .offset:         24
        .size:           8
        .value_kind:     global_buffer
      - .address_space:  global
        .offset:         32
        .size:           8
        .value_kind:     global_buffer
      - .actual_access:  read_only
        .address_space:  global
        .offset:         40
        .size:           8
        .value_kind:     global_buffer
      - .address_space:  global
        .offset:         48
        .size:           8
        .value_kind:     global_buffer
      - .actual_access:  read_only
        .address_space:  global
        .offset:         56
        .size:           8
        .value_kind:     global_buffer
      - .address_space:  global
        .offset:         64
        .size:           8
        .value_kind:     global_buffer
      - .offset:         72
        .size:           4
        .value_kind:     by_value
    .group_segment_fixed_size: 768
    .kernarg_segment_align: 8
    .kernarg_segment_size: 76
    .language:       OpenCL C
    .language_version:
      - 2
      - 0
    .max_flat_workgroup_size: 9
    .name:           _ZN9rocsparseL26bsric0_2_8_unrolled_kernelILi9ELi32ELi3E21rocsparse_complex_numIfEEEv20rocsparse_direction_iiPKiS5_PT2_S5_PiS5_S8_21rocsparse_index_base_
    .private_segment_fixed_size: 0
    .sgpr_count:     46
    .sgpr_spill_count: 0
    .symbol:         _ZN9rocsparseL26bsric0_2_8_unrolled_kernelILi9ELi32ELi3E21rocsparse_complex_numIfEEEv20rocsparse_direction_iiPKiS5_PT2_S5_PiS5_S8_21rocsparse_index_base_.kd
    .uniform_work_group_size: 1
    .uses_dynamic_stack: false
    .vgpr_count:     68
    .vgpr_spill_count: 0
    .wavefront_size: 64
  - .agpr_count:     0
    .args:
      - .offset:         0
        .size:           4
        .value_kind:     by_value
      - .offset:         4
        .size:           4
        .value_kind:     by_value
      - .offset:         8
        .size:           4
        .value_kind:     by_value
      - .actual_access:  read_only
        .address_space:  global
        .offset:         16
        .size:           8
        .value_kind:     global_buffer
      - .actual_access:  read_only
        .address_space:  global
        .offset:         24
        .size:           8
        .value_kind:     global_buffer
      - .address_space:  global
        .offset:         32
        .size:           8
        .value_kind:     global_buffer
      - .actual_access:  read_only
        .address_space:  global
        .offset:         40
        .size:           8
        .value_kind:     global_buffer
      - .address_space:  global
        .offset:         48
        .size:           8
        .value_kind:     global_buffer
      - .actual_access:  read_only
        .address_space:  global
        .offset:         56
        .size:           8
        .value_kind:     global_buffer
      - .address_space:  global
        .offset:         64
        .size:           8
        .value_kind:     global_buffer
      - .offset:         72
        .size:           4
        .value_kind:     by_value
    .group_segment_fixed_size: 1024
    .kernarg_segment_align: 8
    .kernarg_segment_size: 76
    .language:       OpenCL C
    .language_version:
      - 2
      - 0
    .max_flat_workgroup_size: 16
    .name:           _ZN9rocsparseL26bsric0_2_8_unrolled_kernelILi16ELi32ELi4E21rocsparse_complex_numIfEEEv20rocsparse_direction_iiPKiS5_PT2_S5_PiS5_S8_21rocsparse_index_base_
    .private_segment_fixed_size: 0
    .sgpr_count:     46
    .sgpr_spill_count: 0
    .symbol:         _ZN9rocsparseL26bsric0_2_8_unrolled_kernelILi16ELi32ELi4E21rocsparse_complex_numIfEEEv20rocsparse_direction_iiPKiS5_PT2_S5_PiS5_S8_21rocsparse_index_base_.kd
    .uniform_work_group_size: 1
    .uses_dynamic_stack: false
    .vgpr_count:     68
    .vgpr_spill_count: 0
    .wavefront_size: 64
  - .agpr_count:     0
    .args:
      - .offset:         0
        .size:           4
        .value_kind:     by_value
      - .offset:         4
        .size:           4
        .value_kind:     by_value
      - .offset:         8
        .size:           4
        .value_kind:     by_value
      - .actual_access:  read_only
        .address_space:  global
        .offset:         16
        .size:           8
        .value_kind:     global_buffer
      - .actual_access:  read_only
        .address_space:  global
        .offset:         24
        .size:           8
        .value_kind:     global_buffer
      - .address_space:  global
        .offset:         32
        .size:           8
        .value_kind:     global_buffer
      - .actual_access:  read_only
        .address_space:  global
        .offset:         40
        .size:           8
        .value_kind:     global_buffer
      - .address_space:  global
        .offset:         48
        .size:           8
        .value_kind:     global_buffer
      - .actual_access:  read_only
        .address_space:  global
        .offset:         56
        .size:           8
        .value_kind:     global_buffer
      - .address_space:  global
        .offset:         64
        .size:           8
        .value_kind:     global_buffer
      - .offset:         72
        .size:           4
        .value_kind:     by_value
    .group_segment_fixed_size: 1344
    .kernarg_segment_align: 8
    .kernarg_segment_size: 76
    .language:       OpenCL C
    .language_version:
      - 2
      - 0
    .max_flat_workgroup_size: 25
    .name:           _ZN9rocsparseL26bsric0_2_8_unrolled_kernelILi25ELi32ELi5E21rocsparse_complex_numIfEEEv20rocsparse_direction_iiPKiS5_PT2_S5_PiS5_S8_21rocsparse_index_base_
    .private_segment_fixed_size: 0
    .sgpr_count:     46
    .sgpr_spill_count: 0
    .symbol:         _ZN9rocsparseL26bsric0_2_8_unrolled_kernelILi25ELi32ELi5E21rocsparse_complex_numIfEEEv20rocsparse_direction_iiPKiS5_PT2_S5_PiS5_S8_21rocsparse_index_base_.kd
    .uniform_work_group_size: 1
    .uses_dynamic_stack: false
    .vgpr_count:     68
    .vgpr_spill_count: 0
    .wavefront_size: 64
  - .agpr_count:     0
    .args:
      - .offset:         0
        .size:           4
        .value_kind:     by_value
      - .offset:         4
        .size:           4
        .value_kind:     by_value
      - .offset:         8
        .size:           4
        .value_kind:     by_value
      - .actual_access:  read_only
        .address_space:  global
        .offset:         16
        .size:           8
        .value_kind:     global_buffer
      - .actual_access:  read_only
        .address_space:  global
        .offset:         24
        .size:           8
        .value_kind:     global_buffer
      - .address_space:  global
        .offset:         32
        .size:           8
        .value_kind:     global_buffer
      - .actual_access:  read_only
        .address_space:  global
        .offset:         40
        .size:           8
        .value_kind:     global_buffer
      - .address_space:  global
        .offset:         48
        .size:           8
        .value_kind:     global_buffer
      - .actual_access:  read_only
        .address_space:  global
        .offset:         56
        .size:           8
        .value_kind:     global_buffer
      - .address_space:  global
        .offset:         64
        .size:           8
        .value_kind:     global_buffer
      - .offset:         72
        .size:           4
        .value_kind:     by_value
    .group_segment_fixed_size: 1728
    .kernarg_segment_align: 8
    .kernarg_segment_size: 76
    .language:       OpenCL C
    .language_version:
      - 2
      - 0
    .max_flat_workgroup_size: 36
    .name:           _ZN9rocsparseL26bsric0_2_8_unrolled_kernelILi36ELi32ELi6E21rocsparse_complex_numIfEEEv20rocsparse_direction_iiPKiS5_PT2_S5_PiS5_S8_21rocsparse_index_base_
    .private_segment_fixed_size: 0
    .sgpr_count:     46
    .sgpr_spill_count: 0
    .symbol:         _ZN9rocsparseL26bsric0_2_8_unrolled_kernelILi36ELi32ELi6E21rocsparse_complex_numIfEEEv20rocsparse_direction_iiPKiS5_PT2_S5_PiS5_S8_21rocsparse_index_base_.kd
    .uniform_work_group_size: 1
    .uses_dynamic_stack: false
    .vgpr_count:     68
    .vgpr_spill_count: 0
    .wavefront_size: 64
  - .agpr_count:     0
    .args:
      - .offset:         0
        .size:           4
        .value_kind:     by_value
      - .offset:         4
        .size:           4
        .value_kind:     by_value
      - .offset:         8
        .size:           4
        .value_kind:     by_value
      - .actual_access:  read_only
        .address_space:  global
        .offset:         16
        .size:           8
        .value_kind:     global_buffer
      - .actual_access:  read_only
        .address_space:  global
        .offset:         24
        .size:           8
        .value_kind:     global_buffer
      - .address_space:  global
        .offset:         32
        .size:           8
        .value_kind:     global_buffer
      - .actual_access:  read_only
        .address_space:  global
        .offset:         40
        .size:           8
        .value_kind:     global_buffer
      - .address_space:  global
        .offset:         48
        .size:           8
        .value_kind:     global_buffer
      - .actual_access:  read_only
        .address_space:  global
        .offset:         56
        .size:           8
        .value_kind:     global_buffer
      - .address_space:  global
        .offset:         64
        .size:           8
        .value_kind:     global_buffer
      - .offset:         72
        .size:           4
        .value_kind:     by_value
    .group_segment_fixed_size: 2176
    .kernarg_segment_align: 8
    .kernarg_segment_size: 76
    .language:       OpenCL C
    .language_version:
      - 2
      - 0
    .max_flat_workgroup_size: 49
    .name:           _ZN9rocsparseL26bsric0_2_8_unrolled_kernelILi49ELi32ELi7E21rocsparse_complex_numIfEEEv20rocsparse_direction_iiPKiS5_PT2_S5_PiS5_S8_21rocsparse_index_base_
    .private_segment_fixed_size: 0
    .sgpr_count:     46
    .sgpr_spill_count: 0
    .symbol:         _ZN9rocsparseL26bsric0_2_8_unrolled_kernelILi49ELi32ELi7E21rocsparse_complex_numIfEEEv20rocsparse_direction_iiPKiS5_PT2_S5_PiS5_S8_21rocsparse_index_base_.kd
    .uniform_work_group_size: 1
    .uses_dynamic_stack: false
    .vgpr_count:     76
    .vgpr_spill_count: 0
    .wavefront_size: 64
  - .agpr_count:     0
    .args:
      - .offset:         0
        .size:           4
        .value_kind:     by_value
      - .offset:         4
        .size:           4
        .value_kind:     by_value
      - .offset:         8
        .size:           4
        .value_kind:     by_value
      - .actual_access:  read_only
        .address_space:  global
        .offset:         16
        .size:           8
        .value_kind:     global_buffer
      - .actual_access:  read_only
        .address_space:  global
        .offset:         24
        .size:           8
        .value_kind:     global_buffer
      - .address_space:  global
        .offset:         32
        .size:           8
        .value_kind:     global_buffer
      - .actual_access:  read_only
        .address_space:  global
        .offset:         40
        .size:           8
        .value_kind:     global_buffer
      - .address_space:  global
        .offset:         48
        .size:           8
        .value_kind:     global_buffer
      - .actual_access:  read_only
        .address_space:  global
        .offset:         56
        .size:           8
        .value_kind:     global_buffer
      - .address_space:  global
        .offset:         64
        .size:           8
        .value_kind:     global_buffer
      - .offset:         72
        .size:           4
        .value_kind:     by_value
    .group_segment_fixed_size: 2688
    .kernarg_segment_align: 8
    .kernarg_segment_size: 76
    .language:       OpenCL C
    .language_version:
      - 2
      - 0
    .max_flat_workgroup_size: 64
    .name:           _ZN9rocsparseL26bsric0_2_8_unrolled_kernelILi64ELi32ELi8E21rocsparse_complex_numIfEEEv20rocsparse_direction_iiPKiS5_PT2_S5_PiS5_S8_21rocsparse_index_base_
    .private_segment_fixed_size: 0
    .sgpr_count:     46
    .sgpr_spill_count: 0
    .symbol:         _ZN9rocsparseL26bsric0_2_8_unrolled_kernelILi64ELi32ELi8E21rocsparse_complex_numIfEEEv20rocsparse_direction_iiPKiS5_PT2_S5_PiS5_S8_21rocsparse_index_base_.kd
    .uniform_work_group_size: 1
    .uses_dynamic_stack: false
    .vgpr_count:     80
    .vgpr_spill_count: 0
    .wavefront_size: 64
  - .agpr_count:     0
    .args:
      - .offset:         0
        .size:           4
        .value_kind:     by_value
      - .offset:         4
        .size:           4
        .value_kind:     by_value
      - .offset:         8
        .size:           4
        .value_kind:     by_value
      - .actual_access:  read_only
        .address_space:  global
        .offset:         16
        .size:           8
        .value_kind:     global_buffer
      - .actual_access:  read_only
        .address_space:  global
        .offset:         24
        .size:           8
        .value_kind:     global_buffer
      - .address_space:  global
        .offset:         32
        .size:           8
        .value_kind:     global_buffer
      - .actual_access:  read_only
        .address_space:  global
        .offset:         40
        .size:           8
        .value_kind:     global_buffer
      - .address_space:  global
        .offset:         48
        .size:           8
        .value_kind:     global_buffer
      - .actual_access:  read_only
        .address_space:  global
        .offset:         56
        .size:           8
        .value_kind:     global_buffer
      - .address_space:  global
        .offset:         64
        .size:           8
        .value_kind:     global_buffer
      - .offset:         72
        .size:           4
        .value_kind:     by_value
    .group_segment_fixed_size: 9088
    .kernarg_segment_align: 8
    .kernarg_segment_size: 76
    .language:       OpenCL C
    .language_version:
      - 2
      - 0
    .max_flat_workgroup_size: 64
    .name:           _ZN9rocsparseL18bsric0_9_16_kernelILi64ELi32ELi16E21rocsparse_complex_numIfEEEv20rocsparse_direction_iiPKiS5_PT2_S5_PiS5_S8_21rocsparse_index_base_
    .private_segment_fixed_size: 0
    .sgpr_count:     64
    .sgpr_spill_count: 0
    .symbol:         _ZN9rocsparseL18bsric0_9_16_kernelILi64ELi32ELi16E21rocsparse_complex_numIfEEEv20rocsparse_direction_iiPKiS5_PT2_S5_PiS5_S8_21rocsparse_index_base_.kd
    .uniform_work_group_size: 1
    .uses_dynamic_stack: false
    .vgpr_count:     44
    .vgpr_spill_count: 0
    .wavefront_size: 64
  - .agpr_count:     0
    .args:
      - .offset:         0
        .size:           4
        .value_kind:     by_value
      - .offset:         4
        .size:           4
        .value_kind:     by_value
      - .offset:         8
        .size:           4
        .value_kind:     by_value
      - .actual_access:  read_only
        .address_space:  global
        .offset:         16
        .size:           8
        .value_kind:     global_buffer
      - .actual_access:  read_only
        .address_space:  global
        .offset:         24
        .size:           8
        .value_kind:     global_buffer
      - .address_space:  global
        .offset:         32
        .size:           8
        .value_kind:     global_buffer
      - .actual_access:  read_only
        .address_space:  global
        .offset:         40
        .size:           8
        .value_kind:     global_buffer
      - .address_space:  global
        .offset:         48
        .size:           8
        .value_kind:     global_buffer
      - .actual_access:  read_only
        .address_space:  global
        .offset:         56
        .size:           8
        .value_kind:     global_buffer
      - .address_space:  global
        .offset:         64
        .size:           8
        .value_kind:     global_buffer
      - .offset:         72
        .size:           4
        .value_kind:     by_value
    .group_segment_fixed_size: 25728
    .kernarg_segment_align: 8
    .kernarg_segment_size: 76
    .language:       OpenCL C
    .language_version:
      - 2
      - 0
    .max_flat_workgroup_size: 64
    .name:           _ZN9rocsparseL19bsric0_17_32_kernelILi64ELi32ELi32E21rocsparse_complex_numIfEEEv20rocsparse_direction_iiPKiS5_PT2_S5_PiS5_S8_21rocsparse_index_base_
    .private_segment_fixed_size: 0
    .sgpr_count:     66
    .sgpr_spill_count: 0
    .symbol:         _ZN9rocsparseL19bsric0_17_32_kernelILi64ELi32ELi32E21rocsparse_complex_numIfEEEv20rocsparse_direction_iiPKiS5_PT2_S5_PiS5_S8_21rocsparse_index_base_.kd
    .uniform_work_group_size: 1
    .uses_dynamic_stack: false
    .vgpr_count:     46
    .vgpr_spill_count: 0
    .wavefront_size: 64
  - .agpr_count:     0
    .args:
      - .offset:         0
        .size:           4
        .value_kind:     by_value
      - .offset:         4
        .size:           4
        .value_kind:     by_value
      - .offset:         8
        .size:           4
        .value_kind:     by_value
      - .actual_access:  read_only
        .address_space:  global
        .offset:         16
        .size:           8
        .value_kind:     global_buffer
      - .actual_access:  read_only
        .address_space:  global
        .offset:         24
        .size:           8
        .value_kind:     global_buffer
      - .address_space:  global
        .offset:         32
        .size:           8
        .value_kind:     global_buffer
      - .actual_access:  read_only
        .address_space:  global
        .offset:         40
        .size:           8
        .value_kind:     global_buffer
      - .address_space:  global
        .offset:         48
        .size:           8
        .value_kind:     global_buffer
      - .actual_access:  read_only
        .address_space:  global
        .offset:         56
        .size:           8
        .value_kind:     global_buffer
      - .address_space:  global
        .offset:         64
        .size:           8
        .value_kind:     global_buffer
      - .offset:         72
        .size:           4
        .value_kind:     by_value
    .group_segment_fixed_size: 0
    .kernarg_segment_align: 8
    .kernarg_segment_size: 76
    .language:       OpenCL C
    .language_version:
      - 2
      - 0
    .max_flat_workgroup_size: 64
    .name:           _ZN9rocsparseL23bsric0_binsearch_kernelILj64ELj64ELb0E21rocsparse_complex_numIfEEEv20rocsparse_direction_iiPKiS5_PT2_S5_PiS5_S8_21rocsparse_index_base_
    .private_segment_fixed_size: 0
    .sgpr_count:     62
    .sgpr_spill_count: 0
    .symbol:         _ZN9rocsparseL23bsric0_binsearch_kernelILj64ELj64ELb0E21rocsparse_complex_numIfEEEv20rocsparse_direction_iiPKiS5_PT2_S5_PiS5_S8_21rocsparse_index_base_.kd
    .uniform_work_group_size: 1
    .uses_dynamic_stack: false
    .vgpr_count:     49
    .vgpr_spill_count: 0
    .wavefront_size: 64
  - .agpr_count:     0
    .args:
      - .offset:         0
        .size:           4
        .value_kind:     by_value
      - .offset:         4
        .size:           4
        .value_kind:     by_value
      - .offset:         8
        .size:           4
        .value_kind:     by_value
      - .actual_access:  read_only
        .address_space:  global
        .offset:         16
        .size:           8
        .value_kind:     global_buffer
      - .actual_access:  read_only
        .address_space:  global
        .offset:         24
        .size:           8
        .value_kind:     global_buffer
      - .address_space:  global
        .offset:         32
        .size:           8
        .value_kind:     global_buffer
      - .actual_access:  read_only
        .address_space:  global
        .offset:         40
        .size:           8
        .value_kind:     global_buffer
      - .address_space:  global
        .offset:         48
        .size:           8
        .value_kind:     global_buffer
      - .actual_access:  read_only
        .address_space:  global
        .offset:         56
        .size:           8
        .value_kind:     global_buffer
      - .address_space:  global
        .offset:         64
        .size:           8
        .value_kind:     global_buffer
      - .offset:         72
        .size:           4
        .value_kind:     by_value
    .group_segment_fixed_size: 3072
    .kernarg_segment_align: 8
    .kernarg_segment_size: 76
    .language:       OpenCL C
    .language_version:
      - 2
      - 0
    .max_flat_workgroup_size: 64
    .name:           _ZN9rocsparseL17bsric0_2_8_kernelILi64ELi64ELi8E21rocsparse_complex_numIfEEEv20rocsparse_direction_iiPKiS5_PT2_S5_PiS5_S8_21rocsparse_index_base_
    .private_segment_fixed_size: 0
    .sgpr_count:     56
    .sgpr_spill_count: 0
    .symbol:         _ZN9rocsparseL17bsric0_2_8_kernelILi64ELi64ELi8E21rocsparse_complex_numIfEEEv20rocsparse_direction_iiPKiS5_PT2_S5_PiS5_S8_21rocsparse_index_base_.kd
    .uniform_work_group_size: 1
    .uses_dynamic_stack: false
    .vgpr_count:     66
    .vgpr_spill_count: 0
    .wavefront_size: 64
  - .agpr_count:     0
    .args:
      - .offset:         0
        .size:           4
        .value_kind:     by_value
      - .offset:         4
        .size:           4
        .value_kind:     by_value
      - .offset:         8
        .size:           4
        .value_kind:     by_value
      - .actual_access:  read_only
        .address_space:  global
        .offset:         16
        .size:           8
        .value_kind:     global_buffer
      - .actual_access:  read_only
        .address_space:  global
        .offset:         24
        .size:           8
        .value_kind:     global_buffer
      - .address_space:  global
        .offset:         32
        .size:           8
        .value_kind:     global_buffer
      - .actual_access:  read_only
        .address_space:  global
        .offset:         40
        .size:           8
        .value_kind:     global_buffer
      - .address_space:  global
        .offset:         48
        .size:           8
        .value_kind:     global_buffer
      - .actual_access:  read_only
        .address_space:  global
        .offset:         56
        .size:           8
        .value_kind:     global_buffer
      - .address_space:  global
        .offset:         64
        .size:           8
        .value_kind:     global_buffer
      - .offset:         72
        .size:           4
        .value_kind:     by_value
    .group_segment_fixed_size: 9472
    .kernarg_segment_align: 8
    .kernarg_segment_size: 76
    .language:       OpenCL C
    .language_version:
      - 2
      - 0
    .max_flat_workgroup_size: 64
    .name:           _ZN9rocsparseL18bsric0_9_16_kernelILi64ELi64ELi16E21rocsparse_complex_numIfEEEv20rocsparse_direction_iiPKiS5_PT2_S5_PiS5_S8_21rocsparse_index_base_
    .private_segment_fixed_size: 0
    .sgpr_count:     64
    .sgpr_spill_count: 0
    .symbol:         _ZN9rocsparseL18bsric0_9_16_kernelILi64ELi64ELi16E21rocsparse_complex_numIfEEEv20rocsparse_direction_iiPKiS5_PT2_S5_PiS5_S8_21rocsparse_index_base_.kd
    .uniform_work_group_size: 1
    .uses_dynamic_stack: false
    .vgpr_count:     44
    .vgpr_spill_count: 0
    .wavefront_size: 64
  - .agpr_count:     0
    .args:
      - .offset:         0
        .size:           4
        .value_kind:     by_value
      - .offset:         4
        .size:           4
        .value_kind:     by_value
      - .offset:         8
        .size:           4
        .value_kind:     by_value
      - .actual_access:  read_only
        .address_space:  global
        .offset:         16
        .size:           8
        .value_kind:     global_buffer
      - .actual_access:  read_only
        .address_space:  global
        .offset:         24
        .size:           8
        .value_kind:     global_buffer
      - .address_space:  global
        .offset:         32
        .size:           8
        .value_kind:     global_buffer
      - .actual_access:  read_only
        .address_space:  global
        .offset:         40
        .size:           8
        .value_kind:     global_buffer
      - .address_space:  global
        .offset:         48
        .size:           8
        .value_kind:     global_buffer
      - .actual_access:  read_only
        .address_space:  global
        .offset:         56
        .size:           8
        .value_kind:     global_buffer
      - .address_space:  global
        .offset:         64
        .size:           8
        .value_kind:     global_buffer
      - .offset:         72
        .size:           4
        .value_kind:     by_value
    .group_segment_fixed_size: 26112
    .kernarg_segment_align: 8
    .kernarg_segment_size: 76
    .language:       OpenCL C
    .language_version:
      - 2
      - 0
    .max_flat_workgroup_size: 64
    .name:           _ZN9rocsparseL19bsric0_17_32_kernelILi64ELi64ELi32E21rocsparse_complex_numIfEEEv20rocsparse_direction_iiPKiS5_PT2_S5_PiS5_S8_21rocsparse_index_base_
    .private_segment_fixed_size: 0
    .sgpr_count:     66
    .sgpr_spill_count: 0
    .symbol:         _ZN9rocsparseL19bsric0_17_32_kernelILi64ELi64ELi32E21rocsparse_complex_numIfEEEv20rocsparse_direction_iiPKiS5_PT2_S5_PiS5_S8_21rocsparse_index_base_.kd
    .uniform_work_group_size: 1
    .uses_dynamic_stack: false
    .vgpr_count:     46
    .vgpr_spill_count: 0
    .wavefront_size: 64
  - .agpr_count:     0
    .args:
      - .offset:         0
        .size:           4
        .value_kind:     by_value
      - .offset:         4
        .size:           4
        .value_kind:     by_value
      - .offset:         8
        .size:           4
        .value_kind:     by_value
      - .actual_access:  read_only
        .address_space:  global
        .offset:         16
        .size:           8
        .value_kind:     global_buffer
      - .actual_access:  read_only
        .address_space:  global
        .offset:         24
        .size:           8
        .value_kind:     global_buffer
      - .address_space:  global
        .offset:         32
        .size:           8
        .value_kind:     global_buffer
      - .actual_access:  read_only
        .address_space:  global
        .offset:         40
        .size:           8
        .value_kind:     global_buffer
      - .address_space:  global
        .offset:         48
        .size:           8
        .value_kind:     global_buffer
      - .actual_access:  read_only
        .address_space:  global
        .offset:         56
        .size:           8
        .value_kind:     global_buffer
      - .address_space:  global
        .offset:         64
        .size:           8
        .value_kind:     global_buffer
      - .offset:         72
        .size:           4
        .value_kind:     by_value
    .group_segment_fixed_size: 3840
    .kernarg_segment_align: 8
    .kernarg_segment_size: 76
    .language:       OpenCL C
    .language_version:
      - 2
      - 0
    .max_flat_workgroup_size: 64
    .name:           _ZN9rocsparseL17bsric0_2_8_kernelILi64ELi128ELi8E21rocsparse_complex_numIfEEEv20rocsparse_direction_iiPKiS5_PT2_S5_PiS5_S8_21rocsparse_index_base_
    .private_segment_fixed_size: 0
    .sgpr_count:     56
    .sgpr_spill_count: 0
    .symbol:         _ZN9rocsparseL17bsric0_2_8_kernelILi64ELi128ELi8E21rocsparse_complex_numIfEEEv20rocsparse_direction_iiPKiS5_PT2_S5_PiS5_S8_21rocsparse_index_base_.kd
    .uniform_work_group_size: 1
    .uses_dynamic_stack: false
    .vgpr_count:     66
    .vgpr_spill_count: 0
    .wavefront_size: 64
  - .agpr_count:     0
    .args:
      - .offset:         0
        .size:           4
        .value_kind:     by_value
      - .offset:         4
        .size:           4
        .value_kind:     by_value
      - .offset:         8
        .size:           4
        .value_kind:     by_value
      - .actual_access:  read_only
        .address_space:  global
        .offset:         16
        .size:           8
        .value_kind:     global_buffer
      - .actual_access:  read_only
        .address_space:  global
        .offset:         24
        .size:           8
        .value_kind:     global_buffer
      - .address_space:  global
        .offset:         32
        .size:           8
        .value_kind:     global_buffer
      - .actual_access:  read_only
        .address_space:  global
        .offset:         40
        .size:           8
        .value_kind:     global_buffer
      - .address_space:  global
        .offset:         48
        .size:           8
        .value_kind:     global_buffer
      - .actual_access:  read_only
        .address_space:  global
        .offset:         56
        .size:           8
        .value_kind:     global_buffer
      - .address_space:  global
        .offset:         64
        .size:           8
        .value_kind:     global_buffer
      - .offset:         72
        .size:           4
        .value_kind:     by_value
    .group_segment_fixed_size: 10240
    .kernarg_segment_align: 8
    .kernarg_segment_size: 76
    .language:       OpenCL C
    .language_version:
      - 2
      - 0
    .max_flat_workgroup_size: 64
    .name:           _ZN9rocsparseL18bsric0_9_16_kernelILi64ELi128ELi16E21rocsparse_complex_numIfEEEv20rocsparse_direction_iiPKiS5_PT2_S5_PiS5_S8_21rocsparse_index_base_
    .private_segment_fixed_size: 0
    .sgpr_count:     64
    .sgpr_spill_count: 0
    .symbol:         _ZN9rocsparseL18bsric0_9_16_kernelILi64ELi128ELi16E21rocsparse_complex_numIfEEEv20rocsparse_direction_iiPKiS5_PT2_S5_PiS5_S8_21rocsparse_index_base_.kd
    .uniform_work_group_size: 1
    .uses_dynamic_stack: false
    .vgpr_count:     44
    .vgpr_spill_count: 0
    .wavefront_size: 64
  - .agpr_count:     0
    .args:
      - .offset:         0
        .size:           4
        .value_kind:     by_value
      - .offset:         4
        .size:           4
        .value_kind:     by_value
      - .offset:         8
        .size:           4
        .value_kind:     by_value
      - .actual_access:  read_only
        .address_space:  global
        .offset:         16
        .size:           8
        .value_kind:     global_buffer
      - .actual_access:  read_only
        .address_space:  global
        .offset:         24
        .size:           8
        .value_kind:     global_buffer
      - .address_space:  global
        .offset:         32
        .size:           8
        .value_kind:     global_buffer
      - .actual_access:  read_only
        .address_space:  global
        .offset:         40
        .size:           8
        .value_kind:     global_buffer
      - .address_space:  global
        .offset:         48
        .size:           8
        .value_kind:     global_buffer
      - .actual_access:  read_only
        .address_space:  global
        .offset:         56
        .size:           8
        .value_kind:     global_buffer
      - .address_space:  global
        .offset:         64
        .size:           8
        .value_kind:     global_buffer
      - .offset:         72
        .size:           4
        .value_kind:     by_value
    .group_segment_fixed_size: 26880
    .kernarg_segment_align: 8
    .kernarg_segment_size: 76
    .language:       OpenCL C
    .language_version:
      - 2
      - 0
    .max_flat_workgroup_size: 64
    .name:           _ZN9rocsparseL19bsric0_17_32_kernelILi64ELi128ELi32E21rocsparse_complex_numIfEEEv20rocsparse_direction_iiPKiS5_PT2_S5_PiS5_S8_21rocsparse_index_base_
    .private_segment_fixed_size: 0
    .sgpr_count:     66
    .sgpr_spill_count: 0
    .symbol:         _ZN9rocsparseL19bsric0_17_32_kernelILi64ELi128ELi32E21rocsparse_complex_numIfEEEv20rocsparse_direction_iiPKiS5_PT2_S5_PiS5_S8_21rocsparse_index_base_.kd
    .uniform_work_group_size: 1
    .uses_dynamic_stack: false
    .vgpr_count:     46
    .vgpr_spill_count: 0
    .wavefront_size: 64
  - .agpr_count:     0
    .args:
      - .offset:         0
        .size:           4
        .value_kind:     by_value
      - .offset:         4
        .size:           4
        .value_kind:     by_value
      - .offset:         8
        .size:           4
        .value_kind:     by_value
      - .actual_access:  read_only
        .address_space:  global
        .offset:         16
        .size:           8
        .value_kind:     global_buffer
      - .actual_access:  read_only
        .address_space:  global
        .offset:         24
        .size:           8
        .value_kind:     global_buffer
      - .address_space:  global
        .offset:         32
        .size:           8
        .value_kind:     global_buffer
      - .actual_access:  read_only
        .address_space:  global
        .offset:         40
        .size:           8
        .value_kind:     global_buffer
      - .address_space:  global
        .offset:         48
        .size:           8
        .value_kind:     global_buffer
      - .actual_access:  read_only
        .address_space:  global
        .offset:         56
        .size:           8
        .value_kind:     global_buffer
      - .address_space:  global
        .offset:         64
        .size:           8
        .value_kind:     global_buffer
      - .offset:         72
        .size:           4
        .value_kind:     by_value
    .group_segment_fixed_size: 0
    .kernarg_segment_align: 8
    .kernarg_segment_size: 76
    .language:       OpenCL C
    .language_version:
      - 2
      - 0
    .max_flat_workgroup_size: 32
    .name:           _ZN9rocsparseL23bsric0_binsearch_kernelILj32ELj32ELb0E21rocsparse_complex_numIdEEEv20rocsparse_direction_iiPKiS5_PT2_S5_PiS5_S8_21rocsparse_index_base_
    .private_segment_fixed_size: 0
    .sgpr_count:     63
    .sgpr_spill_count: 0
    .symbol:         _ZN9rocsparseL23bsric0_binsearch_kernelILj32ELj32ELb0E21rocsparse_complex_numIdEEEv20rocsparse_direction_iiPKiS5_PT2_S5_PiS5_S8_21rocsparse_index_base_.kd
    .uniform_work_group_size: 1
    .uses_dynamic_stack: false
    .vgpr_count:     62
    .vgpr_spill_count: 0
    .wavefront_size: 64
  - .agpr_count:     0
    .args:
      - .offset:         0
        .size:           4
        .value_kind:     by_value
      - .offset:         4
        .size:           4
        .value_kind:     by_value
      - .offset:         8
        .size:           4
        .value_kind:     by_value
      - .actual_access:  read_only
        .address_space:  global
        .offset:         16
        .size:           8
        .value_kind:     global_buffer
      - .actual_access:  read_only
        .address_space:  global
        .offset:         24
        .size:           8
        .value_kind:     global_buffer
      - .address_space:  global
        .offset:         32
        .size:           8
        .value_kind:     global_buffer
      - .actual_access:  read_only
        .address_space:  global
        .offset:         40
        .size:           8
        .value_kind:     global_buffer
      - .address_space:  global
        .offset:         48
        .size:           8
        .value_kind:     global_buffer
      - .actual_access:  read_only
        .address_space:  global
        .offset:         56
        .size:           8
        .value_kind:     global_buffer
      - .address_space:  global
        .offset:         64
        .size:           8
        .value_kind:     global_buffer
      - .offset:         72
        .size:           4
        .value_kind:     by_value
    .group_segment_fixed_size: 0
    .kernarg_segment_align: 8
    .kernarg_segment_size: 76
    .language:       OpenCL C
    .language_version:
      - 2
      - 0
    .max_flat_workgroup_size: 64
    .name:           _ZN9rocsparseL23bsric0_binsearch_kernelILj64ELj64ELb1E21rocsparse_complex_numIdEEEv20rocsparse_direction_iiPKiS5_PT2_S5_PiS5_S8_21rocsparse_index_base_
    .private_segment_fixed_size: 0
    .sgpr_count:     63
    .sgpr_spill_count: 0
    .symbol:         _ZN9rocsparseL23bsric0_binsearch_kernelILj64ELj64ELb1E21rocsparse_complex_numIdEEEv20rocsparse_direction_iiPKiS5_PT2_S5_PiS5_S8_21rocsparse_index_base_.kd
    .uniform_work_group_size: 1
    .uses_dynamic_stack: false
    .vgpr_count:     62
    .vgpr_spill_count: 0
    .wavefront_size: 64
  - .agpr_count:     0
    .args:
      - .offset:         0
        .size:           4
        .value_kind:     by_value
      - .offset:         4
        .size:           4
        .value_kind:     by_value
      - .offset:         8
        .size:           4
        .value_kind:     by_value
      - .actual_access:  read_only
        .address_space:  global
        .offset:         16
        .size:           8
        .value_kind:     global_buffer
      - .actual_access:  read_only
        .address_space:  global
        .offset:         24
        .size:           8
        .value_kind:     global_buffer
      - .address_space:  global
        .offset:         32
        .size:           8
        .value_kind:     global_buffer
      - .actual_access:  read_only
        .address_space:  global
        .offset:         40
        .size:           8
        .value_kind:     global_buffer
      - .address_space:  global
        .offset:         48
        .size:           8
        .value_kind:     global_buffer
      - .actual_access:  read_only
        .address_space:  global
        .offset:         56
        .size:           8
        .value_kind:     global_buffer
      - .address_space:  global
        .offset:         64
        .size:           8
        .value_kind:     global_buffer
      - .offset:         72
        .size:           4
        .value_kind:     by_value
    .group_segment_fixed_size: 512
    .kernarg_segment_align: 8
    .kernarg_segment_size: 76
    .language:       OpenCL C
    .language_version:
      - 2
      - 0
    .max_flat_workgroup_size: 1
    .name:           _ZN9rocsparseL26bsric0_2_8_unrolled_kernelILi1ELi32ELi1E21rocsparse_complex_numIdEEEv20rocsparse_direction_iiPKiS5_PT2_S5_PiS5_S8_21rocsparse_index_base_
    .private_segment_fixed_size: 0
    .sgpr_count:     44
    .sgpr_spill_count: 0
    .symbol:         _ZN9rocsparseL26bsric0_2_8_unrolled_kernelILi1ELi32ELi1E21rocsparse_complex_numIdEEEv20rocsparse_direction_iiPKiS5_PT2_S5_PiS5_S8_21rocsparse_index_base_.kd
    .uniform_work_group_size: 1
    .uses_dynamic_stack: false
    .vgpr_count:     58
    .vgpr_spill_count: 0
    .wavefront_size: 64
  - .agpr_count:     0
    .args:
      - .offset:         0
        .size:           4
        .value_kind:     by_value
      - .offset:         4
        .size:           4
        .value_kind:     by_value
      - .offset:         8
        .size:           4
        .value_kind:     by_value
      - .actual_access:  read_only
        .address_space:  global
        .offset:         16
        .size:           8
        .value_kind:     global_buffer
      - .actual_access:  read_only
        .address_space:  global
        .offset:         24
        .size:           8
        .value_kind:     global_buffer
      - .address_space:  global
        .offset:         32
        .size:           8
        .value_kind:     global_buffer
      - .actual_access:  read_only
        .address_space:  global
        .offset:         40
        .size:           8
        .value_kind:     global_buffer
      - .address_space:  global
        .offset:         48
        .size:           8
        .value_kind:     global_buffer
      - .actual_access:  read_only
        .address_space:  global
        .offset:         56
        .size:           8
        .value_kind:     global_buffer
      - .address_space:  global
        .offset:         64
        .size:           8
        .value_kind:     global_buffer
      - .offset:         72
        .size:           4
        .value_kind:     by_value
    .group_segment_fixed_size: 768
    .kernarg_segment_align: 8
    .kernarg_segment_size: 76
    .language:       OpenCL C
    .language_version:
      - 2
      - 0
    .max_flat_workgroup_size: 4
    .name:           _ZN9rocsparseL26bsric0_2_8_unrolled_kernelILi4ELi32ELi2E21rocsparse_complex_numIdEEEv20rocsparse_direction_iiPKiS5_PT2_S5_PiS5_S8_21rocsparse_index_base_
    .private_segment_fixed_size: 0
    .sgpr_count:     46
    .sgpr_spill_count: 0
    .symbol:         _ZN9rocsparseL26bsric0_2_8_unrolled_kernelILi4ELi32ELi2E21rocsparse_complex_numIdEEEv20rocsparse_direction_iiPKiS5_PT2_S5_PiS5_S8_21rocsparse_index_base_.kd
    .uniform_work_group_size: 1
    .uses_dynamic_stack: false
    .vgpr_count:     68
    .vgpr_spill_count: 0
    .wavefront_size: 64
  - .agpr_count:     0
    .args:
      - .offset:         0
        .size:           4
        .value_kind:     by_value
      - .offset:         4
        .size:           4
        .value_kind:     by_value
      - .offset:         8
        .size:           4
        .value_kind:     by_value
      - .actual_access:  read_only
        .address_space:  global
        .offset:         16
        .size:           8
        .value_kind:     global_buffer
      - .actual_access:  read_only
        .address_space:  global
        .offset:         24
        .size:           8
        .value_kind:     global_buffer
      - .address_space:  global
        .offset:         32
        .size:           8
        .value_kind:     global_buffer
      - .actual_access:  read_only
        .address_space:  global
        .offset:         40
        .size:           8
        .value_kind:     global_buffer
      - .address_space:  global
        .offset:         48
        .size:           8
        .value_kind:     global_buffer
      - .actual_access:  read_only
        .address_space:  global
        .offset:         56
        .size:           8
        .value_kind:     global_buffer
      - .address_space:  global
        .offset:         64
        .size:           8
        .value_kind:     global_buffer
      - .offset:         72
        .size:           4
        .value_kind:     by_value
    .group_segment_fixed_size: 1152
    .kernarg_segment_align: 8
    .kernarg_segment_size: 76
    .language:       OpenCL C
    .language_version:
      - 2
      - 0
    .max_flat_workgroup_size: 9
    .name:           _ZN9rocsparseL26bsric0_2_8_unrolled_kernelILi9ELi32ELi3E21rocsparse_complex_numIdEEEv20rocsparse_direction_iiPKiS5_PT2_S5_PiS5_S8_21rocsparse_index_base_
    .private_segment_fixed_size: 0
    .sgpr_count:     46
    .sgpr_spill_count: 0
    .symbol:         _ZN9rocsparseL26bsric0_2_8_unrolled_kernelILi9ELi32ELi3E21rocsparse_complex_numIdEEEv20rocsparse_direction_iiPKiS5_PT2_S5_PiS5_S8_21rocsparse_index_base_.kd
    .uniform_work_group_size: 1
    .uses_dynamic_stack: false
    .vgpr_count:     66
    .vgpr_spill_count: 0
    .wavefront_size: 64
  - .agpr_count:     0
    .args:
      - .offset:         0
        .size:           4
        .value_kind:     by_value
      - .offset:         4
        .size:           4
        .value_kind:     by_value
      - .offset:         8
        .size:           4
        .value_kind:     by_value
      - .actual_access:  read_only
        .address_space:  global
        .offset:         16
        .size:           8
        .value_kind:     global_buffer
      - .actual_access:  read_only
        .address_space:  global
        .offset:         24
        .size:           8
        .value_kind:     global_buffer
      - .address_space:  global
        .offset:         32
        .size:           8
        .value_kind:     global_buffer
      - .actual_access:  read_only
        .address_space:  global
        .offset:         40
        .size:           8
        .value_kind:     global_buffer
      - .address_space:  global
        .offset:         48
        .size:           8
        .value_kind:     global_buffer
      - .actual_access:  read_only
        .address_space:  global
        .offset:         56
        .size:           8
        .value_kind:     global_buffer
      - .address_space:  global
        .offset:         64
        .size:           8
        .value_kind:     global_buffer
      - .offset:         72
        .size:           4
        .value_kind:     by_value
    .group_segment_fixed_size: 1664
    .kernarg_segment_align: 8
    .kernarg_segment_size: 76
    .language:       OpenCL C
    .language_version:
      - 2
      - 0
    .max_flat_workgroup_size: 16
    .name:           _ZN9rocsparseL26bsric0_2_8_unrolled_kernelILi16ELi32ELi4E21rocsparse_complex_numIdEEEv20rocsparse_direction_iiPKiS5_PT2_S5_PiS5_S8_21rocsparse_index_base_
    .private_segment_fixed_size: 0
    .sgpr_count:     46
    .sgpr_spill_count: 0
    .symbol:         _ZN9rocsparseL26bsric0_2_8_unrolled_kernelILi16ELi32ELi4E21rocsparse_complex_numIdEEEv20rocsparse_direction_iiPKiS5_PT2_S5_PiS5_S8_21rocsparse_index_base_.kd
    .uniform_work_group_size: 1
    .uses_dynamic_stack: false
    .vgpr_count:     68
    .vgpr_spill_count: 0
    .wavefront_size: 64
  - .agpr_count:     0
    .args:
      - .offset:         0
        .size:           4
        .value_kind:     by_value
      - .offset:         4
        .size:           4
        .value_kind:     by_value
      - .offset:         8
        .size:           4
        .value_kind:     by_value
      - .actual_access:  read_only
        .address_space:  global
        .offset:         16
        .size:           8
        .value_kind:     global_buffer
      - .actual_access:  read_only
        .address_space:  global
        .offset:         24
        .size:           8
        .value_kind:     global_buffer
      - .address_space:  global
        .offset:         32
        .size:           8
        .value_kind:     global_buffer
      - .actual_access:  read_only
        .address_space:  global
        .offset:         40
        .size:           8
        .value_kind:     global_buffer
      - .address_space:  global
        .offset:         48
        .size:           8
        .value_kind:     global_buffer
      - .actual_access:  read_only
        .address_space:  global
        .offset:         56
        .size:           8
        .value_kind:     global_buffer
      - .address_space:  global
        .offset:         64
        .size:           8
        .value_kind:     global_buffer
      - .offset:         72
        .size:           4
        .value_kind:     by_value
    .group_segment_fixed_size: 2304
    .kernarg_segment_align: 8
    .kernarg_segment_size: 76
    .language:       OpenCL C
    .language_version:
      - 2
      - 0
    .max_flat_workgroup_size: 25
    .name:           _ZN9rocsparseL26bsric0_2_8_unrolled_kernelILi25ELi32ELi5E21rocsparse_complex_numIdEEEv20rocsparse_direction_iiPKiS5_PT2_S5_PiS5_S8_21rocsparse_index_base_
    .private_segment_fixed_size: 0
    .sgpr_count:     46
    .sgpr_spill_count: 0
    .symbol:         _ZN9rocsparseL26bsric0_2_8_unrolled_kernelILi25ELi32ELi5E21rocsparse_complex_numIdEEEv20rocsparse_direction_iiPKiS5_PT2_S5_PiS5_S8_21rocsparse_index_base_.kd
    .uniform_work_group_size: 1
    .uses_dynamic_stack: false
    .vgpr_count:     72
    .vgpr_spill_count: 0
    .wavefront_size: 64
  - .agpr_count:     0
    .args:
      - .offset:         0
        .size:           4
        .value_kind:     by_value
      - .offset:         4
        .size:           4
        .value_kind:     by_value
      - .offset:         8
        .size:           4
        .value_kind:     by_value
      - .actual_access:  read_only
        .address_space:  global
        .offset:         16
        .size:           8
        .value_kind:     global_buffer
      - .actual_access:  read_only
        .address_space:  global
        .offset:         24
        .size:           8
        .value_kind:     global_buffer
      - .address_space:  global
        .offset:         32
        .size:           8
        .value_kind:     global_buffer
      - .actual_access:  read_only
        .address_space:  global
        .offset:         40
        .size:           8
        .value_kind:     global_buffer
      - .address_space:  global
        .offset:         48
        .size:           8
        .value_kind:     global_buffer
      - .actual_access:  read_only
        .address_space:  global
        .offset:         56
        .size:           8
        .value_kind:     global_buffer
      - .address_space:  global
        .offset:         64
        .size:           8
        .value_kind:     global_buffer
      - .offset:         72
        .size:           4
        .value_kind:     by_value
    .group_segment_fixed_size: 3072
    .kernarg_segment_align: 8
    .kernarg_segment_size: 76
    .language:       OpenCL C
    .language_version:
      - 2
      - 0
    .max_flat_workgroup_size: 36
    .name:           _ZN9rocsparseL26bsric0_2_8_unrolled_kernelILi36ELi32ELi6E21rocsparse_complex_numIdEEEv20rocsparse_direction_iiPKiS5_PT2_S5_PiS5_S8_21rocsparse_index_base_
    .private_segment_fixed_size: 0
    .sgpr_count:     46
    .sgpr_spill_count: 0
    .symbol:         _ZN9rocsparseL26bsric0_2_8_unrolled_kernelILi36ELi32ELi6E21rocsparse_complex_numIdEEEv20rocsparse_direction_iiPKiS5_PT2_S5_PiS5_S8_21rocsparse_index_base_.kd
    .uniform_work_group_size: 1
    .uses_dynamic_stack: false
    .vgpr_count:     78
    .vgpr_spill_count: 0
    .wavefront_size: 64
  - .agpr_count:     0
    .args:
      - .offset:         0
        .size:           4
        .value_kind:     by_value
      - .offset:         4
        .size:           4
        .value_kind:     by_value
      - .offset:         8
        .size:           4
        .value_kind:     by_value
      - .actual_access:  read_only
        .address_space:  global
        .offset:         16
        .size:           8
        .value_kind:     global_buffer
      - .actual_access:  read_only
        .address_space:  global
        .offset:         24
        .size:           8
        .value_kind:     global_buffer
      - .address_space:  global
        .offset:         32
        .size:           8
        .value_kind:     global_buffer
      - .actual_access:  read_only
        .address_space:  global
        .offset:         40
        .size:           8
        .value_kind:     global_buffer
      - .address_space:  global
        .offset:         48
        .size:           8
        .value_kind:     global_buffer
      - .actual_access:  read_only
        .address_space:  global
        .offset:         56
        .size:           8
        .value_kind:     global_buffer
      - .address_space:  global
        .offset:         64
        .size:           8
        .value_kind:     global_buffer
      - .offset:         72
        .size:           4
        .value_kind:     by_value
    .group_segment_fixed_size: 3968
    .kernarg_segment_align: 8
    .kernarg_segment_size: 76
    .language:       OpenCL C
    .language_version:
      - 2
      - 0
    .max_flat_workgroup_size: 49
    .name:           _ZN9rocsparseL26bsric0_2_8_unrolled_kernelILi49ELi32ELi7E21rocsparse_complex_numIdEEEv20rocsparse_direction_iiPKiS5_PT2_S5_PiS5_S8_21rocsparse_index_base_
    .private_segment_fixed_size: 0
    .sgpr_count:     46
    .sgpr_spill_count: 0
    .symbol:         _ZN9rocsparseL26bsric0_2_8_unrolled_kernelILi49ELi32ELi7E21rocsparse_complex_numIdEEEv20rocsparse_direction_iiPKiS5_PT2_S5_PiS5_S8_21rocsparse_index_base_.kd
    .uniform_work_group_size: 1
    .uses_dynamic_stack: false
    .vgpr_count:     86
    .vgpr_spill_count: 0
    .wavefront_size: 64
  - .agpr_count:     0
    .args:
      - .offset:         0
        .size:           4
        .value_kind:     by_value
      - .offset:         4
        .size:           4
        .value_kind:     by_value
      - .offset:         8
        .size:           4
        .value_kind:     by_value
      - .actual_access:  read_only
        .address_space:  global
        .offset:         16
        .size:           8
        .value_kind:     global_buffer
      - .actual_access:  read_only
        .address_space:  global
        .offset:         24
        .size:           8
        .value_kind:     global_buffer
      - .address_space:  global
        .offset:         32
        .size:           8
        .value_kind:     global_buffer
      - .actual_access:  read_only
        .address_space:  global
        .offset:         40
        .size:           8
        .value_kind:     global_buffer
      - .address_space:  global
        .offset:         48
        .size:           8
        .value_kind:     global_buffer
      - .actual_access:  read_only
        .address_space:  global
        .offset:         56
        .size:           8
        .value_kind:     global_buffer
      - .address_space:  global
        .offset:         64
        .size:           8
        .value_kind:     global_buffer
      - .offset:         72
        .size:           4
        .value_kind:     by_value
    .group_segment_fixed_size: 4992
    .kernarg_segment_align: 8
    .kernarg_segment_size: 76
    .language:       OpenCL C
    .language_version:
      - 2
      - 0
    .max_flat_workgroup_size: 64
    .name:           _ZN9rocsparseL26bsric0_2_8_unrolled_kernelILi64ELi32ELi8E21rocsparse_complex_numIdEEEv20rocsparse_direction_iiPKiS5_PT2_S5_PiS5_S8_21rocsparse_index_base_
    .private_segment_fixed_size: 0
    .sgpr_count:     46
    .sgpr_spill_count: 0
    .symbol:         _ZN9rocsparseL26bsric0_2_8_unrolled_kernelILi64ELi32ELi8E21rocsparse_complex_numIdEEEv20rocsparse_direction_iiPKiS5_PT2_S5_PiS5_S8_21rocsparse_index_base_.kd
    .uniform_work_group_size: 1
    .uses_dynamic_stack: false
    .vgpr_count:     94
    .vgpr_spill_count: 0
    .wavefront_size: 64
  - .agpr_count:     0
    .args:
      - .offset:         0
        .size:           4
        .value_kind:     by_value
      - .offset:         4
        .size:           4
        .value_kind:     by_value
      - .offset:         8
        .size:           4
        .value_kind:     by_value
      - .actual_access:  read_only
        .address_space:  global
        .offset:         16
        .size:           8
        .value_kind:     global_buffer
      - .actual_access:  read_only
        .address_space:  global
        .offset:         24
        .size:           8
        .value_kind:     global_buffer
      - .address_space:  global
        .offset:         32
        .size:           8
        .value_kind:     global_buffer
      - .actual_access:  read_only
        .address_space:  global
        .offset:         40
        .size:           8
        .value_kind:     global_buffer
      - .address_space:  global
        .offset:         48
        .size:           8
        .value_kind:     global_buffer
      - .actual_access:  read_only
        .address_space:  global
        .offset:         56
        .size:           8
        .value_kind:     global_buffer
      - .address_space:  global
        .offset:         64
        .size:           8
        .value_kind:     global_buffer
      - .offset:         72
        .size:           4
        .value_kind:     by_value
    .group_segment_fixed_size: 17792
    .kernarg_segment_align: 8
    .kernarg_segment_size: 76
    .language:       OpenCL C
    .language_version:
      - 2
      - 0
    .max_flat_workgroup_size: 64
    .name:           _ZN9rocsparseL18bsric0_9_16_kernelILi64ELi32ELi16E21rocsparse_complex_numIdEEEv20rocsparse_direction_iiPKiS5_PT2_S5_PiS5_S8_21rocsparse_index_base_
    .private_segment_fixed_size: 0
    .sgpr_count:     60
    .sgpr_spill_count: 0
    .symbol:         _ZN9rocsparseL18bsric0_9_16_kernelILi64ELi32ELi16E21rocsparse_complex_numIdEEEv20rocsparse_direction_iiPKiS5_PT2_S5_PiS5_S8_21rocsparse_index_base_.kd
    .uniform_work_group_size: 1
    .uses_dynamic_stack: false
    .vgpr_count:     46
    .vgpr_spill_count: 0
    .wavefront_size: 64
  - .agpr_count:     0
    .args:
      - .offset:         0
        .size:           4
        .value_kind:     by_value
      - .offset:         4
        .size:           4
        .value_kind:     by_value
      - .offset:         8
        .size:           4
        .value_kind:     by_value
      - .actual_access:  read_only
        .address_space:  global
        .offset:         16
        .size:           8
        .value_kind:     global_buffer
      - .actual_access:  read_only
        .address_space:  global
        .offset:         24
        .size:           8
        .value_kind:     global_buffer
      - .address_space:  global
        .offset:         32
        .size:           8
        .value_kind:     global_buffer
      - .actual_access:  read_only
        .address_space:  global
        .offset:         40
        .size:           8
        .value_kind:     global_buffer
      - .address_space:  global
        .offset:         48
        .size:           8
        .value_kind:     global_buffer
      - .actual_access:  read_only
        .address_space:  global
        .offset:         56
        .size:           8
        .value_kind:     global_buffer
      - .address_space:  global
        .offset:         64
        .size:           8
        .value_kind:     global_buffer
      - .offset:         72
        .size:           4
        .value_kind:     by_value
    .group_segment_fixed_size: 51072
    .kernarg_segment_align: 8
    .kernarg_segment_size: 76
    .language:       OpenCL C
    .language_version:
      - 2
      - 0
    .max_flat_workgroup_size: 64
    .name:           _ZN9rocsparseL19bsric0_17_32_kernelILi64ELi32ELi32E21rocsparse_complex_numIdEEEv20rocsparse_direction_iiPKiS5_PT2_S5_PiS5_S8_21rocsparse_index_base_
    .private_segment_fixed_size: 0
    .sgpr_count:     62
    .sgpr_spill_count: 0
    .symbol:         _ZN9rocsparseL19bsric0_17_32_kernelILi64ELi32ELi32E21rocsparse_complex_numIdEEEv20rocsparse_direction_iiPKiS5_PT2_S5_PiS5_S8_21rocsparse_index_base_.kd
    .uniform_work_group_size: 1
    .uses_dynamic_stack: false
    .vgpr_count:     44
    .vgpr_spill_count: 0
    .wavefront_size: 64
  - .agpr_count:     0
    .args:
      - .offset:         0
        .size:           4
        .value_kind:     by_value
      - .offset:         4
        .size:           4
        .value_kind:     by_value
      - .offset:         8
        .size:           4
        .value_kind:     by_value
      - .actual_access:  read_only
        .address_space:  global
        .offset:         16
        .size:           8
        .value_kind:     global_buffer
      - .actual_access:  read_only
        .address_space:  global
        .offset:         24
        .size:           8
        .value_kind:     global_buffer
      - .address_space:  global
        .offset:         32
        .size:           8
        .value_kind:     global_buffer
      - .actual_access:  read_only
        .address_space:  global
        .offset:         40
        .size:           8
        .value_kind:     global_buffer
      - .address_space:  global
        .offset:         48
        .size:           8
        .value_kind:     global_buffer
      - .actual_access:  read_only
        .address_space:  global
        .offset:         56
        .size:           8
        .value_kind:     global_buffer
      - .address_space:  global
        .offset:         64
        .size:           8
        .value_kind:     global_buffer
      - .offset:         72
        .size:           4
        .value_kind:     by_value
    .group_segment_fixed_size: 0
    .kernarg_segment_align: 8
    .kernarg_segment_size: 76
    .language:       OpenCL C
    .language_version:
      - 2
      - 0
    .max_flat_workgroup_size: 64
    .name:           _ZN9rocsparseL23bsric0_binsearch_kernelILj64ELj64ELb0E21rocsparse_complex_numIdEEEv20rocsparse_direction_iiPKiS5_PT2_S5_PiS5_S8_21rocsparse_index_base_
    .private_segment_fixed_size: 0
    .sgpr_count:     63
    .sgpr_spill_count: 0
    .symbol:         _ZN9rocsparseL23bsric0_binsearch_kernelILj64ELj64ELb0E21rocsparse_complex_numIdEEEv20rocsparse_direction_iiPKiS5_PT2_S5_PiS5_S8_21rocsparse_index_base_.kd
    .uniform_work_group_size: 1
    .uses_dynamic_stack: false
    .vgpr_count:     62
    .vgpr_spill_count: 0
    .wavefront_size: 64
  - .agpr_count:     0
    .args:
      - .offset:         0
        .size:           4
        .value_kind:     by_value
      - .offset:         4
        .size:           4
        .value_kind:     by_value
      - .offset:         8
        .size:           4
        .value_kind:     by_value
      - .actual_access:  read_only
        .address_space:  global
        .offset:         16
        .size:           8
        .value_kind:     global_buffer
      - .actual_access:  read_only
        .address_space:  global
        .offset:         24
        .size:           8
        .value_kind:     global_buffer
      - .address_space:  global
        .offset:         32
        .size:           8
        .value_kind:     global_buffer
      - .actual_access:  read_only
        .address_space:  global
        .offset:         40
        .size:           8
        .value_kind:     global_buffer
      - .address_space:  global
        .offset:         48
        .size:           8
        .value_kind:     global_buffer
      - .actual_access:  read_only
        .address_space:  global
        .offset:         56
        .size:           8
        .value_kind:     global_buffer
      - .address_space:  global
        .offset:         64
        .size:           8
        .value_kind:     global_buffer
      - .offset:         72
        .size:           4
        .value_kind:     by_value
    .group_segment_fixed_size: 5376
    .kernarg_segment_align: 8
    .kernarg_segment_size: 76
    .language:       OpenCL C
    .language_version:
      - 2
      - 0
    .max_flat_workgroup_size: 64
    .name:           _ZN9rocsparseL17bsric0_2_8_kernelILi64ELi64ELi8E21rocsparse_complex_numIdEEEv20rocsparse_direction_iiPKiS5_PT2_S5_PiS5_S8_21rocsparse_index_base_
    .private_segment_fixed_size: 0
    .sgpr_count:     56
    .sgpr_spill_count: 0
    .symbol:         _ZN9rocsparseL17bsric0_2_8_kernelILi64ELi64ELi8E21rocsparse_complex_numIdEEEv20rocsparse_direction_iiPKiS5_PT2_S5_PiS5_S8_21rocsparse_index_base_.kd
    .uniform_work_group_size: 1
    .uses_dynamic_stack: false
    .vgpr_count:     66
    .vgpr_spill_count: 0
    .wavefront_size: 64
  - .agpr_count:     0
    .args:
      - .offset:         0
        .size:           4
        .value_kind:     by_value
      - .offset:         4
        .size:           4
        .value_kind:     by_value
      - .offset:         8
        .size:           4
        .value_kind:     by_value
      - .actual_access:  read_only
        .address_space:  global
        .offset:         16
        .size:           8
        .value_kind:     global_buffer
      - .actual_access:  read_only
        .address_space:  global
        .offset:         24
        .size:           8
        .value_kind:     global_buffer
      - .address_space:  global
        .offset:         32
        .size:           8
        .value_kind:     global_buffer
      - .actual_access:  read_only
        .address_space:  global
        .offset:         40
        .size:           8
        .value_kind:     global_buffer
      - .address_space:  global
        .offset:         48
        .size:           8
        .value_kind:     global_buffer
      - .actual_access:  read_only
        .address_space:  global
        .offset:         56
        .size:           8
        .value_kind:     global_buffer
      - .address_space:  global
        .offset:         64
        .size:           8
        .value_kind:     global_buffer
      - .offset:         72
        .size:           4
        .value_kind:     by_value
    .group_segment_fixed_size: 18176
    .kernarg_segment_align: 8
    .kernarg_segment_size: 76
    .language:       OpenCL C
    .language_version:
      - 2
      - 0
    .max_flat_workgroup_size: 64
    .name:           _ZN9rocsparseL18bsric0_9_16_kernelILi64ELi64ELi16E21rocsparse_complex_numIdEEEv20rocsparse_direction_iiPKiS5_PT2_S5_PiS5_S8_21rocsparse_index_base_
    .private_segment_fixed_size: 0
    .sgpr_count:     60
    .sgpr_spill_count: 0
    .symbol:         _ZN9rocsparseL18bsric0_9_16_kernelILi64ELi64ELi16E21rocsparse_complex_numIdEEEv20rocsparse_direction_iiPKiS5_PT2_S5_PiS5_S8_21rocsparse_index_base_.kd
    .uniform_work_group_size: 1
    .uses_dynamic_stack: false
    .vgpr_count:     46
    .vgpr_spill_count: 0
    .wavefront_size: 64
  - .agpr_count:     0
    .args:
      - .offset:         0
        .size:           4
        .value_kind:     by_value
      - .offset:         4
        .size:           4
        .value_kind:     by_value
      - .offset:         8
        .size:           4
        .value_kind:     by_value
      - .actual_access:  read_only
        .address_space:  global
        .offset:         16
        .size:           8
        .value_kind:     global_buffer
      - .actual_access:  read_only
        .address_space:  global
        .offset:         24
        .size:           8
        .value_kind:     global_buffer
      - .address_space:  global
        .offset:         32
        .size:           8
        .value_kind:     global_buffer
      - .actual_access:  read_only
        .address_space:  global
        .offset:         40
        .size:           8
        .value_kind:     global_buffer
      - .address_space:  global
        .offset:         48
        .size:           8
        .value_kind:     global_buffer
      - .actual_access:  read_only
        .address_space:  global
        .offset:         56
        .size:           8
        .value_kind:     global_buffer
      - .address_space:  global
        .offset:         64
        .size:           8
        .value_kind:     global_buffer
      - .offset:         72
        .size:           4
        .value_kind:     by_value
    .group_segment_fixed_size: 51456
    .kernarg_segment_align: 8
    .kernarg_segment_size: 76
    .language:       OpenCL C
    .language_version:
      - 2
      - 0
    .max_flat_workgroup_size: 64
    .name:           _ZN9rocsparseL19bsric0_17_32_kernelILi64ELi64ELi32E21rocsparse_complex_numIdEEEv20rocsparse_direction_iiPKiS5_PT2_S5_PiS5_S8_21rocsparse_index_base_
    .private_segment_fixed_size: 0
    .sgpr_count:     62
    .sgpr_spill_count: 0
    .symbol:         _ZN9rocsparseL19bsric0_17_32_kernelILi64ELi64ELi32E21rocsparse_complex_numIdEEEv20rocsparse_direction_iiPKiS5_PT2_S5_PiS5_S8_21rocsparse_index_base_.kd
    .uniform_work_group_size: 1
    .uses_dynamic_stack: false
    .vgpr_count:     44
    .vgpr_spill_count: 0
    .wavefront_size: 64
  - .agpr_count:     0
    .args:
      - .offset:         0
        .size:           4
        .value_kind:     by_value
      - .offset:         4
        .size:           4
        .value_kind:     by_value
      - .offset:         8
        .size:           4
        .value_kind:     by_value
      - .actual_access:  read_only
        .address_space:  global
        .offset:         16
        .size:           8
        .value_kind:     global_buffer
      - .actual_access:  read_only
        .address_space:  global
        .offset:         24
        .size:           8
        .value_kind:     global_buffer
      - .address_space:  global
        .offset:         32
        .size:           8
        .value_kind:     global_buffer
      - .actual_access:  read_only
        .address_space:  global
        .offset:         40
        .size:           8
        .value_kind:     global_buffer
      - .address_space:  global
        .offset:         48
        .size:           8
        .value_kind:     global_buffer
      - .actual_access:  read_only
        .address_space:  global
        .offset:         56
        .size:           8
        .value_kind:     global_buffer
      - .address_space:  global
        .offset:         64
        .size:           8
        .value_kind:     global_buffer
      - .offset:         72
        .size:           4
        .value_kind:     by_value
    .group_segment_fixed_size: 6144
    .kernarg_segment_align: 8
    .kernarg_segment_size: 76
    .language:       OpenCL C
    .language_version:
      - 2
      - 0
    .max_flat_workgroup_size: 64
    .name:           _ZN9rocsparseL17bsric0_2_8_kernelILi64ELi128ELi8E21rocsparse_complex_numIdEEEv20rocsparse_direction_iiPKiS5_PT2_S5_PiS5_S8_21rocsparse_index_base_
    .private_segment_fixed_size: 0
    .sgpr_count:     56
    .sgpr_spill_count: 0
    .symbol:         _ZN9rocsparseL17bsric0_2_8_kernelILi64ELi128ELi8E21rocsparse_complex_numIdEEEv20rocsparse_direction_iiPKiS5_PT2_S5_PiS5_S8_21rocsparse_index_base_.kd
    .uniform_work_group_size: 1
    .uses_dynamic_stack: false
    .vgpr_count:     68
    .vgpr_spill_count: 0
    .wavefront_size: 64
  - .agpr_count:     0
    .args:
      - .offset:         0
        .size:           4
        .value_kind:     by_value
      - .offset:         4
        .size:           4
        .value_kind:     by_value
      - .offset:         8
        .size:           4
        .value_kind:     by_value
      - .actual_access:  read_only
        .address_space:  global
        .offset:         16
        .size:           8
        .value_kind:     global_buffer
      - .actual_access:  read_only
        .address_space:  global
        .offset:         24
        .size:           8
        .value_kind:     global_buffer
      - .address_space:  global
        .offset:         32
        .size:           8
        .value_kind:     global_buffer
      - .actual_access:  read_only
        .address_space:  global
        .offset:         40
        .size:           8
        .value_kind:     global_buffer
      - .address_space:  global
        .offset:         48
        .size:           8
        .value_kind:     global_buffer
      - .actual_access:  read_only
        .address_space:  global
        .offset:         56
        .size:           8
        .value_kind:     global_buffer
      - .address_space:  global
        .offset:         64
        .size:           8
        .value_kind:     global_buffer
      - .offset:         72
        .size:           4
        .value_kind:     by_value
    .group_segment_fixed_size: 18944
    .kernarg_segment_align: 8
    .kernarg_segment_size: 76
    .language:       OpenCL C
    .language_version:
      - 2
      - 0
    .max_flat_workgroup_size: 64
    .name:           _ZN9rocsparseL18bsric0_9_16_kernelILi64ELi128ELi16E21rocsparse_complex_numIdEEEv20rocsparse_direction_iiPKiS5_PT2_S5_PiS5_S8_21rocsparse_index_base_
    .private_segment_fixed_size: 0
    .sgpr_count:     60
    .sgpr_spill_count: 0
    .symbol:         _ZN9rocsparseL18bsric0_9_16_kernelILi64ELi128ELi16E21rocsparse_complex_numIdEEEv20rocsparse_direction_iiPKiS5_PT2_S5_PiS5_S8_21rocsparse_index_base_.kd
    .uniform_work_group_size: 1
    .uses_dynamic_stack: false
    .vgpr_count:     46
    .vgpr_spill_count: 0
    .wavefront_size: 64
  - .agpr_count:     0
    .args:
      - .offset:         0
        .size:           4
        .value_kind:     by_value
      - .offset:         4
        .size:           4
        .value_kind:     by_value
      - .offset:         8
        .size:           4
        .value_kind:     by_value
      - .actual_access:  read_only
        .address_space:  global
        .offset:         16
        .size:           8
        .value_kind:     global_buffer
      - .actual_access:  read_only
        .address_space:  global
        .offset:         24
        .size:           8
        .value_kind:     global_buffer
      - .address_space:  global
        .offset:         32
        .size:           8
        .value_kind:     global_buffer
      - .actual_access:  read_only
        .address_space:  global
        .offset:         40
        .size:           8
        .value_kind:     global_buffer
      - .address_space:  global
        .offset:         48
        .size:           8
        .value_kind:     global_buffer
      - .actual_access:  read_only
        .address_space:  global
        .offset:         56
        .size:           8
        .value_kind:     global_buffer
      - .address_space:  global
        .offset:         64
        .size:           8
        .value_kind:     global_buffer
      - .offset:         72
        .size:           4
        .value_kind:     by_value
    .group_segment_fixed_size: 52224
    .kernarg_segment_align: 8
    .kernarg_segment_size: 76
    .language:       OpenCL C
    .language_version:
      - 2
      - 0
    .max_flat_workgroup_size: 64
    .name:           _ZN9rocsparseL19bsric0_17_32_kernelILi64ELi128ELi32E21rocsparse_complex_numIdEEEv20rocsparse_direction_iiPKiS5_PT2_S5_PiS5_S8_21rocsparse_index_base_
    .private_segment_fixed_size: 0
    .sgpr_count:     62
    .sgpr_spill_count: 0
    .symbol:         _ZN9rocsparseL19bsric0_17_32_kernelILi64ELi128ELi32E21rocsparse_complex_numIdEEEv20rocsparse_direction_iiPKiS5_PT2_S5_PiS5_S8_21rocsparse_index_base_.kd
    .uniform_work_group_size: 1
    .uses_dynamic_stack: false
    .vgpr_count:     44
    .vgpr_spill_count: 0
    .wavefront_size: 64
amdhsa.target:   amdgcn-amd-amdhsa--gfx950
amdhsa.version:
  - 1
  - 2
...

	.end_amdgpu_metadata
